;; amdgpu-corpus repo=pytorch/pytorch kind=compiled arch=gfx1100 opt=O3
	.text
	.amdgcn_target "amdgcn-amd-amdhsa--gfx1100"
	.amdhsa_code_object_version 6
	.section	.text._ZN2at6native12_GLOBAL__N_125multi_tensor_apply_kernelINS1_28TensorListScalarListMetadataIhLi1EEENS1_25BinaryOpScalarListFunctorIhLi1ELi1ELi0EEEJSt4plusIhEEEEvT_T0_DpT1_,"axG",@progbits,_ZN2at6native12_GLOBAL__N_125multi_tensor_apply_kernelINS1_28TensorListScalarListMetadataIhLi1EEENS1_25BinaryOpScalarListFunctorIhLi1ELi1ELi0EEEJSt4plusIhEEEEvT_T0_DpT1_,comdat
	.globl	_ZN2at6native12_GLOBAL__N_125multi_tensor_apply_kernelINS1_28TensorListScalarListMetadataIhLi1EEENS1_25BinaryOpScalarListFunctorIhLi1ELi1ELi0EEEJSt4plusIhEEEEvT_T0_DpT1_ ; -- Begin function _ZN2at6native12_GLOBAL__N_125multi_tensor_apply_kernelINS1_28TensorListScalarListMetadataIhLi1EEENS1_25BinaryOpScalarListFunctorIhLi1ELi1ELi0EEEJSt4plusIhEEEEvT_T0_DpT1_
	.p2align	8
	.type	_ZN2at6native12_GLOBAL__N_125multi_tensor_apply_kernelINS1_28TensorListScalarListMetadataIhLi1EEENS1_25BinaryOpScalarListFunctorIhLi1ELi1ELi0EEEJSt4plusIhEEEEvT_T0_DpT1_,@function
_ZN2at6native12_GLOBAL__N_125multi_tensor_apply_kernelINS1_28TensorListScalarListMetadataIhLi1EEENS1_25BinaryOpScalarListFunctorIhLi1ELi1ELi0EEEJSt4plusIhEEEEvT_T0_DpT1_: ; @_ZN2at6native12_GLOBAL__N_125multi_tensor_apply_kernelINS1_28TensorListScalarListMetadataIhLi1EEENS1_25BinaryOpScalarListFunctorIhLi1ELi1ELi0EEEJSt4plusIhEEEEvT_T0_DpT1_
; %bb.0:
	v_mov_b32_e32 v1, s15
	s_mul_i32 s4, s15, 3
	s_mul_hi_u32 s5, s15, 3
	global_load_u8 v3, v1, s[0:1] offset:1632
	s_waitcnt vmcnt(0)
	v_add_co_u32 v1, s2, s0, v3
	s_delay_alu instid0(VALU_DEP_1)
	v_add_co_ci_u32_e64 v2, null, s1, 0, s2
	s_add_u32 s2, s0, s15
	s_addc_u32 s3, s1, 0
	s_add_u32 s2, s2, s4
	global_load_u8 v2, v[1:2], off offset:1536
	v_readfirstlane_b32 s6, v3
	s_addc_u32 s3, s3, s5
	s_load_b32 s4, s[2:3], 0x7a0
	s_delay_alu instid0(VALU_DEP_1)
	s_lshl_b32 s5, s6, 3
	s_clause 0x1
	s_load_b64 s[2:3], s[0:1], s5 offset:0x0
	s_load_b64 s[8:9], s[0:1], s5 offset:0x300
	s_waitcnt lgkmcnt(0)
	s_ashr_i32 s5, s4, 31
	s_delay_alu instid0(SALU_CYCLE_1) | instskip(NEXT) | instid1(SALU_CYCLE_1)
	s_lshl_b64 s[4:5], s[4:5], 16
	s_add_u32 s12, s2, s4
	s_addc_u32 s13, s3, s5
	s_sub_u32 s6, s8, s4
	s_subb_u32 s7, s9, s5
	s_or_b32 s8, s8, s12
	s_delay_alu instid0(SALU_CYCLE_1) | instskip(NEXT) | instid1(SALU_CYCLE_1)
	s_and_b32 s8, s8, 3
	s_cmp_eq_u32 s8, 0
	s_cbranch_scc1 .LBB0_21
; %bb.1:
	v_cmp_lt_i64_e64 s8, s[6:7], 1
	s_delay_alu instid0(VALU_DEP_1)
	s_and_b32 vcc_lo, exec_lo, s8
	s_cbranch_vccnz .LBB0_20
; %bb.2:
	s_load_b32 s8, s[0:1], 0xcb4
	v_add_co_u32 v12, s9, s4, v0
	s_delay_alu instid0(VALU_DEP_1) | instskip(SKIP_1) | instid1(VALU_DEP_3)
	v_add_co_ci_u32_e64 v13, null, s5, 0, s9
	v_cmp_gt_u64_e64 s9, 0x10000, s[6:7]
	v_add_co_u32 v1, vcc_lo, s2, v12
	s_delay_alu instid0(VALU_DEP_3) | instskip(SKIP_2) | instid1(VALU_DEP_3)
	v_add_co_ci_u32_e32 v3, vcc_lo, s3, v13, vcc_lo
	s_waitcnt lgkmcnt(0)
	s_and_b32 s10, s8, 0xffff
	s_and_b32 s8, s9, exec_lo
	s_mul_i32 s15, s10, 3
	s_cselect_b32 s9, s7, 0
	s_cselect_b32 s8, s6, 0x10000
	s_lshl_b32 s11, s10, 1
	s_lshl_b32 s14, s10, 2
	s_add_u32 s16, s4, s15
	v_add_co_u32 v4, s15, s15, v0
	s_delay_alu instid0(VALU_DEP_1)
	v_add_co_ci_u32_e64 v5, null, 0, 0, s15
	s_addc_u32 s15, s5, 0
	s_add_u32 s16, s2, s16
	s_addc_u32 s15, s3, s15
	s_add_u32 s4, s4, s11
	;; [unrolled: 2-line block ×3, first 2 shown]
	s_addc_u32 s5, s3, s5
	v_add_co_u32 v8, s4, s4, v0
	s_add_u32 s2, s2, s10
	v_add_co_u32 v6, s16, s16, v0
	v_add_co_ci_u32_e64 v9, null, s5, 0, s4
	v_add_co_u32 v10, s4, s11, v0
	s_addc_u32 s3, s3, 0
	v_add_co_u32 v12, vcc_lo, s2, v12
	v_add_co_u32 v14, s2, v0, s10
	v_add_co_ci_u32_e64 v7, null, s15, 0, s16
	v_add_co_ci_u32_e64 v11, null, 0, 0, s4
	v_add_co_ci_u32_e32 v13, vcc_lo, s3, v13, vcc_lo
	v_add_co_ci_u32_e64 v15, null, 0, 0, s2
	s_mov_b64 s[10:11], 0
	s_branch .LBB0_4
.LBB0_3:                                ;   in Loop: Header=BB0_4 Depth=1
	s_or_b32 exec_lo, exec_lo, s2
	s_add_u32 s10, s10, s14
	s_addc_u32 s11, s11, 0
	s_delay_alu instid0(SALU_CYCLE_1) | instskip(SKIP_1) | instid1(VALU_DEP_1)
	v_cmp_lt_i64_e64 s2, s[10:11], s[6:7]
	v_cmp_gt_u64_e64 s3, 0x10000, s[10:11]
	s_and_b32 s2, s2, s3
	s_delay_alu instid0(SALU_CYCLE_1)
	s_and_b32 vcc_lo, exec_lo, s2
	s_cbranch_vccz .LBB0_20
.LBB0_4:                                ; =>This Inner Loop Header: Depth=1
	s_waitcnt vmcnt(0)
	v_add_co_u32 v16, s2, v0, s10
	s_delay_alu instid0(VALU_DEP_1) | instskip(NEXT) | instid1(VALU_DEP_1)
	v_add_co_ci_u32_e64 v17, null, 0, s11, s2
	v_cmp_gt_u64_e32 vcc_lo, s[8:9], v[16:17]
	v_mov_b32_e32 v16, 0
	s_and_saveexec_b32 s3, vcc_lo
	s_cbranch_execz .LBB0_6
; %bb.5:                                ;   in Loop: Header=BB0_4 Depth=1
	v_add_co_u32 v16, s2, v1, s10
	s_delay_alu instid0(VALU_DEP_1)
	v_add_co_ci_u32_e64 v17, s2, s11, v3, s2
	global_load_u8 v16, v[16:17], off
.LBB0_6:                                ;   in Loop: Header=BB0_4 Depth=1
	s_or_b32 exec_lo, exec_lo, s3
	v_add_co_u32 v17, s2, v14, s10
	s_delay_alu instid0(VALU_DEP_1) | instskip(NEXT) | instid1(VALU_DEP_1)
	v_add_co_ci_u32_e64 v18, s2, s11, v15, s2
	v_cmp_gt_u64_e64 s2, s[8:9], v[17:18]
	v_mov_b32_e32 v18, 0
	s_delay_alu instid0(VALU_DEP_2)
	s_and_saveexec_b32 s4, s2
	s_cbranch_execz .LBB0_8
; %bb.7:                                ;   in Loop: Header=BB0_4 Depth=1
	v_add_co_u32 v17, s3, v12, s10
	s_delay_alu instid0(VALU_DEP_1)
	v_add_co_ci_u32_e64 v18, s3, s11, v13, s3
	global_load_u8 v18, v[17:18], off
.LBB0_8:                                ;   in Loop: Header=BB0_4 Depth=1
	s_or_b32 exec_lo, exec_lo, s4
	v_add_co_u32 v19, s3, v10, s10
	s_delay_alu instid0(VALU_DEP_1) | instskip(SKIP_1) | instid1(VALU_DEP_2)
	v_add_co_ci_u32_e64 v20, s3, s11, v11, s3
	v_mov_b32_e32 v17, 0
	v_cmp_gt_u64_e64 s3, s[8:9], v[19:20]
	v_mov_b32_e32 v19, 0
	s_delay_alu instid0(VALU_DEP_2)
	s_and_saveexec_b32 s5, s3
	s_cbranch_execz .LBB0_10
; %bb.9:                                ;   in Loop: Header=BB0_4 Depth=1
	v_add_co_u32 v19, s4, v8, s10
	s_delay_alu instid0(VALU_DEP_1)
	v_add_co_ci_u32_e64 v20, s4, s11, v9, s4
	global_load_u8 v19, v[19:20], off
.LBB0_10:                               ;   in Loop: Header=BB0_4 Depth=1
	s_or_b32 exec_lo, exec_lo, s5
	v_add_co_u32 v20, s4, v4, s10
	s_delay_alu instid0(VALU_DEP_1) | instskip(NEXT) | instid1(VALU_DEP_1)
	v_add_co_ci_u32_e64 v21, s4, s11, v5, s4
	v_cmp_gt_u64_e64 s4, s[8:9], v[20:21]
	s_delay_alu instid0(VALU_DEP_1)
	s_and_saveexec_b32 s15, s4
	s_cbranch_execnz .LBB0_15
; %bb.11:                               ;   in Loop: Header=BB0_4 Depth=1
	s_or_b32 exec_lo, exec_lo, s15
	s_and_saveexec_b32 s5, vcc_lo
	s_cbranch_execnz .LBB0_16
.LBB0_12:                               ;   in Loop: Header=BB0_4 Depth=1
	s_or_b32 exec_lo, exec_lo, s5
	s_and_saveexec_b32 s5, s2
	s_cbranch_execnz .LBB0_17
.LBB0_13:                               ;   in Loop: Header=BB0_4 Depth=1
	s_or_b32 exec_lo, exec_lo, s5
	s_and_saveexec_b32 s2, s3
	s_cbranch_execnz .LBB0_18
.LBB0_14:                               ;   in Loop: Header=BB0_4 Depth=1
	s_or_b32 exec_lo, exec_lo, s2
	s_and_saveexec_b32 s2, s4
	s_cbranch_execz .LBB0_3
	s_branch .LBB0_19
.LBB0_15:                               ;   in Loop: Header=BB0_4 Depth=1
	v_add_co_u32 v20, s5, v6, s10
	s_delay_alu instid0(VALU_DEP_1)
	v_add_co_ci_u32_e64 v21, s5, s11, v7, s5
	global_load_u8 v17, v[20:21], off
	s_or_b32 exec_lo, exec_lo, s15
	s_and_saveexec_b32 s5, vcc_lo
	s_cbranch_execz .LBB0_12
.LBB0_16:                               ;   in Loop: Header=BB0_4 Depth=1
	v_add_co_u32 v20, vcc_lo, v1, s10
	s_waitcnt vmcnt(0)
	v_add_nc_u16 v16, v16, v2
	v_add_co_ci_u32_e32 v21, vcc_lo, s11, v3, vcc_lo
	global_store_b8 v[20:21], v16, off
	s_or_b32 exec_lo, exec_lo, s5
	s_and_saveexec_b32 s5, s2
	s_cbranch_execz .LBB0_13
.LBB0_17:                               ;   in Loop: Header=BB0_4 Depth=1
	v_add_co_u32 v20, vcc_lo, v12, s10
	s_waitcnt vmcnt(0)
	v_add_nc_u16 v16, v18, v2
	v_add_co_ci_u32_e32 v21, vcc_lo, s11, v13, vcc_lo
	global_store_b8 v[20:21], v16, off
	s_or_b32 exec_lo, exec_lo, s5
	s_and_saveexec_b32 s2, s3
	s_cbranch_execz .LBB0_14
.LBB0_18:                               ;   in Loop: Header=BB0_4 Depth=1
	s_waitcnt vmcnt(0)
	v_add_co_u32 v18, vcc_lo, v8, s10
	v_add_nc_u16 v16, v19, v2
	v_add_co_ci_u32_e32 v19, vcc_lo, s11, v9, vcc_lo
	global_store_b8 v[18:19], v16, off
	s_or_b32 exec_lo, exec_lo, s2
	s_and_saveexec_b32 s2, s4
	s_cbranch_execz .LBB0_3
.LBB0_19:                               ;   in Loop: Header=BB0_4 Depth=1
	s_waitcnt vmcnt(0)
	v_add_co_u32 v16, vcc_lo, v6, s10
	v_add_nc_u16 v18, v17, v2
	v_add_co_ci_u32_e32 v17, vcc_lo, s11, v7, vcc_lo
	global_store_b8 v[16:17], v18, off
	s_branch .LBB0_3
.LBB0_20:
	s_cbranch_execz .LBB0_22
	s_branch .LBB0_25
.LBB0_21:
.LBB0_22:
	v_dual_mov_b32 v1, 0 :: v_dual_lshlrev_b32 v0, 2, v0
	s_mov_b32 s2, exec_lo
	s_delay_alu instid0(VALU_DEP_1)
	v_cmpx_gt_i64_e64 s[6:7], v[0:1]
	s_cbranch_execz .LBB0_25
; %bb.23:
	s_load_b32 s0, s[0:1], 0xcb4
	s_mov_b32 s2, 0
	s_waitcnt lgkmcnt(0)
	s_and_b32 s0, s0, 0xffff
	s_delay_alu instid0(SALU_CYCLE_1)
	s_lshl_b32 s1, s0, 2
	s_set_inst_prefetch_distance 0x1
	.p2align	6
.LBB0_24:                               ; =>This Inner Loop Header: Depth=1
	v_add_co_u32 v3, vcc_lo, s12, v0
	v_add_co_ci_u32_e32 v4, vcc_lo, s13, v1, vcc_lo
	v_add_co_u32 v0, vcc_lo, s1, v0
	v_add_co_ci_u32_e32 v1, vcc_lo, 0, v1, vcc_lo
	global_load_b32 v5, v[3:4], off
	v_cmp_le_i64_e32 vcc_lo, s[6:7], v[0:1]
	v_cmp_lt_u64_e64 s0, 0xffff, v[0:1]
	s_delay_alu instid0(VALU_DEP_1) | instskip(NEXT) | instid1(SALU_CYCLE_1)
	s_or_b32 s0, vcc_lo, s0
	s_and_b32 s0, exec_lo, s0
	s_delay_alu instid0(SALU_CYCLE_1)
	s_or_b32 s2, s0, s2
	s_waitcnt vmcnt(0)
	v_lshrrev_b32_e32 v6, 16, v5
	v_lshrrev_b32_e32 v7, 8, v5
	;; [unrolled: 1-line block ×3, first 2 shown]
	v_add_nc_u16 v5, v2, v5
	s_delay_alu instid0(VALU_DEP_4) | instskip(NEXT) | instid1(VALU_DEP_4)
	v_add_nc_u16 v6, v2, v6
	v_add_nc_u16 v7, v2, v7
	s_delay_alu instid0(VALU_DEP_4) | instskip(NEXT) | instid1(VALU_DEP_4)
	v_add_nc_u16 v8, v2, v8
	v_and_b32_e32 v5, 0xff, v5
	s_delay_alu instid0(VALU_DEP_4) | instskip(NEXT) | instid1(VALU_DEP_4)
	v_and_b32_e32 v6, 0xff, v6
	v_and_b32_e32 v7, 0xff, v7
	s_delay_alu instid0(VALU_DEP_2) | instskip(NEXT) | instid1(VALU_DEP_2)
	v_lshlrev_b32_e32 v6, 16, v6
	v_lshlrev_b32_e32 v7, 8, v7
	s_delay_alu instid0(VALU_DEP_2) | instskip(NEXT) | instid1(VALU_DEP_1)
	v_lshl_or_b32 v6, v8, 24, v6
	v_or3_b32 v5, v6, v7, v5
	global_store_b32 v[3:4], v5, off
	s_and_not1_b32 exec_lo, exec_lo, s2
	s_cbranch_execnz .LBB0_24
.LBB0_25:
	s_set_inst_prefetch_distance 0x2
	s_nop 0
	s_sendmsg sendmsg(MSG_DEALLOC_VGPRS)
	s_endpgm
	.section	.rodata,"a",@progbits
	.p2align	6, 0x0
	.amdhsa_kernel _ZN2at6native12_GLOBAL__N_125multi_tensor_apply_kernelINS1_28TensorListScalarListMetadataIhLi1EEENS1_25BinaryOpScalarListFunctorIhLi1ELi1ELi0EEEJSt4plusIhEEEEvT_T0_DpT1_
		.amdhsa_group_segment_fixed_size 0
		.amdhsa_private_segment_fixed_size 0
		.amdhsa_kernarg_size 3496
		.amdhsa_user_sgpr_count 15
		.amdhsa_user_sgpr_dispatch_ptr 0
		.amdhsa_user_sgpr_queue_ptr 0
		.amdhsa_user_sgpr_kernarg_segment_ptr 1
		.amdhsa_user_sgpr_dispatch_id 0
		.amdhsa_user_sgpr_private_segment_size 0
		.amdhsa_wavefront_size32 1
		.amdhsa_uses_dynamic_stack 0
		.amdhsa_enable_private_segment 0
		.amdhsa_system_sgpr_workgroup_id_x 1
		.amdhsa_system_sgpr_workgroup_id_y 0
		.amdhsa_system_sgpr_workgroup_id_z 0
		.amdhsa_system_sgpr_workgroup_info 0
		.amdhsa_system_vgpr_workitem_id 0
		.amdhsa_next_free_vgpr 22
		.amdhsa_next_free_sgpr 17
		.amdhsa_reserve_vcc 1
		.amdhsa_float_round_mode_32 0
		.amdhsa_float_round_mode_16_64 0
		.amdhsa_float_denorm_mode_32 3
		.amdhsa_float_denorm_mode_16_64 3
		.amdhsa_dx10_clamp 1
		.amdhsa_ieee_mode 1
		.amdhsa_fp16_overflow 0
		.amdhsa_workgroup_processor_mode 1
		.amdhsa_memory_ordered 1
		.amdhsa_forward_progress 0
		.amdhsa_shared_vgpr_count 0
		.amdhsa_exception_fp_ieee_invalid_op 0
		.amdhsa_exception_fp_denorm_src 0
		.amdhsa_exception_fp_ieee_div_zero 0
		.amdhsa_exception_fp_ieee_overflow 0
		.amdhsa_exception_fp_ieee_underflow 0
		.amdhsa_exception_fp_ieee_inexact 0
		.amdhsa_exception_int_div_zero 0
	.end_amdhsa_kernel
	.section	.text._ZN2at6native12_GLOBAL__N_125multi_tensor_apply_kernelINS1_28TensorListScalarListMetadataIhLi1EEENS1_25BinaryOpScalarListFunctorIhLi1ELi1ELi0EEEJSt4plusIhEEEEvT_T0_DpT1_,"axG",@progbits,_ZN2at6native12_GLOBAL__N_125multi_tensor_apply_kernelINS1_28TensorListScalarListMetadataIhLi1EEENS1_25BinaryOpScalarListFunctorIhLi1ELi1ELi0EEEJSt4plusIhEEEEvT_T0_DpT1_,comdat
.Lfunc_end0:
	.size	_ZN2at6native12_GLOBAL__N_125multi_tensor_apply_kernelINS1_28TensorListScalarListMetadataIhLi1EEENS1_25BinaryOpScalarListFunctorIhLi1ELi1ELi0EEEJSt4plusIhEEEEvT_T0_DpT1_, .Lfunc_end0-_ZN2at6native12_GLOBAL__N_125multi_tensor_apply_kernelINS1_28TensorListScalarListMetadataIhLi1EEENS1_25BinaryOpScalarListFunctorIhLi1ELi1ELi0EEEJSt4plusIhEEEEvT_T0_DpT1_
                                        ; -- End function
	.section	.AMDGPU.csdata,"",@progbits
; Kernel info:
; codeLenInByte = 1288
; NumSgprs: 19
; NumVgprs: 22
; ScratchSize: 0
; MemoryBound: 0
; FloatMode: 240
; IeeeMode: 1
; LDSByteSize: 0 bytes/workgroup (compile time only)
; SGPRBlocks: 2
; VGPRBlocks: 2
; NumSGPRsForWavesPerEU: 19
; NumVGPRsForWavesPerEU: 22
; Occupancy: 16
; WaveLimiterHint : 0
; COMPUTE_PGM_RSRC2:SCRATCH_EN: 0
; COMPUTE_PGM_RSRC2:USER_SGPR: 15
; COMPUTE_PGM_RSRC2:TRAP_HANDLER: 0
; COMPUTE_PGM_RSRC2:TGID_X_EN: 1
; COMPUTE_PGM_RSRC2:TGID_Y_EN: 0
; COMPUTE_PGM_RSRC2:TGID_Z_EN: 0
; COMPUTE_PGM_RSRC2:TIDIG_COMP_CNT: 0
	.section	.text._ZN2at6native12_GLOBAL__N_125multi_tensor_apply_kernelINS1_28TensorListScalarListMetadataIaLi1EEENS1_25BinaryOpScalarListFunctorIaLi1ELi1ELi0EEEJSt4plusIaEEEEvT_T0_DpT1_,"axG",@progbits,_ZN2at6native12_GLOBAL__N_125multi_tensor_apply_kernelINS1_28TensorListScalarListMetadataIaLi1EEENS1_25BinaryOpScalarListFunctorIaLi1ELi1ELi0EEEJSt4plusIaEEEEvT_T0_DpT1_,comdat
	.globl	_ZN2at6native12_GLOBAL__N_125multi_tensor_apply_kernelINS1_28TensorListScalarListMetadataIaLi1EEENS1_25BinaryOpScalarListFunctorIaLi1ELi1ELi0EEEJSt4plusIaEEEEvT_T0_DpT1_ ; -- Begin function _ZN2at6native12_GLOBAL__N_125multi_tensor_apply_kernelINS1_28TensorListScalarListMetadataIaLi1EEENS1_25BinaryOpScalarListFunctorIaLi1ELi1ELi0EEEJSt4plusIaEEEEvT_T0_DpT1_
	.p2align	8
	.type	_ZN2at6native12_GLOBAL__N_125multi_tensor_apply_kernelINS1_28TensorListScalarListMetadataIaLi1EEENS1_25BinaryOpScalarListFunctorIaLi1ELi1ELi0EEEJSt4plusIaEEEEvT_T0_DpT1_,@function
_ZN2at6native12_GLOBAL__N_125multi_tensor_apply_kernelINS1_28TensorListScalarListMetadataIaLi1EEENS1_25BinaryOpScalarListFunctorIaLi1ELi1ELi0EEEJSt4plusIaEEEEvT_T0_DpT1_: ; @_ZN2at6native12_GLOBAL__N_125multi_tensor_apply_kernelINS1_28TensorListScalarListMetadataIaLi1EEENS1_25BinaryOpScalarListFunctorIaLi1ELi1ELi0EEEJSt4plusIaEEEEvT_T0_DpT1_
; %bb.0:
	v_mov_b32_e32 v1, s15
	s_mul_i32 s4, s15, 3
	s_mul_hi_u32 s5, s15, 3
	global_load_u8 v3, v1, s[0:1] offset:1632
	s_waitcnt vmcnt(0)
	v_add_co_u32 v1, s2, s0, v3
	s_delay_alu instid0(VALU_DEP_1)
	v_add_co_ci_u32_e64 v2, null, s1, 0, s2
	s_add_u32 s2, s0, s15
	s_addc_u32 s3, s1, 0
	s_add_u32 s2, s2, s4
	global_load_u8 v2, v[1:2], off offset:1536
	v_readfirstlane_b32 s6, v3
	s_addc_u32 s3, s3, s5
	s_load_b32 s4, s[2:3], 0x7a0
	s_delay_alu instid0(VALU_DEP_1)
	s_lshl_b32 s5, s6, 3
	s_clause 0x1
	s_load_b64 s[2:3], s[0:1], s5 offset:0x0
	s_load_b64 s[8:9], s[0:1], s5 offset:0x300
	s_waitcnt lgkmcnt(0)
	s_ashr_i32 s5, s4, 31
	s_delay_alu instid0(SALU_CYCLE_1) | instskip(NEXT) | instid1(SALU_CYCLE_1)
	s_lshl_b64 s[4:5], s[4:5], 16
	s_add_u32 s12, s2, s4
	s_addc_u32 s13, s3, s5
	s_sub_u32 s6, s8, s4
	s_subb_u32 s7, s9, s5
	s_or_b32 s8, s8, s12
	s_delay_alu instid0(SALU_CYCLE_1) | instskip(NEXT) | instid1(SALU_CYCLE_1)
	s_and_b32 s8, s8, 3
	s_cmp_eq_u32 s8, 0
	s_cbranch_scc1 .LBB1_21
; %bb.1:
	v_cmp_lt_i64_e64 s8, s[6:7], 1
	s_delay_alu instid0(VALU_DEP_1)
	s_and_b32 vcc_lo, exec_lo, s8
	s_cbranch_vccnz .LBB1_20
; %bb.2:
	s_load_b32 s8, s[0:1], 0xcb4
	v_add_co_u32 v12, s9, s4, v0
	s_delay_alu instid0(VALU_DEP_1) | instskip(SKIP_1) | instid1(VALU_DEP_3)
	v_add_co_ci_u32_e64 v13, null, s5, 0, s9
	v_cmp_gt_u64_e64 s9, 0x10000, s[6:7]
	v_add_co_u32 v1, vcc_lo, s2, v12
	s_delay_alu instid0(VALU_DEP_3) | instskip(SKIP_2) | instid1(VALU_DEP_3)
	v_add_co_ci_u32_e32 v3, vcc_lo, s3, v13, vcc_lo
	s_waitcnt lgkmcnt(0)
	s_and_b32 s10, s8, 0xffff
	s_and_b32 s8, s9, exec_lo
	s_mul_i32 s15, s10, 3
	s_cselect_b32 s9, s7, 0
	s_cselect_b32 s8, s6, 0x10000
	s_lshl_b32 s11, s10, 1
	s_lshl_b32 s14, s10, 2
	s_add_u32 s16, s4, s15
	v_add_co_u32 v4, s15, s15, v0
	s_delay_alu instid0(VALU_DEP_1)
	v_add_co_ci_u32_e64 v5, null, 0, 0, s15
	s_addc_u32 s15, s5, 0
	s_add_u32 s16, s2, s16
	s_addc_u32 s15, s3, s15
	s_add_u32 s4, s4, s11
	;; [unrolled: 2-line block ×3, first 2 shown]
	s_addc_u32 s5, s3, s5
	v_add_co_u32 v8, s4, s4, v0
	s_add_u32 s2, s2, s10
	v_add_co_u32 v6, s16, s16, v0
	v_add_co_ci_u32_e64 v9, null, s5, 0, s4
	v_add_co_u32 v10, s4, s11, v0
	s_addc_u32 s3, s3, 0
	v_add_co_u32 v12, vcc_lo, s2, v12
	v_add_co_u32 v14, s2, v0, s10
	v_add_co_ci_u32_e64 v7, null, s15, 0, s16
	v_add_co_ci_u32_e64 v11, null, 0, 0, s4
	v_add_co_ci_u32_e32 v13, vcc_lo, s3, v13, vcc_lo
	v_add_co_ci_u32_e64 v15, null, 0, 0, s2
	s_mov_b64 s[10:11], 0
	s_branch .LBB1_4
.LBB1_3:                                ;   in Loop: Header=BB1_4 Depth=1
	s_or_b32 exec_lo, exec_lo, s2
	s_add_u32 s10, s10, s14
	s_addc_u32 s11, s11, 0
	s_delay_alu instid0(SALU_CYCLE_1) | instskip(SKIP_1) | instid1(VALU_DEP_1)
	v_cmp_lt_i64_e64 s2, s[10:11], s[6:7]
	v_cmp_gt_u64_e64 s3, 0x10000, s[10:11]
	s_and_b32 s2, s2, s3
	s_delay_alu instid0(SALU_CYCLE_1)
	s_and_b32 vcc_lo, exec_lo, s2
	s_cbranch_vccz .LBB1_20
.LBB1_4:                                ; =>This Inner Loop Header: Depth=1
	s_waitcnt vmcnt(0)
	v_add_co_u32 v16, s2, v0, s10
	s_delay_alu instid0(VALU_DEP_1) | instskip(NEXT) | instid1(VALU_DEP_1)
	v_add_co_ci_u32_e64 v17, null, 0, s11, s2
	v_cmp_gt_u64_e32 vcc_lo, s[8:9], v[16:17]
	v_mov_b32_e32 v16, 0
	s_and_saveexec_b32 s3, vcc_lo
	s_cbranch_execz .LBB1_6
; %bb.5:                                ;   in Loop: Header=BB1_4 Depth=1
	v_add_co_u32 v16, s2, v1, s10
	s_delay_alu instid0(VALU_DEP_1)
	v_add_co_ci_u32_e64 v17, s2, s11, v3, s2
	global_load_u8 v16, v[16:17], off
.LBB1_6:                                ;   in Loop: Header=BB1_4 Depth=1
	s_or_b32 exec_lo, exec_lo, s3
	v_add_co_u32 v17, s2, v14, s10
	s_delay_alu instid0(VALU_DEP_1) | instskip(NEXT) | instid1(VALU_DEP_1)
	v_add_co_ci_u32_e64 v18, s2, s11, v15, s2
	v_cmp_gt_u64_e64 s2, s[8:9], v[17:18]
	v_mov_b32_e32 v18, 0
	s_delay_alu instid0(VALU_DEP_2)
	s_and_saveexec_b32 s4, s2
	s_cbranch_execz .LBB1_8
; %bb.7:                                ;   in Loop: Header=BB1_4 Depth=1
	v_add_co_u32 v17, s3, v12, s10
	s_delay_alu instid0(VALU_DEP_1)
	v_add_co_ci_u32_e64 v18, s3, s11, v13, s3
	global_load_u8 v18, v[17:18], off
.LBB1_8:                                ;   in Loop: Header=BB1_4 Depth=1
	s_or_b32 exec_lo, exec_lo, s4
	v_add_co_u32 v19, s3, v10, s10
	s_delay_alu instid0(VALU_DEP_1) | instskip(SKIP_1) | instid1(VALU_DEP_2)
	v_add_co_ci_u32_e64 v20, s3, s11, v11, s3
	v_mov_b32_e32 v17, 0
	v_cmp_gt_u64_e64 s3, s[8:9], v[19:20]
	v_mov_b32_e32 v19, 0
	s_delay_alu instid0(VALU_DEP_2)
	s_and_saveexec_b32 s5, s3
	s_cbranch_execz .LBB1_10
; %bb.9:                                ;   in Loop: Header=BB1_4 Depth=1
	v_add_co_u32 v19, s4, v8, s10
	s_delay_alu instid0(VALU_DEP_1)
	v_add_co_ci_u32_e64 v20, s4, s11, v9, s4
	global_load_u8 v19, v[19:20], off
.LBB1_10:                               ;   in Loop: Header=BB1_4 Depth=1
	s_or_b32 exec_lo, exec_lo, s5
	v_add_co_u32 v20, s4, v4, s10
	s_delay_alu instid0(VALU_DEP_1) | instskip(NEXT) | instid1(VALU_DEP_1)
	v_add_co_ci_u32_e64 v21, s4, s11, v5, s4
	v_cmp_gt_u64_e64 s4, s[8:9], v[20:21]
	s_delay_alu instid0(VALU_DEP_1)
	s_and_saveexec_b32 s15, s4
	s_cbranch_execnz .LBB1_15
; %bb.11:                               ;   in Loop: Header=BB1_4 Depth=1
	s_or_b32 exec_lo, exec_lo, s15
	s_and_saveexec_b32 s5, vcc_lo
	s_cbranch_execnz .LBB1_16
.LBB1_12:                               ;   in Loop: Header=BB1_4 Depth=1
	s_or_b32 exec_lo, exec_lo, s5
	s_and_saveexec_b32 s5, s2
	s_cbranch_execnz .LBB1_17
.LBB1_13:                               ;   in Loop: Header=BB1_4 Depth=1
	s_or_b32 exec_lo, exec_lo, s5
	s_and_saveexec_b32 s2, s3
	s_cbranch_execnz .LBB1_18
.LBB1_14:                               ;   in Loop: Header=BB1_4 Depth=1
	s_or_b32 exec_lo, exec_lo, s2
	s_and_saveexec_b32 s2, s4
	s_cbranch_execz .LBB1_3
	s_branch .LBB1_19
.LBB1_15:                               ;   in Loop: Header=BB1_4 Depth=1
	v_add_co_u32 v20, s5, v6, s10
	s_delay_alu instid0(VALU_DEP_1)
	v_add_co_ci_u32_e64 v21, s5, s11, v7, s5
	global_load_u8 v17, v[20:21], off
	s_or_b32 exec_lo, exec_lo, s15
	s_and_saveexec_b32 s5, vcc_lo
	s_cbranch_execz .LBB1_12
.LBB1_16:                               ;   in Loop: Header=BB1_4 Depth=1
	v_add_co_u32 v20, vcc_lo, v1, s10
	s_waitcnt vmcnt(0)
	v_add_nc_u16 v16, v16, v2
	v_add_co_ci_u32_e32 v21, vcc_lo, s11, v3, vcc_lo
	global_store_b8 v[20:21], v16, off
	s_or_b32 exec_lo, exec_lo, s5
	s_and_saveexec_b32 s5, s2
	s_cbranch_execz .LBB1_13
.LBB1_17:                               ;   in Loop: Header=BB1_4 Depth=1
	v_add_co_u32 v20, vcc_lo, v12, s10
	s_waitcnt vmcnt(0)
	v_add_nc_u16 v16, v18, v2
	v_add_co_ci_u32_e32 v21, vcc_lo, s11, v13, vcc_lo
	global_store_b8 v[20:21], v16, off
	s_or_b32 exec_lo, exec_lo, s5
	s_and_saveexec_b32 s2, s3
	s_cbranch_execz .LBB1_14
.LBB1_18:                               ;   in Loop: Header=BB1_4 Depth=1
	s_waitcnt vmcnt(0)
	v_add_co_u32 v18, vcc_lo, v8, s10
	v_add_nc_u16 v16, v19, v2
	v_add_co_ci_u32_e32 v19, vcc_lo, s11, v9, vcc_lo
	global_store_b8 v[18:19], v16, off
	s_or_b32 exec_lo, exec_lo, s2
	s_and_saveexec_b32 s2, s4
	s_cbranch_execz .LBB1_3
.LBB1_19:                               ;   in Loop: Header=BB1_4 Depth=1
	s_waitcnt vmcnt(0)
	v_add_co_u32 v16, vcc_lo, v6, s10
	v_add_nc_u16 v18, v17, v2
	v_add_co_ci_u32_e32 v17, vcc_lo, s11, v7, vcc_lo
	global_store_b8 v[16:17], v18, off
	s_branch .LBB1_3
.LBB1_20:
	s_cbranch_execz .LBB1_22
	s_branch .LBB1_25
.LBB1_21:
.LBB1_22:
	v_dual_mov_b32 v1, 0 :: v_dual_lshlrev_b32 v0, 2, v0
	s_mov_b32 s2, exec_lo
	s_delay_alu instid0(VALU_DEP_1)
	v_cmpx_gt_i64_e64 s[6:7], v[0:1]
	s_cbranch_execz .LBB1_25
; %bb.23:
	s_load_b32 s0, s[0:1], 0xcb4
	s_mov_b32 s2, 0
	s_waitcnt lgkmcnt(0)
	s_and_b32 s0, s0, 0xffff
	s_delay_alu instid0(SALU_CYCLE_1)
	s_lshl_b32 s1, s0, 2
	s_set_inst_prefetch_distance 0x1
	.p2align	6
.LBB1_24:                               ; =>This Inner Loop Header: Depth=1
	v_add_co_u32 v3, vcc_lo, s12, v0
	v_add_co_ci_u32_e32 v4, vcc_lo, s13, v1, vcc_lo
	v_add_co_u32 v0, vcc_lo, s1, v0
	v_add_co_ci_u32_e32 v1, vcc_lo, 0, v1, vcc_lo
	global_load_b32 v5, v[3:4], off
	v_cmp_le_i64_e32 vcc_lo, s[6:7], v[0:1]
	v_cmp_lt_u64_e64 s0, 0xffff, v[0:1]
	s_delay_alu instid0(VALU_DEP_1) | instskip(NEXT) | instid1(SALU_CYCLE_1)
	s_or_b32 s0, vcc_lo, s0
	s_and_b32 s0, exec_lo, s0
	s_delay_alu instid0(SALU_CYCLE_1)
	s_or_b32 s2, s0, s2
	s_waitcnt vmcnt(0)
	v_lshrrev_b32_e32 v6, 16, v5
	v_lshrrev_b32_e32 v7, 8, v5
	;; [unrolled: 1-line block ×3, first 2 shown]
	v_add_nc_u16 v5, v2, v5
	s_delay_alu instid0(VALU_DEP_4) | instskip(NEXT) | instid1(VALU_DEP_4)
	v_add_nc_u16 v6, v2, v6
	v_add_nc_u16 v7, v2, v7
	s_delay_alu instid0(VALU_DEP_4) | instskip(NEXT) | instid1(VALU_DEP_4)
	v_add_nc_u16 v8, v2, v8
	v_and_b32_e32 v5, 0xff, v5
	s_delay_alu instid0(VALU_DEP_4) | instskip(NEXT) | instid1(VALU_DEP_4)
	v_and_b32_e32 v6, 0xff, v6
	v_and_b32_e32 v7, 0xff, v7
	s_delay_alu instid0(VALU_DEP_2) | instskip(NEXT) | instid1(VALU_DEP_2)
	v_lshlrev_b32_e32 v6, 16, v6
	v_lshlrev_b32_e32 v7, 8, v7
	s_delay_alu instid0(VALU_DEP_2) | instskip(NEXT) | instid1(VALU_DEP_1)
	v_lshl_or_b32 v6, v8, 24, v6
	v_or3_b32 v5, v6, v7, v5
	global_store_b32 v[3:4], v5, off
	s_and_not1_b32 exec_lo, exec_lo, s2
	s_cbranch_execnz .LBB1_24
.LBB1_25:
	s_set_inst_prefetch_distance 0x2
	s_nop 0
	s_sendmsg sendmsg(MSG_DEALLOC_VGPRS)
	s_endpgm
	.section	.rodata,"a",@progbits
	.p2align	6, 0x0
	.amdhsa_kernel _ZN2at6native12_GLOBAL__N_125multi_tensor_apply_kernelINS1_28TensorListScalarListMetadataIaLi1EEENS1_25BinaryOpScalarListFunctorIaLi1ELi1ELi0EEEJSt4plusIaEEEEvT_T0_DpT1_
		.amdhsa_group_segment_fixed_size 0
		.amdhsa_private_segment_fixed_size 0
		.amdhsa_kernarg_size 3496
		.amdhsa_user_sgpr_count 15
		.amdhsa_user_sgpr_dispatch_ptr 0
		.amdhsa_user_sgpr_queue_ptr 0
		.amdhsa_user_sgpr_kernarg_segment_ptr 1
		.amdhsa_user_sgpr_dispatch_id 0
		.amdhsa_user_sgpr_private_segment_size 0
		.amdhsa_wavefront_size32 1
		.amdhsa_uses_dynamic_stack 0
		.amdhsa_enable_private_segment 0
		.amdhsa_system_sgpr_workgroup_id_x 1
		.amdhsa_system_sgpr_workgroup_id_y 0
		.amdhsa_system_sgpr_workgroup_id_z 0
		.amdhsa_system_sgpr_workgroup_info 0
		.amdhsa_system_vgpr_workitem_id 0
		.amdhsa_next_free_vgpr 22
		.amdhsa_next_free_sgpr 17
		.amdhsa_reserve_vcc 1
		.amdhsa_float_round_mode_32 0
		.amdhsa_float_round_mode_16_64 0
		.amdhsa_float_denorm_mode_32 3
		.amdhsa_float_denorm_mode_16_64 3
		.amdhsa_dx10_clamp 1
		.amdhsa_ieee_mode 1
		.amdhsa_fp16_overflow 0
		.amdhsa_workgroup_processor_mode 1
		.amdhsa_memory_ordered 1
		.amdhsa_forward_progress 0
		.amdhsa_shared_vgpr_count 0
		.amdhsa_exception_fp_ieee_invalid_op 0
		.amdhsa_exception_fp_denorm_src 0
		.amdhsa_exception_fp_ieee_div_zero 0
		.amdhsa_exception_fp_ieee_overflow 0
		.amdhsa_exception_fp_ieee_underflow 0
		.amdhsa_exception_fp_ieee_inexact 0
		.amdhsa_exception_int_div_zero 0
	.end_amdhsa_kernel
	.section	.text._ZN2at6native12_GLOBAL__N_125multi_tensor_apply_kernelINS1_28TensorListScalarListMetadataIaLi1EEENS1_25BinaryOpScalarListFunctorIaLi1ELi1ELi0EEEJSt4plusIaEEEEvT_T0_DpT1_,"axG",@progbits,_ZN2at6native12_GLOBAL__N_125multi_tensor_apply_kernelINS1_28TensorListScalarListMetadataIaLi1EEENS1_25BinaryOpScalarListFunctorIaLi1ELi1ELi0EEEJSt4plusIaEEEEvT_T0_DpT1_,comdat
.Lfunc_end1:
	.size	_ZN2at6native12_GLOBAL__N_125multi_tensor_apply_kernelINS1_28TensorListScalarListMetadataIaLi1EEENS1_25BinaryOpScalarListFunctorIaLi1ELi1ELi0EEEJSt4plusIaEEEEvT_T0_DpT1_, .Lfunc_end1-_ZN2at6native12_GLOBAL__N_125multi_tensor_apply_kernelINS1_28TensorListScalarListMetadataIaLi1EEENS1_25BinaryOpScalarListFunctorIaLi1ELi1ELi0EEEJSt4plusIaEEEEvT_T0_DpT1_
                                        ; -- End function
	.section	.AMDGPU.csdata,"",@progbits
; Kernel info:
; codeLenInByte = 1288
; NumSgprs: 19
; NumVgprs: 22
; ScratchSize: 0
; MemoryBound: 0
; FloatMode: 240
; IeeeMode: 1
; LDSByteSize: 0 bytes/workgroup (compile time only)
; SGPRBlocks: 2
; VGPRBlocks: 2
; NumSGPRsForWavesPerEU: 19
; NumVGPRsForWavesPerEU: 22
; Occupancy: 16
; WaveLimiterHint : 0
; COMPUTE_PGM_RSRC2:SCRATCH_EN: 0
; COMPUTE_PGM_RSRC2:USER_SGPR: 15
; COMPUTE_PGM_RSRC2:TRAP_HANDLER: 0
; COMPUTE_PGM_RSRC2:TGID_X_EN: 1
; COMPUTE_PGM_RSRC2:TGID_Y_EN: 0
; COMPUTE_PGM_RSRC2:TGID_Z_EN: 0
; COMPUTE_PGM_RSRC2:TIDIG_COMP_CNT: 0
	.section	.text._ZN2at6native12_GLOBAL__N_125multi_tensor_apply_kernelINS1_28TensorListScalarListMetadataIiLi1EEENS1_25BinaryOpScalarListFunctorIiLi1ELi1ELi0EEEJSt4plusIiEEEEvT_T0_DpT1_,"axG",@progbits,_ZN2at6native12_GLOBAL__N_125multi_tensor_apply_kernelINS1_28TensorListScalarListMetadataIiLi1EEENS1_25BinaryOpScalarListFunctorIiLi1ELi1ELi0EEEJSt4plusIiEEEEvT_T0_DpT1_,comdat
	.globl	_ZN2at6native12_GLOBAL__N_125multi_tensor_apply_kernelINS1_28TensorListScalarListMetadataIiLi1EEENS1_25BinaryOpScalarListFunctorIiLi1ELi1ELi0EEEJSt4plusIiEEEEvT_T0_DpT1_ ; -- Begin function _ZN2at6native12_GLOBAL__N_125multi_tensor_apply_kernelINS1_28TensorListScalarListMetadataIiLi1EEENS1_25BinaryOpScalarListFunctorIiLi1ELi1ELi0EEEJSt4plusIiEEEEvT_T0_DpT1_
	.p2align	8
	.type	_ZN2at6native12_GLOBAL__N_125multi_tensor_apply_kernelINS1_28TensorListScalarListMetadataIiLi1EEENS1_25BinaryOpScalarListFunctorIiLi1ELi1ELi0EEEJSt4plusIiEEEEvT_T0_DpT1_,@function
_ZN2at6native12_GLOBAL__N_125multi_tensor_apply_kernelINS1_28TensorListScalarListMetadataIiLi1EEENS1_25BinaryOpScalarListFunctorIiLi1ELi1ELi0EEEJSt4plusIiEEEEvT_T0_DpT1_: ; @_ZN2at6native12_GLOBAL__N_125multi_tensor_apply_kernelINS1_28TensorListScalarListMetadataIiLi1EEENS1_25BinaryOpScalarListFunctorIiLi1ELi1ELi0EEEJSt4plusIiEEEEvT_T0_DpT1_
; %bb.0:
	v_mov_b32_e32 v1, s15
	s_add_u32 s2, s0, s15
	s_mul_i32 s3, s15, 3
	s_mul_hi_u32 s4, s15, 3
	s_addc_u32 s5, s1, 0
	global_load_u8 v1, v1, s[0:1] offset:1920
	s_add_u32 s2, s2, s3
	s_addc_u32 s3, s5, s4
	s_load_b32 s2, s[2:3], 0x8c0
	s_waitcnt vmcnt(0)
	v_readfirstlane_b32 s3, v1
	v_lshlrev_b32_e32 v1, 2, v1
	s_delay_alu instid0(VALU_DEP_2)
	s_lshl_b32 s6, s3, 3
	s_waitcnt lgkmcnt(0)
	s_ashr_i32 s3, s2, 31
	s_clause 0x1
	s_load_b64 s[4:5], s[0:1], s6 offset:0x300
	s_load_b64 s[8:9], s[0:1], s6 offset:0x0
	s_add_u32 s6, s0, s6
	s_addc_u32 s7, s1, 0
	v_sub_co_u32 v1, s6, s6, v1
	s_delay_alu instid0(VALU_DEP_1) | instskip(SKIP_1) | instid1(VALU_DEP_2)
	v_sub_co_ci_u32_e64 v2, null, s7, 0, s6
	s_lshl_b64 s[10:11], s[2:3], 18
	v_readfirstlane_b32 s6, v1
	s_lshl_b64 s[2:3], s[2:3], 16
	s_delay_alu instid0(VALU_DEP_2)
	v_readfirstlane_b32 s7, v2
	s_load_b32 s16, s[6:7], 0x600
	s_waitcnt lgkmcnt(0)
	s_and_b32 s12, s8, 15
	s_sub_u32 s6, s4, s2
	s_subb_u32 s7, s5, s3
	s_and_b32 s2, s4, 3
	s_mov_b32 s3, 0
	s_or_b32 s2, s12, s2
	s_delay_alu instid0(SALU_CYCLE_1)
	s_cmp_eq_u64 s[2:3], 0
	s_cbranch_scc1 .LBB2_21
; %bb.1:
	v_cmp_lt_i64_e64 s2, s[6:7], 1
	s_delay_alu instid0(VALU_DEP_1)
	s_and_b32 vcc_lo, exec_lo, s2
	s_cbranch_vccnz .LBB2_20
; %bb.2:
	s_load_b32 s2, s[0:1], 0xdd4
	v_cmp_gt_u64_e64 s3, 0x10000, s[6:7]
	v_lshlrev_b32_e32 v1, 2, v0
	s_waitcnt lgkmcnt(0)
	s_and_b32 s2, s2, 0xffff
	s_delay_alu instid0(VALU_DEP_2)
	s_and_b32 s3, s3, exec_lo
	v_add_co_u32 v5, s5, v0, s2
	s_cselect_b32 s13, s7, 0
	s_cselect_b32 s12, s6, 0x10000
	s_lshl_b32 s3, s2, 1
	s_lshl_b32 s17, s2, 2
	v_lshlrev_b32_e32 v3, 2, v5
	v_add_co_ci_u32_e64 v6, null, 0, 0, s5
	s_add_u32 s5, s8, s10
	v_add_co_u32 v9, s3, s3, v0
	s_mul_i32 s4, s2, 3
	s_addc_u32 s14, s9, s11
	v_add_co_ci_u32_e64 v10, null, 0, 0, s3
	v_add_co_u32 v1, s3, s5, v1
	v_add_co_u32 v7, s4, s4, v0
	v_add_co_ci_u32_e64 v2, null, s14, 0, s3
	v_add_co_u32 v3, s3, s5, v3
	v_add_co_ci_u32_e64 v8, null, 0, 0, s4
	v_add_co_ci_u32_e64 v4, null, s14, 0, s3
	s_lshl_b32 s18, s2, 4
	s_mul_i32 s19, s2, 12
	s_lshl_b32 s20, s2, 3
	s_mov_b64 s[14:15], 0
	s_branch .LBB2_4
.LBB2_3:                                ;   in Loop: Header=BB2_4 Depth=1
	s_or_b32 exec_lo, exec_lo, s2
	s_add_u32 s14, s14, s17
	s_addc_u32 s15, s15, 0
	v_add_co_u32 v1, vcc_lo, v1, s18
	v_cmp_lt_i64_e64 s2, s[14:15], s[6:7]
	v_cmp_gt_u64_e64 s3, 0x10000, s[14:15]
	v_add_co_ci_u32_e32 v2, vcc_lo, 0, v2, vcc_lo
	v_add_co_u32 v3, vcc_lo, v3, s18
	v_add_co_ci_u32_e32 v4, vcc_lo, 0, v4, vcc_lo
	s_delay_alu instid0(VALU_DEP_4) | instskip(NEXT) | instid1(SALU_CYCLE_1)
	s_and_b32 s2, s2, s3
	s_and_b32 vcc_lo, exec_lo, s2
	s_cbranch_vccz .LBB2_20
.LBB2_4:                                ; =>This Inner Loop Header: Depth=1
	s_waitcnt vmcnt(0)
	v_add_co_u32 v11, s2, v0, s14
	s_delay_alu instid0(VALU_DEP_1) | instskip(NEXT) | instid1(VALU_DEP_1)
	v_add_co_ci_u32_e64 v12, null, 0, s15, s2
	v_cmp_gt_u64_e32 vcc_lo, s[12:13], v[11:12]
	v_mov_b32_e32 v11, 0
	s_and_saveexec_b32 s2, vcc_lo
	s_cbranch_execz .LBB2_6
; %bb.5:                                ;   in Loop: Header=BB2_4 Depth=1
	global_load_b32 v11, v[1:2], off
.LBB2_6:                                ;   in Loop: Header=BB2_4 Depth=1
	s_or_b32 exec_lo, exec_lo, s2
	v_add_co_u32 v12, s2, v5, s14
	s_delay_alu instid0(VALU_DEP_1) | instskip(NEXT) | instid1(VALU_DEP_1)
	v_add_co_ci_u32_e64 v13, s2, s15, v6, s2
	v_cmp_gt_u64_e64 s2, s[12:13], v[12:13]
	v_mov_b32_e32 v13, 0
	s_delay_alu instid0(VALU_DEP_2)
	s_and_saveexec_b32 s3, s2
	s_cbranch_execz .LBB2_8
; %bb.7:                                ;   in Loop: Header=BB2_4 Depth=1
	global_load_b32 v13, v[3:4], off
.LBB2_8:                                ;   in Loop: Header=BB2_4 Depth=1
	s_or_b32 exec_lo, exec_lo, s3
	v_add_co_u32 v14, s3, v9, s14
	s_delay_alu instid0(VALU_DEP_1) | instskip(SKIP_1) | instid1(VALU_DEP_2)
	v_add_co_ci_u32_e64 v15, s3, s15, v10, s3
	v_mov_b32_e32 v12, 0
	v_cmp_gt_u64_e64 s3, s[12:13], v[14:15]
	v_mov_b32_e32 v14, 0
	s_delay_alu instid0(VALU_DEP_2)
	s_and_saveexec_b32 s5, s3
	s_cbranch_execz .LBB2_10
; %bb.9:                                ;   in Loop: Header=BB2_4 Depth=1
	v_add_co_u32 v14, s4, v1, s20
	s_delay_alu instid0(VALU_DEP_1)
	v_add_co_ci_u32_e64 v15, s4, 0, v2, s4
	global_load_b32 v14, v[14:15], off
.LBB2_10:                               ;   in Loop: Header=BB2_4 Depth=1
	s_or_b32 exec_lo, exec_lo, s5
	v_add_co_u32 v15, s4, v7, s14
	s_delay_alu instid0(VALU_DEP_1) | instskip(NEXT) | instid1(VALU_DEP_1)
	v_add_co_ci_u32_e64 v16, s4, s15, v8, s4
	v_cmp_gt_u64_e64 s4, s[12:13], v[15:16]
	s_delay_alu instid0(VALU_DEP_1)
	s_and_saveexec_b32 s21, s4
	s_cbranch_execnz .LBB2_15
; %bb.11:                               ;   in Loop: Header=BB2_4 Depth=1
	s_or_b32 exec_lo, exec_lo, s21
	s_and_saveexec_b32 s5, vcc_lo
	s_cbranch_execnz .LBB2_16
.LBB2_12:                               ;   in Loop: Header=BB2_4 Depth=1
	s_or_b32 exec_lo, exec_lo, s5
	s_and_saveexec_b32 s5, s2
	s_cbranch_execnz .LBB2_17
.LBB2_13:                               ;   in Loop: Header=BB2_4 Depth=1
	s_or_b32 exec_lo, exec_lo, s5
	s_and_saveexec_b32 s2, s3
	s_cbranch_execnz .LBB2_18
.LBB2_14:                               ;   in Loop: Header=BB2_4 Depth=1
	s_or_b32 exec_lo, exec_lo, s2
	s_and_saveexec_b32 s2, s4
	s_cbranch_execz .LBB2_3
	s_branch .LBB2_19
.LBB2_15:                               ;   in Loop: Header=BB2_4 Depth=1
	v_add_co_u32 v15, s5, v1, s19
	s_delay_alu instid0(VALU_DEP_1)
	v_add_co_ci_u32_e64 v16, s5, 0, v2, s5
	global_load_b32 v12, v[15:16], off
	s_or_b32 exec_lo, exec_lo, s21
	s_and_saveexec_b32 s5, vcc_lo
	s_cbranch_execz .LBB2_12
.LBB2_16:                               ;   in Loop: Header=BB2_4 Depth=1
	s_waitcnt vmcnt(0)
	v_add_nc_u32_e32 v11, s16, v11
	global_store_b32 v[1:2], v11, off
	s_or_b32 exec_lo, exec_lo, s5
	s_and_saveexec_b32 s5, s2
	s_cbranch_execz .LBB2_13
.LBB2_17:                               ;   in Loop: Header=BB2_4 Depth=1
	s_waitcnt vmcnt(0)
	v_add_nc_u32_e32 v11, s16, v13
	global_store_b32 v[3:4], v11, off
	s_or_b32 exec_lo, exec_lo, s5
	s_and_saveexec_b32 s2, s3
	s_cbranch_execz .LBB2_14
.LBB2_18:                               ;   in Loop: Header=BB2_4 Depth=1
	s_waitcnt vmcnt(0)
	v_add_co_u32 v13, vcc_lo, v1, s20
	v_add_nc_u32_e32 v11, s16, v14
	v_add_co_ci_u32_e32 v14, vcc_lo, 0, v2, vcc_lo
	global_store_b32 v[13:14], v11, off
	s_or_b32 exec_lo, exec_lo, s2
	s_and_saveexec_b32 s2, s4
	s_cbranch_execz .LBB2_3
.LBB2_19:                               ;   in Loop: Header=BB2_4 Depth=1
	s_waitcnt vmcnt(0)
	v_add_co_u32 v11, vcc_lo, v1, s19
	v_add_nc_u32_e32 v13, s16, v12
	v_add_co_ci_u32_e32 v12, vcc_lo, 0, v2, vcc_lo
	global_store_b32 v[11:12], v13, off
	s_branch .LBB2_3
.LBB2_20:
	s_cbranch_execz .LBB2_22
	s_branch .LBB2_25
.LBB2_21:
.LBB2_22:
	v_dual_mov_b32 v2, 0 :: v_dual_lshlrev_b32 v1, 2, v0
	s_mov_b32 s2, 0
	s_mov_b32 s3, exec_lo
	s_delay_alu instid0(VALU_DEP_1)
	v_cmpx_gt_i64_e64 s[6:7], v[1:2]
	s_cbranch_execz .LBB2_25
; %bb.23:
	s_load_b32 s0, s[0:1], 0xdd4
	v_lshlrev_b32_e32 v1, 4, v0
	s_waitcnt lgkmcnt(0)
	s_and_b32 s0, s0, 0xffff
	s_delay_alu instid0(SALU_CYCLE_1) | instskip(SKIP_3) | instid1(VALU_DEP_1)
	s_lshl_b32 s3, s0, 2
	s_add_u32 s1, s8, s10
	s_addc_u32 s4, s9, s11
	v_add_co_u32 v3, s1, s1, v1
	v_add_co_ci_u32_e64 v4, null, s4, 0, s1
	v_add_lshl_u32 v1, v0, s0, 2
	s_delay_alu instid0(VALU_DEP_3) | instskip(NEXT) | instid1(VALU_DEP_3)
	v_add_co_u32 v3, vcc_lo, v3, 8
	v_add_co_ci_u32_e32 v4, vcc_lo, 0, v4, vcc_lo
	s_lshl_b32 s4, s0, 4
	.p2align	6
.LBB2_24:                               ; =>This Inner Loop Header: Depth=1
	global_load_b128 v[5:8], v[3:4], off offset:-8
	v_cmp_le_i64_e32 vcc_lo, s[6:7], v[1:2]
	v_cmp_lt_u64_e64 s0, 0xffff, v[1:2]
	v_add_co_u32 v1, s1, v1, s3
	s_delay_alu instid0(VALU_DEP_1) | instskip(NEXT) | instid1(VALU_DEP_3)
	v_add_co_ci_u32_e64 v2, s1, 0, v2, s1
	s_or_b32 s0, vcc_lo, s0
	s_delay_alu instid0(SALU_CYCLE_1) | instskip(NEXT) | instid1(SALU_CYCLE_1)
	s_and_b32 s0, exec_lo, s0
	s_or_b32 s2, s0, s2
	s_waitcnt vmcnt(0)
	v_add_nc_u32_e32 v5, s16, v5
	v_add_nc_u32_e32 v6, s16, v6
	;; [unrolled: 1-line block ×4, first 2 shown]
	global_store_b128 v[3:4], v[5:8], off offset:-8
	v_add_co_u32 v3, vcc_lo, v3, s4
	v_add_co_ci_u32_e32 v4, vcc_lo, 0, v4, vcc_lo
	s_and_not1_b32 exec_lo, exec_lo, s2
	s_cbranch_execnz .LBB2_24
.LBB2_25:
	s_nop 0
	s_sendmsg sendmsg(MSG_DEALLOC_VGPRS)
	s_endpgm
	.section	.rodata,"a",@progbits
	.p2align	6, 0x0
	.amdhsa_kernel _ZN2at6native12_GLOBAL__N_125multi_tensor_apply_kernelINS1_28TensorListScalarListMetadataIiLi1EEENS1_25BinaryOpScalarListFunctorIiLi1ELi1ELi0EEEJSt4plusIiEEEEvT_T0_DpT1_
		.amdhsa_group_segment_fixed_size 0
		.amdhsa_private_segment_fixed_size 0
		.amdhsa_kernarg_size 3784
		.amdhsa_user_sgpr_count 15
		.amdhsa_user_sgpr_dispatch_ptr 0
		.amdhsa_user_sgpr_queue_ptr 0
		.amdhsa_user_sgpr_kernarg_segment_ptr 1
		.amdhsa_user_sgpr_dispatch_id 0
		.amdhsa_user_sgpr_private_segment_size 0
		.amdhsa_wavefront_size32 1
		.amdhsa_uses_dynamic_stack 0
		.amdhsa_enable_private_segment 0
		.amdhsa_system_sgpr_workgroup_id_x 1
		.amdhsa_system_sgpr_workgroup_id_y 0
		.amdhsa_system_sgpr_workgroup_id_z 0
		.amdhsa_system_sgpr_workgroup_info 0
		.amdhsa_system_vgpr_workitem_id 0
		.amdhsa_next_free_vgpr 17
		.amdhsa_next_free_sgpr 22
		.amdhsa_reserve_vcc 1
		.amdhsa_float_round_mode_32 0
		.amdhsa_float_round_mode_16_64 0
		.amdhsa_float_denorm_mode_32 3
		.amdhsa_float_denorm_mode_16_64 3
		.amdhsa_dx10_clamp 1
		.amdhsa_ieee_mode 1
		.amdhsa_fp16_overflow 0
		.amdhsa_workgroup_processor_mode 1
		.amdhsa_memory_ordered 1
		.amdhsa_forward_progress 0
		.amdhsa_shared_vgpr_count 0
		.amdhsa_exception_fp_ieee_invalid_op 0
		.amdhsa_exception_fp_denorm_src 0
		.amdhsa_exception_fp_ieee_div_zero 0
		.amdhsa_exception_fp_ieee_overflow 0
		.amdhsa_exception_fp_ieee_underflow 0
		.amdhsa_exception_fp_ieee_inexact 0
		.amdhsa_exception_int_div_zero 0
	.end_amdhsa_kernel
	.section	.text._ZN2at6native12_GLOBAL__N_125multi_tensor_apply_kernelINS1_28TensorListScalarListMetadataIiLi1EEENS1_25BinaryOpScalarListFunctorIiLi1ELi1ELi0EEEJSt4plusIiEEEEvT_T0_DpT1_,"axG",@progbits,_ZN2at6native12_GLOBAL__N_125multi_tensor_apply_kernelINS1_28TensorListScalarListMetadataIiLi1EEENS1_25BinaryOpScalarListFunctorIiLi1ELi1ELi0EEEJSt4plusIiEEEEvT_T0_DpT1_,comdat
.Lfunc_end2:
	.size	_ZN2at6native12_GLOBAL__N_125multi_tensor_apply_kernelINS1_28TensorListScalarListMetadataIiLi1EEENS1_25BinaryOpScalarListFunctorIiLi1ELi1ELi0EEEJSt4plusIiEEEEvT_T0_DpT1_, .Lfunc_end2-_ZN2at6native12_GLOBAL__N_125multi_tensor_apply_kernelINS1_28TensorListScalarListMetadataIiLi1EEENS1_25BinaryOpScalarListFunctorIiLi1ELi1ELi0EEEJSt4plusIiEEEEvT_T0_DpT1_
                                        ; -- End function
	.section	.AMDGPU.csdata,"",@progbits
; Kernel info:
; codeLenInByte = 1152
; NumSgprs: 24
; NumVgprs: 17
; ScratchSize: 0
; MemoryBound: 0
; FloatMode: 240
; IeeeMode: 1
; LDSByteSize: 0 bytes/workgroup (compile time only)
; SGPRBlocks: 2
; VGPRBlocks: 2
; NumSGPRsForWavesPerEU: 24
; NumVGPRsForWavesPerEU: 17
; Occupancy: 16
; WaveLimiterHint : 0
; COMPUTE_PGM_RSRC2:SCRATCH_EN: 0
; COMPUTE_PGM_RSRC2:USER_SGPR: 15
; COMPUTE_PGM_RSRC2:TRAP_HANDLER: 0
; COMPUTE_PGM_RSRC2:TGID_X_EN: 1
; COMPUTE_PGM_RSRC2:TGID_Y_EN: 0
; COMPUTE_PGM_RSRC2:TGID_Z_EN: 0
; COMPUTE_PGM_RSRC2:TIDIG_COMP_CNT: 0
	.section	.text._ZN2at6native12_GLOBAL__N_125multi_tensor_apply_kernelINS1_28TensorListScalarListMetadataIlLi1EEENS1_25BinaryOpScalarListFunctorIlLi1ELi1ELi0EEEJSt4plusIlEEEEvT_T0_DpT1_,"axG",@progbits,_ZN2at6native12_GLOBAL__N_125multi_tensor_apply_kernelINS1_28TensorListScalarListMetadataIlLi1EEENS1_25BinaryOpScalarListFunctorIlLi1ELi1ELi0EEEJSt4plusIlEEEEvT_T0_DpT1_,comdat
	.globl	_ZN2at6native12_GLOBAL__N_125multi_tensor_apply_kernelINS1_28TensorListScalarListMetadataIlLi1EEENS1_25BinaryOpScalarListFunctorIlLi1ELi1ELi0EEEJSt4plusIlEEEEvT_T0_DpT1_ ; -- Begin function _ZN2at6native12_GLOBAL__N_125multi_tensor_apply_kernelINS1_28TensorListScalarListMetadataIlLi1EEENS1_25BinaryOpScalarListFunctorIlLi1ELi1ELi0EEEJSt4plusIlEEEEvT_T0_DpT1_
	.p2align	8
	.type	_ZN2at6native12_GLOBAL__N_125multi_tensor_apply_kernelINS1_28TensorListScalarListMetadataIlLi1EEENS1_25BinaryOpScalarListFunctorIlLi1ELi1ELi0EEEJSt4plusIlEEEEvT_T0_DpT1_,@function
_ZN2at6native12_GLOBAL__N_125multi_tensor_apply_kernelINS1_28TensorListScalarListMetadataIlLi1EEENS1_25BinaryOpScalarListFunctorIlLi1ELi1ELi0EEEJSt4plusIlEEEEvT_T0_DpT1_: ; @_ZN2at6native12_GLOBAL__N_125multi_tensor_apply_kernelINS1_28TensorListScalarListMetadataIlLi1EEENS1_25BinaryOpScalarListFunctorIlLi1ELi1ELi0EEEJSt4plusIlEEEEvT_T0_DpT1_
; %bb.0:
	v_mov_b32_e32 v1, s15
	s_add_u32 s2, s0, s15
	s_mul_hi_u32 s3, s15, 3
	s_mul_i32 s15, s15, 3
	s_addc_u32 s4, s1, 0
	global_load_u8 v1, v1, s[0:1] offset:2304
	s_add_u32 s2, s2, s15
	s_addc_u32 s3, s4, s3
	s_mov_b32 s15, 0
	s_load_b32 s2, s[2:3], 0xa40
	s_waitcnt vmcnt(0)
	v_readfirstlane_b32 s5, v1
	s_delay_alu instid0(VALU_DEP_1)
	s_lshl_b32 s3, s5, 3
	s_clause 0x2
	s_load_b64 s[6:7], s[0:1], s3 offset:0x600
	s_load_b64 s[10:11], s[0:1], s3 offset:0x0
	;; [unrolled: 1-line block ×3, first 2 shown]
	s_waitcnt lgkmcnt(0)
	s_ashr_i32 s3, s2, 31
	s_delay_alu instid0(SALU_CYCLE_1)
	s_lshl_b64 s[12:13], s[2:3], 19
	s_lshl_b64 s[2:3], s[2:3], 16
	s_and_b32 s14, s10, 31
	s_sub_u32 s8, s4, s2
	s_subb_u32 s9, s5, s3
	s_and_b32 s2, s4, 3
	s_mov_b32 s3, s15
	s_delay_alu instid0(SALU_CYCLE_1) | instskip(NEXT) | instid1(SALU_CYCLE_1)
	s_or_b64 s[2:3], s[14:15], s[2:3]
	s_cmp_eq_u64 s[2:3], 0
	s_cbranch_scc1 .LBB3_21
; %bb.1:
	v_cmp_lt_i64_e64 s2, s[8:9], 1
	s_delay_alu instid0(VALU_DEP_1)
	s_and_b32 vcc_lo, exec_lo, s2
	s_cbranch_vccnz .LBB3_20
; %bb.2:
	s_load_b32 s2, s[0:1], 0xf54
	v_cmp_gt_u64_e64 s3, 0x10000, s[8:9]
	v_lshlrev_b32_e32 v1, 3, v0
	s_waitcnt lgkmcnt(0)
	s_and_b32 s2, s2, 0xffff
	s_delay_alu instid0(VALU_DEP_2)
	s_and_b32 s3, s3, exec_lo
	v_add_co_u32 v13, s5, v0, s2
	s_cselect_b32 s15, s9, 0
	s_cselect_b32 s14, s8, 0x10000
	s_lshl_b32 s3, s2, 1
	s_lshl_b32 s18, s2, 2
	v_lshlrev_b32_e32 v3, 3, v13
	v_add_co_ci_u32_e64 v14, null, 0, 0, s5
	s_add_u32 s5, s10, s12
	v_add_co_u32 v17, s3, s3, v0
	s_mul_i32 s4, s2, 3
	s_addc_u32 s16, s11, s13
	v_add_co_ci_u32_e64 v18, null, 0, 0, s3
	v_add_co_u32 v1, s3, s5, v1
	v_add_co_u32 v15, s4, s4, v0
	v_add_co_ci_u32_e64 v2, null, s16, 0, s3
	v_add_co_u32 v3, s3, s5, v3
	v_add_co_ci_u32_e64 v16, null, 0, 0, s4
	v_add_co_ci_u32_e64 v4, null, s16, 0, s3
	s_lshl_b32 s19, s2, 5
	s_mul_i32 s20, s2, 24
	s_lshl_b32 s21, s2, 4
	s_mov_b64 s[16:17], 0
	s_branch .LBB3_4
.LBB3_3:                                ;   in Loop: Header=BB3_4 Depth=1
	s_or_b32 exec_lo, exec_lo, s2
	s_add_u32 s16, s16, s18
	s_addc_u32 s17, s17, 0
	v_add_co_u32 v1, vcc_lo, v1, s19
	v_cmp_lt_i64_e64 s2, s[16:17], s[8:9]
	v_cmp_gt_u64_e64 s3, 0x10000, s[16:17]
	v_add_co_ci_u32_e32 v2, vcc_lo, 0, v2, vcc_lo
	v_add_co_u32 v3, vcc_lo, v3, s19
	v_add_co_ci_u32_e32 v4, vcc_lo, 0, v4, vcc_lo
	s_delay_alu instid0(VALU_DEP_4) | instskip(NEXT) | instid1(SALU_CYCLE_1)
	s_and_b32 s2, s2, s3
	s_and_b32 vcc_lo, exec_lo, s2
	s_cbranch_vccz .LBB3_20
.LBB3_4:                                ; =>This Inner Loop Header: Depth=1
	s_waitcnt vmcnt(0)
	v_add_co_u32 v7, s2, v0, s16
	s_delay_alu instid0(VALU_DEP_1) | instskip(SKIP_2) | instid1(VALU_DEP_3)
	v_add_co_ci_u32_e64 v8, null, 0, s17, s2
	v_mov_b32_e32 v5, 0
	v_mov_b32_e32 v6, 0
	v_cmp_gt_u64_e32 vcc_lo, s[14:15], v[7:8]
	s_delay_alu instid0(VALU_DEP_2)
	v_dual_mov_b32 v10, v6 :: v_dual_mov_b32 v9, v5
	s_and_saveexec_b32 s2, vcc_lo
	s_cbranch_execz .LBB3_6
; %bb.5:                                ;   in Loop: Header=BB3_4 Depth=1
	global_load_b64 v[9:10], v[1:2], off
.LBB3_6:                                ;   in Loop: Header=BB3_4 Depth=1
	s_or_b32 exec_lo, exec_lo, s2
	v_add_co_u32 v7, s2, v13, s16
	s_delay_alu instid0(VALU_DEP_1) | instskip(NEXT) | instid1(VALU_DEP_1)
	v_add_co_ci_u32_e64 v8, s2, s17, v14, s2
	v_cmp_gt_u64_e64 s2, s[14:15], v[7:8]
	s_delay_alu instid0(VALU_DEP_1)
	s_and_saveexec_b32 s3, s2
	s_cbranch_execz .LBB3_8
; %bb.7:                                ;   in Loop: Header=BB3_4 Depth=1
	global_load_b64 v[5:6], v[3:4], off
.LBB3_8:                                ;   in Loop: Header=BB3_4 Depth=1
	s_or_b32 exec_lo, exec_lo, s3
	v_add_co_u32 v11, s3, v17, s16
	s_delay_alu instid0(VALU_DEP_1) | instskip(SKIP_2) | instid1(VALU_DEP_3)
	v_add_co_ci_u32_e64 v12, s3, s17, v18, s3
	v_mov_b32_e32 v7, 0
	v_mov_b32_e32 v8, 0
	v_cmp_gt_u64_e64 s3, s[14:15], v[11:12]
	s_delay_alu instid0(VALU_DEP_2) | instskip(NEXT) | instid1(VALU_DEP_2)
	v_dual_mov_b32 v12, v8 :: v_dual_mov_b32 v11, v7
	s_and_saveexec_b32 s5, s3
	s_cbranch_execz .LBB3_10
; %bb.9:                                ;   in Loop: Header=BB3_4 Depth=1
	v_add_co_u32 v11, s4, v1, s21
	s_delay_alu instid0(VALU_DEP_1)
	v_add_co_ci_u32_e64 v12, s4, 0, v2, s4
	global_load_b64 v[11:12], v[11:12], off
.LBB3_10:                               ;   in Loop: Header=BB3_4 Depth=1
	s_or_b32 exec_lo, exec_lo, s5
	v_add_co_u32 v19, s4, v15, s16
	s_delay_alu instid0(VALU_DEP_1) | instskip(NEXT) | instid1(VALU_DEP_1)
	v_add_co_ci_u32_e64 v20, s4, s17, v16, s4
	v_cmp_gt_u64_e64 s4, s[14:15], v[19:20]
	s_delay_alu instid0(VALU_DEP_1)
	s_and_saveexec_b32 s22, s4
	s_cbranch_execnz .LBB3_15
; %bb.11:                               ;   in Loop: Header=BB3_4 Depth=1
	s_or_b32 exec_lo, exec_lo, s22
	s_and_saveexec_b32 s5, vcc_lo
	s_cbranch_execnz .LBB3_16
.LBB3_12:                               ;   in Loop: Header=BB3_4 Depth=1
	s_or_b32 exec_lo, exec_lo, s5
	s_and_saveexec_b32 s5, s2
	s_cbranch_execnz .LBB3_17
.LBB3_13:                               ;   in Loop: Header=BB3_4 Depth=1
	s_or_b32 exec_lo, exec_lo, s5
	s_and_saveexec_b32 s2, s3
	s_cbranch_execnz .LBB3_18
.LBB3_14:                               ;   in Loop: Header=BB3_4 Depth=1
	s_or_b32 exec_lo, exec_lo, s2
	s_and_saveexec_b32 s2, s4
	s_cbranch_execz .LBB3_3
	s_branch .LBB3_19
.LBB3_15:                               ;   in Loop: Header=BB3_4 Depth=1
	v_add_co_u32 v7, s5, v1, s20
	s_delay_alu instid0(VALU_DEP_1)
	v_add_co_ci_u32_e64 v8, s5, 0, v2, s5
	global_load_b64 v[7:8], v[7:8], off
	s_or_b32 exec_lo, exec_lo, s22
	s_and_saveexec_b32 s5, vcc_lo
	s_cbranch_execz .LBB3_12
.LBB3_16:                               ;   in Loop: Header=BB3_4 Depth=1
	s_waitcnt vmcnt(0)
	v_add_co_u32 v9, vcc_lo, v9, s6
	v_add_co_ci_u32_e32 v10, vcc_lo, s7, v10, vcc_lo
	global_store_b64 v[1:2], v[9:10], off
	s_or_b32 exec_lo, exec_lo, s5
	s_and_saveexec_b32 s5, s2
	s_cbranch_execz .LBB3_13
.LBB3_17:                               ;   in Loop: Header=BB3_4 Depth=1
	s_waitcnt vmcnt(0)
	v_add_co_u32 v5, vcc_lo, v5, s6
	v_add_co_ci_u32_e32 v6, vcc_lo, s7, v6, vcc_lo
	global_store_b64 v[3:4], v[5:6], off
	s_or_b32 exec_lo, exec_lo, s5
	s_and_saveexec_b32 s2, s3
	s_cbranch_execz .LBB3_14
.LBB3_18:                               ;   in Loop: Header=BB3_4 Depth=1
	s_waitcnt vmcnt(0)
	v_add_co_u32 v5, vcc_lo, v11, s6
	v_add_co_ci_u32_e32 v6, vcc_lo, s7, v12, vcc_lo
	v_add_co_u32 v9, vcc_lo, v1, s21
	v_add_co_ci_u32_e32 v10, vcc_lo, 0, v2, vcc_lo
	global_store_b64 v[9:10], v[5:6], off
	s_or_b32 exec_lo, exec_lo, s2
	s_and_saveexec_b32 s2, s4
	s_cbranch_execz .LBB3_3
.LBB3_19:                               ;   in Loop: Header=BB3_4 Depth=1
	s_waitcnt vmcnt(0)
	v_add_co_u32 v5, vcc_lo, v7, s6
	v_add_co_ci_u32_e32 v6, vcc_lo, s7, v8, vcc_lo
	v_add_co_u32 v7, vcc_lo, v1, s20
	v_add_co_ci_u32_e32 v8, vcc_lo, 0, v2, vcc_lo
	global_store_b64 v[7:8], v[5:6], off
	s_branch .LBB3_3
.LBB3_20:
	s_cbranch_execz .LBB3_22
	s_branch .LBB3_25
.LBB3_21:
.LBB3_22:
	v_dual_mov_b32 v2, 0 :: v_dual_lshlrev_b32 v1, 2, v0
	s_mov_b32 s2, 0
	s_mov_b32 s3, exec_lo
	s_delay_alu instid0(VALU_DEP_1)
	v_cmpx_gt_i64_e64 s[8:9], v[1:2]
	s_cbranch_execz .LBB3_25
; %bb.23:
	s_load_b32 s0, s[0:1], 0xf54
	v_lshlrev_b32_e32 v1, 5, v0
	s_waitcnt lgkmcnt(0)
	s_and_b32 s0, s0, 0xffff
	s_delay_alu instid0(SALU_CYCLE_1) | instskip(SKIP_3) | instid1(VALU_DEP_1)
	s_lshl_b32 s3, s0, 2
	s_add_u32 s1, s10, s12
	s_addc_u32 s4, s11, s13
	v_add_co_u32 v3, s1, s1, v1
	v_add_co_ci_u32_e64 v4, null, s4, 0, s1
	v_add_lshl_u32 v1, v0, s0, 2
	s_delay_alu instid0(VALU_DEP_3) | instskip(NEXT) | instid1(VALU_DEP_3)
	v_add_co_u32 v3, vcc_lo, v3, 16
	v_add_co_ci_u32_e32 v4, vcc_lo, 0, v4, vcc_lo
	s_lshl_b32 s4, s0, 5
	s_set_inst_prefetch_distance 0x1
	.p2align	6
.LBB3_24:                               ; =>This Inner Loop Header: Depth=1
	s_clause 0x1
	global_load_b128 v[5:8], v[3:4], off offset:-16
	global_load_b128 v[9:12], v[3:4], off
	v_cmp_le_i64_e32 vcc_lo, s[8:9], v[1:2]
	v_cmp_lt_u64_e64 s0, 0xffff, v[1:2]
	s_delay_alu instid0(VALU_DEP_1) | instskip(NEXT) | instid1(SALU_CYCLE_1)
	s_or_b32 s0, vcc_lo, s0
	s_and_b32 s0, exec_lo, s0
	s_delay_alu instid0(SALU_CYCLE_1) | instskip(SKIP_2) | instid1(VALU_DEP_1)
	s_or_b32 s2, s0, s2
	s_waitcnt vmcnt(1)
	v_add_co_u32 v5, s1, v5, s6
	v_add_co_ci_u32_e64 v6, s1, s7, v6, s1
	v_add_co_u32 v7, s1, v7, s6
	s_delay_alu instid0(VALU_DEP_1) | instskip(SKIP_2) | instid1(VALU_DEP_1)
	v_add_co_ci_u32_e64 v8, s1, s7, v8, s1
	s_waitcnt vmcnt(0)
	v_add_co_u32 v9, s1, v9, s6
	v_add_co_ci_u32_e64 v10, s1, s7, v10, s1
	v_add_co_u32 v11, s1, v11, s6
	s_delay_alu instid0(VALU_DEP_1)
	v_add_co_ci_u32_e64 v12, s1, s7, v12, s1
	v_add_co_u32 v1, s1, v1, s3
	s_clause 0x1
	global_store_b128 v[3:4], v[5:8], off offset:-16
	global_store_b128 v[3:4], v[9:12], off
	v_add_co_u32 v3, vcc_lo, v3, s4
	v_add_co_ci_u32_e64 v2, s1, 0, v2, s1
	v_add_co_ci_u32_e32 v4, vcc_lo, 0, v4, vcc_lo
	s_and_not1_b32 exec_lo, exec_lo, s2
	s_cbranch_execnz .LBB3_24
.LBB3_25:
	s_set_inst_prefetch_distance 0x2
	s_nop 0
	s_sendmsg sendmsg(MSG_DEALLOC_VGPRS)
	s_endpgm
	.section	.rodata,"a",@progbits
	.p2align	6, 0x0
	.amdhsa_kernel _ZN2at6native12_GLOBAL__N_125multi_tensor_apply_kernelINS1_28TensorListScalarListMetadataIlLi1EEENS1_25BinaryOpScalarListFunctorIlLi1ELi1ELi0EEEJSt4plusIlEEEEvT_T0_DpT1_
		.amdhsa_group_segment_fixed_size 0
		.amdhsa_private_segment_fixed_size 0
		.amdhsa_kernarg_size 4168
		.amdhsa_user_sgpr_count 15
		.amdhsa_user_sgpr_dispatch_ptr 0
		.amdhsa_user_sgpr_queue_ptr 0
		.amdhsa_user_sgpr_kernarg_segment_ptr 1
		.amdhsa_user_sgpr_dispatch_id 0
		.amdhsa_user_sgpr_private_segment_size 0
		.amdhsa_wavefront_size32 1
		.amdhsa_uses_dynamic_stack 0
		.amdhsa_enable_private_segment 0
		.amdhsa_system_sgpr_workgroup_id_x 1
		.amdhsa_system_sgpr_workgroup_id_y 0
		.amdhsa_system_sgpr_workgroup_id_z 0
		.amdhsa_system_sgpr_workgroup_info 0
		.amdhsa_system_vgpr_workitem_id 0
		.amdhsa_next_free_vgpr 21
		.amdhsa_next_free_sgpr 23
		.amdhsa_reserve_vcc 1
		.amdhsa_float_round_mode_32 0
		.amdhsa_float_round_mode_16_64 0
		.amdhsa_float_denorm_mode_32 3
		.amdhsa_float_denorm_mode_16_64 3
		.amdhsa_dx10_clamp 1
		.amdhsa_ieee_mode 1
		.amdhsa_fp16_overflow 0
		.amdhsa_workgroup_processor_mode 1
		.amdhsa_memory_ordered 1
		.amdhsa_forward_progress 0
		.amdhsa_shared_vgpr_count 0
		.amdhsa_exception_fp_ieee_invalid_op 0
		.amdhsa_exception_fp_denorm_src 0
		.amdhsa_exception_fp_ieee_div_zero 0
		.amdhsa_exception_fp_ieee_overflow 0
		.amdhsa_exception_fp_ieee_underflow 0
		.amdhsa_exception_fp_ieee_inexact 0
		.amdhsa_exception_int_div_zero 0
	.end_amdhsa_kernel
	.section	.text._ZN2at6native12_GLOBAL__N_125multi_tensor_apply_kernelINS1_28TensorListScalarListMetadataIlLi1EEENS1_25BinaryOpScalarListFunctorIlLi1ELi1ELi0EEEJSt4plusIlEEEEvT_T0_DpT1_,"axG",@progbits,_ZN2at6native12_GLOBAL__N_125multi_tensor_apply_kernelINS1_28TensorListScalarListMetadataIlLi1EEENS1_25BinaryOpScalarListFunctorIlLi1ELi1ELi0EEEJSt4plusIlEEEEvT_T0_DpT1_,comdat
.Lfunc_end3:
	.size	_ZN2at6native12_GLOBAL__N_125multi_tensor_apply_kernelINS1_28TensorListScalarListMetadataIlLi1EEENS1_25BinaryOpScalarListFunctorIlLi1ELi1ELi0EEEJSt4plusIlEEEEvT_T0_DpT1_, .Lfunc_end3-_ZN2at6native12_GLOBAL__N_125multi_tensor_apply_kernelINS1_28TensorListScalarListMetadataIlLi1EEENS1_25BinaryOpScalarListFunctorIlLi1ELi1ELi0EEEJSt4plusIlEEEEvT_T0_DpT1_
                                        ; -- End function
	.section	.AMDGPU.csdata,"",@progbits
; Kernel info:
; codeLenInByte = 1256
; NumSgprs: 25
; NumVgprs: 21
; ScratchSize: 0
; MemoryBound: 0
; FloatMode: 240
; IeeeMode: 1
; LDSByteSize: 0 bytes/workgroup (compile time only)
; SGPRBlocks: 3
; VGPRBlocks: 2
; NumSGPRsForWavesPerEU: 25
; NumVGPRsForWavesPerEU: 21
; Occupancy: 16
; WaveLimiterHint : 1
; COMPUTE_PGM_RSRC2:SCRATCH_EN: 0
; COMPUTE_PGM_RSRC2:USER_SGPR: 15
; COMPUTE_PGM_RSRC2:TRAP_HANDLER: 0
; COMPUTE_PGM_RSRC2:TGID_X_EN: 1
; COMPUTE_PGM_RSRC2:TGID_Y_EN: 0
; COMPUTE_PGM_RSRC2:TGID_Z_EN: 0
; COMPUTE_PGM_RSRC2:TIDIG_COMP_CNT: 0
	.section	.text._ZN2at6native12_GLOBAL__N_125multi_tensor_apply_kernelINS1_28TensorListScalarListMetadataIsLi1EEENS1_25BinaryOpScalarListFunctorIsLi1ELi1ELi0EEEJSt4plusIsEEEEvT_T0_DpT1_,"axG",@progbits,_ZN2at6native12_GLOBAL__N_125multi_tensor_apply_kernelINS1_28TensorListScalarListMetadataIsLi1EEENS1_25BinaryOpScalarListFunctorIsLi1ELi1ELi0EEEJSt4plusIsEEEEvT_T0_DpT1_,comdat
	.globl	_ZN2at6native12_GLOBAL__N_125multi_tensor_apply_kernelINS1_28TensorListScalarListMetadataIsLi1EEENS1_25BinaryOpScalarListFunctorIsLi1ELi1ELi0EEEJSt4plusIsEEEEvT_T0_DpT1_ ; -- Begin function _ZN2at6native12_GLOBAL__N_125multi_tensor_apply_kernelINS1_28TensorListScalarListMetadataIsLi1EEENS1_25BinaryOpScalarListFunctorIsLi1ELi1ELi0EEEJSt4plusIsEEEEvT_T0_DpT1_
	.p2align	8
	.type	_ZN2at6native12_GLOBAL__N_125multi_tensor_apply_kernelINS1_28TensorListScalarListMetadataIsLi1EEENS1_25BinaryOpScalarListFunctorIsLi1ELi1ELi0EEEJSt4plusIsEEEEvT_T0_DpT1_,@function
_ZN2at6native12_GLOBAL__N_125multi_tensor_apply_kernelINS1_28TensorListScalarListMetadataIsLi1EEENS1_25BinaryOpScalarListFunctorIsLi1ELi1ELi0EEEJSt4plusIsEEEEvT_T0_DpT1_: ; @_ZN2at6native12_GLOBAL__N_125multi_tensor_apply_kernelINS1_28TensorListScalarListMetadataIsLi1EEENS1_25BinaryOpScalarListFunctorIsLi1ELi1ELi0EEEJSt4plusIsEEEEvT_T0_DpT1_
; %bb.0:
	v_mov_b32_e32 v1, s15
	s_add_u32 s2, s0, s15
	s_mul_i32 s3, s15, 3
	s_mul_hi_u32 s4, s15, 3
	s_addc_u32 s5, s1, 0
	global_load_u8 v1, v1, s[0:1] offset:1728
	s_add_u32 s2, s2, s3
	s_addc_u32 s3, s5, s4
	s_load_b32 s2, s[2:3], 0x800
	s_waitcnt vmcnt(0)
	v_readfirstlane_b32 s3, v1
	v_mul_lo_u32 v2, v1, -6
	v_mul_hi_i32 v3, v1, -6
	s_delay_alu instid0(VALU_DEP_3) | instskip(SKIP_4) | instid1(VALU_DEP_2)
	s_lshl_b32 s6, s3, 3
	s_waitcnt lgkmcnt(0)
	s_ashr_i32 s3, s2, 31
	s_add_u32 s7, s0, s6
	s_addc_u32 s8, s1, 0
	v_add_co_u32 v1, vcc_lo, s7, v2
	s_delay_alu instid0(VALU_DEP_2)
	v_add_co_ci_u32_e32 v2, vcc_lo, s8, v3, vcc_lo
	s_load_b64 s[4:5], s[0:1], s6 offset:0x300
	s_lshl_b64 s[10:11], s[2:3], 17
	s_lshl_b64 s[2:3], s[2:3], 16
	global_load_u16 v5, v[1:2], off offset:1536
	s_load_b64 s[8:9], s[0:1], s6 offset:0x0
	s_waitcnt lgkmcnt(0)
	s_and_b32 s12, s8, 7
	s_sub_u32 s6, s4, s2
	s_subb_u32 s7, s5, s3
	s_and_b32 s2, s4, 3
	s_mov_b32 s3, 0
	s_or_b32 s2, s12, s2
	s_delay_alu instid0(SALU_CYCLE_1)
	s_cmp_eq_u64 s[2:3], 0
	s_cbranch_scc1 .LBB4_21
; %bb.1:
	v_cmp_lt_i64_e64 s2, s[6:7], 1
	s_delay_alu instid0(VALU_DEP_1)
	s_and_b32 vcc_lo, exec_lo, s2
	s_cbranch_vccnz .LBB4_20
; %bb.2:
	s_load_b32 s2, s[0:1], 0xd14
	v_cmp_gt_u64_e64 s3, 0x10000, s[6:7]
	v_lshlrev_b32_e32 v1, 1, v0
	s_waitcnt lgkmcnt(0)
	s_and_b32 s2, s2, 0xffff
	s_delay_alu instid0(VALU_DEP_2)
	s_and_b32 s3, s3, exec_lo
	v_add_co_u32 v6, s5, v0, s2
	s_cselect_b32 s13, s7, 0
	s_cselect_b32 s12, s6, 0x10000
	s_lshl_b32 s3, s2, 1
	s_lshl_b32 s16, s2, 2
	v_lshlrev_b32_e32 v3, 1, v6
	v_add_co_ci_u32_e64 v7, null, 0, 0, s5
	s_add_u32 s5, s8, s10
	v_add_co_u32 v10, s3, s3, v0
	s_mul_i32 s4, s2, 3
	s_addc_u32 s14, s9, s11
	v_add_co_ci_u32_e64 v11, null, 0, 0, s3
	v_add_co_u32 v1, s3, s5, v1
	v_add_co_u32 v8, s4, s4, v0
	v_add_co_ci_u32_e64 v2, null, s14, 0, s3
	v_add_co_u32 v3, s3, s5, v3
	v_add_co_ci_u32_e64 v9, null, 0, 0, s4
	v_add_co_ci_u32_e64 v4, null, s14, 0, s3
	s_lshl_b32 s17, s2, 3
	s_mul_i32 s18, s2, 6
	s_mov_b64 s[14:15], 0
	s_branch .LBB4_4
.LBB4_3:                                ;   in Loop: Header=BB4_4 Depth=1
	s_or_b32 exec_lo, exec_lo, s2
	s_add_u32 s14, s14, s16
	s_addc_u32 s15, s15, 0
	v_add_co_u32 v1, vcc_lo, v1, s17
	v_cmp_lt_i64_e64 s2, s[14:15], s[6:7]
	v_cmp_gt_u64_e64 s3, 0x10000, s[14:15]
	v_add_co_ci_u32_e32 v2, vcc_lo, 0, v2, vcc_lo
	v_add_co_u32 v3, vcc_lo, v3, s17
	v_add_co_ci_u32_e32 v4, vcc_lo, 0, v4, vcc_lo
	s_delay_alu instid0(VALU_DEP_4) | instskip(NEXT) | instid1(SALU_CYCLE_1)
	s_and_b32 s2, s2, s3
	s_and_b32 vcc_lo, exec_lo, s2
	s_cbranch_vccz .LBB4_20
.LBB4_4:                                ; =>This Inner Loop Header: Depth=1
	s_waitcnt vmcnt(0)
	v_add_co_u32 v12, s2, v0, s14
	s_delay_alu instid0(VALU_DEP_1) | instskip(NEXT) | instid1(VALU_DEP_1)
	v_add_co_ci_u32_e64 v13, null, 0, s15, s2
	v_cmp_gt_u64_e32 vcc_lo, s[12:13], v[12:13]
	v_mov_b32_e32 v12, 0
	s_and_saveexec_b32 s2, vcc_lo
	s_cbranch_execz .LBB4_6
; %bb.5:                                ;   in Loop: Header=BB4_4 Depth=1
	global_load_u16 v12, v[1:2], off
.LBB4_6:                                ;   in Loop: Header=BB4_4 Depth=1
	s_or_b32 exec_lo, exec_lo, s2
	v_add_co_u32 v13, s2, v6, s14
	s_delay_alu instid0(VALU_DEP_1) | instskip(NEXT) | instid1(VALU_DEP_1)
	v_add_co_ci_u32_e64 v14, s2, s15, v7, s2
	v_cmp_gt_u64_e64 s2, s[12:13], v[13:14]
	v_mov_b32_e32 v14, 0
	s_delay_alu instid0(VALU_DEP_2)
	s_and_saveexec_b32 s3, s2
	s_cbranch_execz .LBB4_8
; %bb.7:                                ;   in Loop: Header=BB4_4 Depth=1
	global_load_u16 v14, v[3:4], off
.LBB4_8:                                ;   in Loop: Header=BB4_4 Depth=1
	s_or_b32 exec_lo, exec_lo, s3
	v_add_co_u32 v15, s3, v10, s14
	s_delay_alu instid0(VALU_DEP_1) | instskip(SKIP_1) | instid1(VALU_DEP_2)
	v_add_co_ci_u32_e64 v16, s3, s15, v11, s3
	v_mov_b32_e32 v13, 0
	v_cmp_gt_u64_e64 s3, s[12:13], v[15:16]
	v_mov_b32_e32 v15, 0
	s_delay_alu instid0(VALU_DEP_2)
	s_and_saveexec_b32 s5, s3
	s_cbranch_execz .LBB4_10
; %bb.9:                                ;   in Loop: Header=BB4_4 Depth=1
	v_add_co_u32 v15, s4, v1, s16
	s_delay_alu instid0(VALU_DEP_1)
	v_add_co_ci_u32_e64 v16, s4, 0, v2, s4
	global_load_u16 v15, v[15:16], off
.LBB4_10:                               ;   in Loop: Header=BB4_4 Depth=1
	s_or_b32 exec_lo, exec_lo, s5
	v_add_co_u32 v16, s4, v8, s14
	s_delay_alu instid0(VALU_DEP_1) | instskip(NEXT) | instid1(VALU_DEP_1)
	v_add_co_ci_u32_e64 v17, s4, s15, v9, s4
	v_cmp_gt_u64_e64 s4, s[12:13], v[16:17]
	s_delay_alu instid0(VALU_DEP_1)
	s_and_saveexec_b32 s19, s4
	s_cbranch_execnz .LBB4_15
; %bb.11:                               ;   in Loop: Header=BB4_4 Depth=1
	s_or_b32 exec_lo, exec_lo, s19
	s_and_saveexec_b32 s5, vcc_lo
	s_cbranch_execnz .LBB4_16
.LBB4_12:                               ;   in Loop: Header=BB4_4 Depth=1
	s_or_b32 exec_lo, exec_lo, s5
	s_and_saveexec_b32 s5, s2
	s_cbranch_execnz .LBB4_17
.LBB4_13:                               ;   in Loop: Header=BB4_4 Depth=1
	s_or_b32 exec_lo, exec_lo, s5
	s_and_saveexec_b32 s2, s3
	s_cbranch_execnz .LBB4_18
.LBB4_14:                               ;   in Loop: Header=BB4_4 Depth=1
	s_or_b32 exec_lo, exec_lo, s2
	s_and_saveexec_b32 s2, s4
	s_cbranch_execz .LBB4_3
	s_branch .LBB4_19
.LBB4_15:                               ;   in Loop: Header=BB4_4 Depth=1
	v_add_co_u32 v16, s5, v1, s18
	s_delay_alu instid0(VALU_DEP_1)
	v_add_co_ci_u32_e64 v17, s5, 0, v2, s5
	global_load_u16 v13, v[16:17], off
	s_or_b32 exec_lo, exec_lo, s19
	s_and_saveexec_b32 s5, vcc_lo
	s_cbranch_execz .LBB4_12
.LBB4_16:                               ;   in Loop: Header=BB4_4 Depth=1
	s_waitcnt vmcnt(0)
	v_add_nc_u16 v12, v12, v5
	global_store_b16 v[1:2], v12, off
	s_or_b32 exec_lo, exec_lo, s5
	s_and_saveexec_b32 s5, s2
	s_cbranch_execz .LBB4_13
.LBB4_17:                               ;   in Loop: Header=BB4_4 Depth=1
	s_waitcnt vmcnt(0)
	v_add_nc_u16 v12, v14, v5
	global_store_b16 v[3:4], v12, off
	s_or_b32 exec_lo, exec_lo, s5
	s_and_saveexec_b32 s2, s3
	s_cbranch_execz .LBB4_14
.LBB4_18:                               ;   in Loop: Header=BB4_4 Depth=1
	s_waitcnt vmcnt(0)
	v_add_co_u32 v14, vcc_lo, v1, s16
	v_add_nc_u16 v12, v15, v5
	v_add_co_ci_u32_e32 v15, vcc_lo, 0, v2, vcc_lo
	global_store_b16 v[14:15], v12, off
	s_or_b32 exec_lo, exec_lo, s2
	s_and_saveexec_b32 s2, s4
	s_cbranch_execz .LBB4_3
.LBB4_19:                               ;   in Loop: Header=BB4_4 Depth=1
	s_waitcnt vmcnt(0)
	v_add_co_u32 v12, vcc_lo, v1, s18
	v_add_nc_u16 v14, v13, v5
	v_add_co_ci_u32_e32 v13, vcc_lo, 0, v2, vcc_lo
	global_store_b16 v[12:13], v14, off
	s_branch .LBB4_3
.LBB4_20:
	s_cbranch_execz .LBB4_22
	s_branch .LBB4_25
.LBB4_21:
.LBB4_22:
	v_dual_mov_b32 v2, 0 :: v_dual_lshlrev_b32 v1, 2, v0
	s_mov_b32 s2, 0
	s_mov_b32 s3, exec_lo
	s_delay_alu instid0(VALU_DEP_1)
	v_cmpx_gt_i64_e64 s[6:7], v[1:2]
	s_cbranch_execz .LBB4_25
; %bb.23:
	s_load_b32 s0, s[0:1], 0xd14
	v_lshlrev_b32_e32 v1, 3, v0
	s_waitcnt lgkmcnt(0)
	s_and_b32 s0, s0, 0xffff
	s_add_u32 s1, s8, s10
	s_addc_u32 s3, s9, s11
	v_add_co_u32 v3, s1, s1, v1
	s_delay_alu instid0(VALU_DEP_1)
	v_add_co_ci_u32_e64 v4, null, s3, 0, s1
	v_add_lshl_u32 v1, v0, s0, 2
	s_lshl_b32 s3, s0, 3
	s_lshl_b32 s4, s0, 2
	s_set_inst_prefetch_distance 0x1
	.p2align	6
.LBB4_24:                               ; =>This Inner Loop Header: Depth=1
	global_load_b64 v[6:7], v[3:4], off
	v_cmp_le_i64_e32 vcc_lo, s[6:7], v[1:2]
	v_cmp_lt_u64_e64 s0, 0xffff, v[1:2]
	v_add_co_u32 v1, s1, v1, s4
	s_delay_alu instid0(VALU_DEP_1) | instskip(NEXT) | instid1(VALU_DEP_3)
	v_add_co_ci_u32_e64 v2, s1, 0, v2, s1
	s_or_b32 s0, vcc_lo, s0
	s_delay_alu instid0(SALU_CYCLE_1) | instskip(NEXT) | instid1(SALU_CYCLE_1)
	s_and_b32 s0, exec_lo, s0
	s_or_b32 s2, s0, s2
	s_waitcnt vmcnt(0)
	v_lshrrev_b32_e32 v0, 16, v7
	v_lshrrev_b32_e32 v8, 16, v6
	v_add_nc_u16 v7, v5, v7
	v_add_nc_u16 v6, v5, v6
	s_delay_alu instid0(VALU_DEP_4) | instskip(NEXT) | instid1(VALU_DEP_4)
	v_add_nc_u16 v0, v5, v0
	v_add_nc_u16 v8, v5, v8
	s_delay_alu instid0(VALU_DEP_4) | instskip(NEXT) | instid1(VALU_DEP_4)
	v_and_b32_e32 v7, 0xffff, v7
	v_and_b32_e32 v6, 0xffff, v6
	s_delay_alu instid0(VALU_DEP_4) | instskip(NEXT) | instid1(VALU_DEP_4)
	v_lshlrev_b32_e32 v0, 16, v0
	v_lshlrev_b32_e32 v8, 16, v8
	s_delay_alu instid0(VALU_DEP_2) | instskip(NEXT) | instid1(VALU_DEP_2)
	v_or_b32_e32 v7, v0, v7
	v_or_b32_e32 v6, v8, v6
	global_store_b64 v[3:4], v[6:7], off
	v_add_co_u32 v3, vcc_lo, v3, s3
	v_add_co_ci_u32_e32 v4, vcc_lo, 0, v4, vcc_lo
	s_and_not1_b32 exec_lo, exec_lo, s2
	s_cbranch_execnz .LBB4_24
.LBB4_25:
	s_set_inst_prefetch_distance 0x2
	s_nop 0
	s_sendmsg sendmsg(MSG_DEALLOC_VGPRS)
	s_endpgm
	.section	.rodata,"a",@progbits
	.p2align	6, 0x0
	.amdhsa_kernel _ZN2at6native12_GLOBAL__N_125multi_tensor_apply_kernelINS1_28TensorListScalarListMetadataIsLi1EEENS1_25BinaryOpScalarListFunctorIsLi1ELi1ELi0EEEJSt4plusIsEEEEvT_T0_DpT1_
		.amdhsa_group_segment_fixed_size 0
		.amdhsa_private_segment_fixed_size 0
		.amdhsa_kernarg_size 3592
		.amdhsa_user_sgpr_count 15
		.amdhsa_user_sgpr_dispatch_ptr 0
		.amdhsa_user_sgpr_queue_ptr 0
		.amdhsa_user_sgpr_kernarg_segment_ptr 1
		.amdhsa_user_sgpr_dispatch_id 0
		.amdhsa_user_sgpr_private_segment_size 0
		.amdhsa_wavefront_size32 1
		.amdhsa_uses_dynamic_stack 0
		.amdhsa_enable_private_segment 0
		.amdhsa_system_sgpr_workgroup_id_x 1
		.amdhsa_system_sgpr_workgroup_id_y 0
		.amdhsa_system_sgpr_workgroup_id_z 0
		.amdhsa_system_sgpr_workgroup_info 0
		.amdhsa_system_vgpr_workitem_id 0
		.amdhsa_next_free_vgpr 18
		.amdhsa_next_free_sgpr 20
		.amdhsa_reserve_vcc 1
		.amdhsa_float_round_mode_32 0
		.amdhsa_float_round_mode_16_64 0
		.amdhsa_float_denorm_mode_32 3
		.amdhsa_float_denorm_mode_16_64 3
		.amdhsa_dx10_clamp 1
		.amdhsa_ieee_mode 1
		.amdhsa_fp16_overflow 0
		.amdhsa_workgroup_processor_mode 1
		.amdhsa_memory_ordered 1
		.amdhsa_forward_progress 0
		.amdhsa_shared_vgpr_count 0
		.amdhsa_exception_fp_ieee_invalid_op 0
		.amdhsa_exception_fp_denorm_src 0
		.amdhsa_exception_fp_ieee_div_zero 0
		.amdhsa_exception_fp_ieee_overflow 0
		.amdhsa_exception_fp_ieee_underflow 0
		.amdhsa_exception_fp_ieee_inexact 0
		.amdhsa_exception_int_div_zero 0
	.end_amdhsa_kernel
	.section	.text._ZN2at6native12_GLOBAL__N_125multi_tensor_apply_kernelINS1_28TensorListScalarListMetadataIsLi1EEENS1_25BinaryOpScalarListFunctorIsLi1ELi1ELi0EEEJSt4plusIsEEEEvT_T0_DpT1_,"axG",@progbits,_ZN2at6native12_GLOBAL__N_125multi_tensor_apply_kernelINS1_28TensorListScalarListMetadataIsLi1EEENS1_25BinaryOpScalarListFunctorIsLi1ELi1ELi0EEEJSt4plusIsEEEEvT_T0_DpT1_,comdat
.Lfunc_end4:
	.size	_ZN2at6native12_GLOBAL__N_125multi_tensor_apply_kernelINS1_28TensorListScalarListMetadataIsLi1EEENS1_25BinaryOpScalarListFunctorIsLi1ELi1ELi0EEEJSt4plusIsEEEEvT_T0_DpT1_, .Lfunc_end4-_ZN2at6native12_GLOBAL__N_125multi_tensor_apply_kernelINS1_28TensorListScalarListMetadataIsLi1EEENS1_25BinaryOpScalarListFunctorIsLi1ELi1ELi0EEEJSt4plusIsEEEEvT_T0_DpT1_
                                        ; -- End function
	.section	.AMDGPU.csdata,"",@progbits
; Kernel info:
; codeLenInByte = 1220
; NumSgprs: 22
; NumVgprs: 18
; ScratchSize: 0
; MemoryBound: 0
; FloatMode: 240
; IeeeMode: 1
; LDSByteSize: 0 bytes/workgroup (compile time only)
; SGPRBlocks: 2
; VGPRBlocks: 2
; NumSGPRsForWavesPerEU: 22
; NumVGPRsForWavesPerEU: 18
; Occupancy: 16
; WaveLimiterHint : 0
; COMPUTE_PGM_RSRC2:SCRATCH_EN: 0
; COMPUTE_PGM_RSRC2:USER_SGPR: 15
; COMPUTE_PGM_RSRC2:TRAP_HANDLER: 0
; COMPUTE_PGM_RSRC2:TGID_X_EN: 1
; COMPUTE_PGM_RSRC2:TGID_Y_EN: 0
; COMPUTE_PGM_RSRC2:TGID_Z_EN: 0
; COMPUTE_PGM_RSRC2:TIDIG_COMP_CNT: 0
	.section	.text._ZN2at6native12_GLOBAL__N_125multi_tensor_apply_kernelINS1_28TensorListScalarListMetadataIdLi1EEENS1_25BinaryOpScalarListFunctorIdLi1ELi1ELi0EEEJSt4plusIdEEEEvT_T0_DpT1_,"axG",@progbits,_ZN2at6native12_GLOBAL__N_125multi_tensor_apply_kernelINS1_28TensorListScalarListMetadataIdLi1EEENS1_25BinaryOpScalarListFunctorIdLi1ELi1ELi0EEEJSt4plusIdEEEEvT_T0_DpT1_,comdat
	.globl	_ZN2at6native12_GLOBAL__N_125multi_tensor_apply_kernelINS1_28TensorListScalarListMetadataIdLi1EEENS1_25BinaryOpScalarListFunctorIdLi1ELi1ELi0EEEJSt4plusIdEEEEvT_T0_DpT1_ ; -- Begin function _ZN2at6native12_GLOBAL__N_125multi_tensor_apply_kernelINS1_28TensorListScalarListMetadataIdLi1EEENS1_25BinaryOpScalarListFunctorIdLi1ELi1ELi0EEEJSt4plusIdEEEEvT_T0_DpT1_
	.p2align	8
	.type	_ZN2at6native12_GLOBAL__N_125multi_tensor_apply_kernelINS1_28TensorListScalarListMetadataIdLi1EEENS1_25BinaryOpScalarListFunctorIdLi1ELi1ELi0EEEJSt4plusIdEEEEvT_T0_DpT1_,@function
_ZN2at6native12_GLOBAL__N_125multi_tensor_apply_kernelINS1_28TensorListScalarListMetadataIdLi1EEENS1_25BinaryOpScalarListFunctorIdLi1ELi1ELi0EEEJSt4plusIdEEEEvT_T0_DpT1_: ; @_ZN2at6native12_GLOBAL__N_125multi_tensor_apply_kernelINS1_28TensorListScalarListMetadataIdLi1EEENS1_25BinaryOpScalarListFunctorIdLi1ELi1ELi0EEEJSt4plusIdEEEEvT_T0_DpT1_
; %bb.0:
	v_mov_b32_e32 v1, s15
	s_add_u32 s2, s0, s15
	s_mul_hi_u32 s3, s15, 3
	s_mul_i32 s15, s15, 3
	s_addc_u32 s4, s1, 0
	global_load_u8 v1, v1, s[0:1] offset:2304
	s_add_u32 s2, s2, s15
	s_addc_u32 s3, s4, s3
	s_mov_b32 s15, 0
	s_load_b32 s2, s[2:3], 0xa40
	s_waitcnt vmcnt(0)
	v_readfirstlane_b32 s5, v1
	s_delay_alu instid0(VALU_DEP_1)
	s_lshl_b32 s3, s5, 3
	s_clause 0x2
	s_load_b64 s[6:7], s[0:1], s3 offset:0x600
	s_load_b64 s[10:11], s[0:1], s3 offset:0x0
	;; [unrolled: 1-line block ×3, first 2 shown]
	s_waitcnt lgkmcnt(0)
	s_ashr_i32 s3, s2, 31
	s_delay_alu instid0(SALU_CYCLE_1)
	s_lshl_b64 s[12:13], s[2:3], 19
	s_lshl_b64 s[2:3], s[2:3], 16
	s_and_b32 s14, s10, 31
	s_sub_u32 s8, s4, s2
	s_subb_u32 s9, s5, s3
	s_and_b32 s2, s4, 3
	s_mov_b32 s3, s15
	s_delay_alu instid0(SALU_CYCLE_1) | instskip(NEXT) | instid1(SALU_CYCLE_1)
	s_or_b64 s[2:3], s[14:15], s[2:3]
	s_cmp_eq_u64 s[2:3], 0
	s_cbranch_scc1 .LBB5_21
; %bb.1:
	v_cmp_lt_i64_e64 s2, s[8:9], 1
	s_delay_alu instid0(VALU_DEP_1)
	s_and_b32 vcc_lo, exec_lo, s2
	s_cbranch_vccnz .LBB5_20
; %bb.2:
	s_load_b32 s2, s[0:1], 0xf54
	v_cmp_gt_u64_e64 s3, 0x10000, s[8:9]
	v_lshlrev_b32_e32 v1, 3, v0
	s_waitcnt lgkmcnt(0)
	s_and_b32 s2, s2, 0xffff
	s_delay_alu instid0(VALU_DEP_2)
	s_and_b32 s3, s3, exec_lo
	v_add_co_u32 v13, s5, v0, s2
	s_cselect_b32 s15, s9, 0
	s_cselect_b32 s14, s8, 0x10000
	s_lshl_b32 s3, s2, 1
	s_lshl_b32 s18, s2, 2
	v_lshlrev_b32_e32 v3, 3, v13
	v_add_co_ci_u32_e64 v14, null, 0, 0, s5
	s_add_u32 s5, s10, s12
	v_add_co_u32 v17, s3, s3, v0
	s_mul_i32 s4, s2, 3
	s_addc_u32 s16, s11, s13
	v_add_co_ci_u32_e64 v18, null, 0, 0, s3
	v_add_co_u32 v1, s3, s5, v1
	v_add_co_u32 v15, s4, s4, v0
	v_add_co_ci_u32_e64 v2, null, s16, 0, s3
	v_add_co_u32 v3, s3, s5, v3
	v_add_co_ci_u32_e64 v16, null, 0, 0, s4
	v_add_co_ci_u32_e64 v4, null, s16, 0, s3
	s_lshl_b32 s19, s2, 5
	s_mul_i32 s20, s2, 24
	s_lshl_b32 s21, s2, 4
	s_mov_b64 s[16:17], 0
	s_branch .LBB5_4
.LBB5_3:                                ;   in Loop: Header=BB5_4 Depth=1
	s_or_b32 exec_lo, exec_lo, s2
	s_add_u32 s16, s16, s18
	s_addc_u32 s17, s17, 0
	v_add_co_u32 v1, vcc_lo, v1, s19
	v_cmp_lt_i64_e64 s2, s[16:17], s[8:9]
	v_cmp_gt_u64_e64 s3, 0x10000, s[16:17]
	v_add_co_ci_u32_e32 v2, vcc_lo, 0, v2, vcc_lo
	v_add_co_u32 v3, vcc_lo, v3, s19
	v_add_co_ci_u32_e32 v4, vcc_lo, 0, v4, vcc_lo
	s_delay_alu instid0(VALU_DEP_4) | instskip(NEXT) | instid1(SALU_CYCLE_1)
	s_and_b32 s2, s2, s3
	s_and_b32 vcc_lo, exec_lo, s2
	s_cbranch_vccz .LBB5_20
.LBB5_4:                                ; =>This Inner Loop Header: Depth=1
	s_waitcnt vmcnt(0)
	v_add_co_u32 v7, s2, v0, s16
	s_delay_alu instid0(VALU_DEP_1) | instskip(SKIP_2) | instid1(VALU_DEP_3)
	v_add_co_ci_u32_e64 v8, null, 0, s17, s2
	v_mov_b32_e32 v5, 0
	v_mov_b32_e32 v6, 0
	v_cmp_gt_u64_e32 vcc_lo, s[14:15], v[7:8]
	s_delay_alu instid0(VALU_DEP_2)
	v_dual_mov_b32 v8, v6 :: v_dual_mov_b32 v7, v5
	s_and_saveexec_b32 s2, vcc_lo
	s_cbranch_execz .LBB5_6
; %bb.5:                                ;   in Loop: Header=BB5_4 Depth=1
	global_load_b64 v[7:8], v[1:2], off
.LBB5_6:                                ;   in Loop: Header=BB5_4 Depth=1
	s_or_b32 exec_lo, exec_lo, s2
	v_add_co_u32 v9, s2, v13, s16
	s_delay_alu instid0(VALU_DEP_1) | instskip(NEXT) | instid1(VALU_DEP_1)
	v_add_co_ci_u32_e64 v10, s2, s17, v14, s2
	v_cmp_gt_u64_e64 s2, s[14:15], v[9:10]
	s_delay_alu instid0(VALU_DEP_1)
	s_and_saveexec_b32 s3, s2
	s_cbranch_execz .LBB5_8
; %bb.7:                                ;   in Loop: Header=BB5_4 Depth=1
	global_load_b64 v[5:6], v[3:4], off
.LBB5_8:                                ;   in Loop: Header=BB5_4 Depth=1
	s_or_b32 exec_lo, exec_lo, s3
	v_add_co_u32 v11, s3, v17, s16
	s_delay_alu instid0(VALU_DEP_1) | instskip(SKIP_2) | instid1(VALU_DEP_3)
	v_add_co_ci_u32_e64 v12, s3, s17, v18, s3
	v_mov_b32_e32 v9, 0
	v_mov_b32_e32 v10, 0
	v_cmp_gt_u64_e64 s3, s[14:15], v[11:12]
	s_delay_alu instid0(VALU_DEP_2) | instskip(NEXT) | instid1(VALU_DEP_2)
	v_dual_mov_b32 v12, v10 :: v_dual_mov_b32 v11, v9
	s_and_saveexec_b32 s5, s3
	s_cbranch_execz .LBB5_10
; %bb.9:                                ;   in Loop: Header=BB5_4 Depth=1
	v_add_co_u32 v11, s4, v1, s21
	s_delay_alu instid0(VALU_DEP_1)
	v_add_co_ci_u32_e64 v12, s4, 0, v2, s4
	global_load_b64 v[11:12], v[11:12], off
.LBB5_10:                               ;   in Loop: Header=BB5_4 Depth=1
	s_or_b32 exec_lo, exec_lo, s5
	v_add_co_u32 v19, s4, v15, s16
	s_delay_alu instid0(VALU_DEP_1) | instskip(NEXT) | instid1(VALU_DEP_1)
	v_add_co_ci_u32_e64 v20, s4, s17, v16, s4
	v_cmp_gt_u64_e64 s4, s[14:15], v[19:20]
	s_delay_alu instid0(VALU_DEP_1)
	s_and_saveexec_b32 s22, s4
	s_cbranch_execnz .LBB5_15
; %bb.11:                               ;   in Loop: Header=BB5_4 Depth=1
	s_or_b32 exec_lo, exec_lo, s22
	s_and_saveexec_b32 s5, vcc_lo
	s_cbranch_execnz .LBB5_16
.LBB5_12:                               ;   in Loop: Header=BB5_4 Depth=1
	s_or_b32 exec_lo, exec_lo, s5
	s_and_saveexec_b32 s5, s2
	s_cbranch_execnz .LBB5_17
.LBB5_13:                               ;   in Loop: Header=BB5_4 Depth=1
	s_or_b32 exec_lo, exec_lo, s5
	s_and_saveexec_b32 s2, s3
	s_cbranch_execnz .LBB5_18
.LBB5_14:                               ;   in Loop: Header=BB5_4 Depth=1
	s_or_b32 exec_lo, exec_lo, s2
	s_and_saveexec_b32 s2, s4
	s_cbranch_execz .LBB5_3
	s_branch .LBB5_19
.LBB5_15:                               ;   in Loop: Header=BB5_4 Depth=1
	v_add_co_u32 v9, s5, v1, s20
	s_delay_alu instid0(VALU_DEP_1)
	v_add_co_ci_u32_e64 v10, s5, 0, v2, s5
	global_load_b64 v[9:10], v[9:10], off
	s_or_b32 exec_lo, exec_lo, s22
	s_and_saveexec_b32 s5, vcc_lo
	s_cbranch_execz .LBB5_12
.LBB5_16:                               ;   in Loop: Header=BB5_4 Depth=1
	s_waitcnt vmcnt(0)
	v_add_f64 v[7:8], s[6:7], v[7:8]
	global_store_b64 v[1:2], v[7:8], off
	s_or_b32 exec_lo, exec_lo, s5
	s_and_saveexec_b32 s5, s2
	s_cbranch_execz .LBB5_13
.LBB5_17:                               ;   in Loop: Header=BB5_4 Depth=1
	s_waitcnt vmcnt(0)
	v_add_f64 v[5:6], s[6:7], v[5:6]
	global_store_b64 v[3:4], v[5:6], off
	s_or_b32 exec_lo, exec_lo, s5
	s_and_saveexec_b32 s2, s3
	s_cbranch_execz .LBB5_14
.LBB5_18:                               ;   in Loop: Header=BB5_4 Depth=1
	s_waitcnt vmcnt(0)
	v_add_f64 v[5:6], s[6:7], v[11:12]
	v_add_co_u32 v7, vcc_lo, v1, s21
	v_add_co_ci_u32_e32 v8, vcc_lo, 0, v2, vcc_lo
	global_store_b64 v[7:8], v[5:6], off
	s_or_b32 exec_lo, exec_lo, s2
	s_and_saveexec_b32 s2, s4
	s_cbranch_execz .LBB5_3
.LBB5_19:                               ;   in Loop: Header=BB5_4 Depth=1
	s_waitcnt vmcnt(0)
	v_add_f64 v[5:6], s[6:7], v[9:10]
	v_add_co_u32 v7, vcc_lo, v1, s20
	v_add_co_ci_u32_e32 v8, vcc_lo, 0, v2, vcc_lo
	global_store_b64 v[7:8], v[5:6], off
	s_branch .LBB5_3
.LBB5_20:
	s_cbranch_execz .LBB5_22
	s_branch .LBB5_25
.LBB5_21:
.LBB5_22:
	v_dual_mov_b32 v2, 0 :: v_dual_lshlrev_b32 v1, 2, v0
	s_mov_b32 s2, 0
	s_mov_b32 s3, exec_lo
	s_delay_alu instid0(VALU_DEP_1)
	v_cmpx_gt_i64_e64 s[8:9], v[1:2]
	s_cbranch_execz .LBB5_25
; %bb.23:
	s_load_b32 s0, s[0:1], 0xf54
	v_lshlrev_b32_e32 v1, 5, v0
	s_waitcnt lgkmcnt(0)
	s_and_b32 s0, s0, 0xffff
	s_delay_alu instid0(SALU_CYCLE_1) | instskip(SKIP_3) | instid1(VALU_DEP_1)
	s_lshl_b32 s3, s0, 2
	s_add_u32 s1, s10, s12
	s_addc_u32 s4, s11, s13
	v_add_co_u32 v3, s1, s1, v1
	v_add_co_ci_u32_e64 v4, null, s4, 0, s1
	v_add_lshl_u32 v1, v0, s0, 2
	s_delay_alu instid0(VALU_DEP_3) | instskip(NEXT) | instid1(VALU_DEP_3)
	v_add_co_u32 v3, vcc_lo, v3, 16
	v_add_co_ci_u32_e32 v4, vcc_lo, 0, v4, vcc_lo
	s_lshl_b32 s4, s0, 5
	.p2align	6
.LBB5_24:                               ; =>This Inner Loop Header: Depth=1
	s_clause 0x1
	global_load_b128 v[5:8], v[3:4], off offset:-16
	global_load_b128 v[9:12], v[3:4], off
	v_cmp_le_i64_e32 vcc_lo, s[8:9], v[1:2]
	v_cmp_lt_u64_e64 s0, 0xffff, v[1:2]
	v_add_co_u32 v1, s1, v1, s3
	s_delay_alu instid0(VALU_DEP_1) | instskip(NEXT) | instid1(VALU_DEP_3)
	v_add_co_ci_u32_e64 v2, s1, 0, v2, s1
	s_or_b32 s0, vcc_lo, s0
	s_delay_alu instid0(SALU_CYCLE_1) | instskip(NEXT) | instid1(SALU_CYCLE_1)
	s_and_b32 s0, exec_lo, s0
	s_or_b32 s2, s0, s2
	s_waitcnt vmcnt(1)
	v_add_f64 v[5:6], s[6:7], v[5:6]
	v_add_f64 v[7:8], s[6:7], v[7:8]
	s_waitcnt vmcnt(0)
	v_add_f64 v[9:10], s[6:7], v[9:10]
	v_add_f64 v[11:12], s[6:7], v[11:12]
	s_clause 0x1
	global_store_b128 v[3:4], v[5:8], off offset:-16
	global_store_b128 v[3:4], v[9:12], off
	v_add_co_u32 v3, vcc_lo, v3, s4
	v_add_co_ci_u32_e32 v4, vcc_lo, 0, v4, vcc_lo
	s_and_not1_b32 exec_lo, exec_lo, s2
	s_cbranch_execnz .LBB5_24
.LBB5_25:
	s_nop 0
	s_sendmsg sendmsg(MSG_DEALLOC_VGPRS)
	s_endpgm
	.section	.rodata,"a",@progbits
	.p2align	6, 0x0
	.amdhsa_kernel _ZN2at6native12_GLOBAL__N_125multi_tensor_apply_kernelINS1_28TensorListScalarListMetadataIdLi1EEENS1_25BinaryOpScalarListFunctorIdLi1ELi1ELi0EEEJSt4plusIdEEEEvT_T0_DpT1_
		.amdhsa_group_segment_fixed_size 0
		.amdhsa_private_segment_fixed_size 0
		.amdhsa_kernarg_size 4168
		.amdhsa_user_sgpr_count 15
		.amdhsa_user_sgpr_dispatch_ptr 0
		.amdhsa_user_sgpr_queue_ptr 0
		.amdhsa_user_sgpr_kernarg_segment_ptr 1
		.amdhsa_user_sgpr_dispatch_id 0
		.amdhsa_user_sgpr_private_segment_size 0
		.amdhsa_wavefront_size32 1
		.amdhsa_uses_dynamic_stack 0
		.amdhsa_enable_private_segment 0
		.amdhsa_system_sgpr_workgroup_id_x 1
		.amdhsa_system_sgpr_workgroup_id_y 0
		.amdhsa_system_sgpr_workgroup_id_z 0
		.amdhsa_system_sgpr_workgroup_info 0
		.amdhsa_system_vgpr_workitem_id 0
		.amdhsa_next_free_vgpr 21
		.amdhsa_next_free_sgpr 23
		.amdhsa_reserve_vcc 1
		.amdhsa_float_round_mode_32 0
		.amdhsa_float_round_mode_16_64 0
		.amdhsa_float_denorm_mode_32 3
		.amdhsa_float_denorm_mode_16_64 3
		.amdhsa_dx10_clamp 1
		.amdhsa_ieee_mode 1
		.amdhsa_fp16_overflow 0
		.amdhsa_workgroup_processor_mode 1
		.amdhsa_memory_ordered 1
		.amdhsa_forward_progress 0
		.amdhsa_shared_vgpr_count 0
		.amdhsa_exception_fp_ieee_invalid_op 0
		.amdhsa_exception_fp_denorm_src 0
		.amdhsa_exception_fp_ieee_div_zero 0
		.amdhsa_exception_fp_ieee_overflow 0
		.amdhsa_exception_fp_ieee_underflow 0
		.amdhsa_exception_fp_ieee_inexact 0
		.amdhsa_exception_int_div_zero 0
	.end_amdhsa_kernel
	.section	.text._ZN2at6native12_GLOBAL__N_125multi_tensor_apply_kernelINS1_28TensorListScalarListMetadataIdLi1EEENS1_25BinaryOpScalarListFunctorIdLi1ELi1ELi0EEEJSt4plusIdEEEEvT_T0_DpT1_,"axG",@progbits,_ZN2at6native12_GLOBAL__N_125multi_tensor_apply_kernelINS1_28TensorListScalarListMetadataIdLi1EEENS1_25BinaryOpScalarListFunctorIdLi1ELi1ELi0EEEJSt4plusIdEEEEvT_T0_DpT1_,comdat
.Lfunc_end5:
	.size	_ZN2at6native12_GLOBAL__N_125multi_tensor_apply_kernelINS1_28TensorListScalarListMetadataIdLi1EEENS1_25BinaryOpScalarListFunctorIdLi1ELi1ELi0EEEJSt4plusIdEEEEvT_T0_DpT1_, .Lfunc_end5-_ZN2at6native12_GLOBAL__N_125multi_tensor_apply_kernelINS1_28TensorListScalarListMetadataIdLi1EEENS1_25BinaryOpScalarListFunctorIdLi1ELi1ELi0EEEJSt4plusIdEEEEvT_T0_DpT1_
                                        ; -- End function
	.section	.AMDGPU.csdata,"",@progbits
; Kernel info:
; codeLenInByte = 1192
; NumSgprs: 25
; NumVgprs: 21
; ScratchSize: 0
; MemoryBound: 0
; FloatMode: 240
; IeeeMode: 1
; LDSByteSize: 0 bytes/workgroup (compile time only)
; SGPRBlocks: 3
; VGPRBlocks: 2
; NumSGPRsForWavesPerEU: 25
; NumVGPRsForWavesPerEU: 21
; Occupancy: 16
; WaveLimiterHint : 1
; COMPUTE_PGM_RSRC2:SCRATCH_EN: 0
; COMPUTE_PGM_RSRC2:USER_SGPR: 15
; COMPUTE_PGM_RSRC2:TRAP_HANDLER: 0
; COMPUTE_PGM_RSRC2:TGID_X_EN: 1
; COMPUTE_PGM_RSRC2:TGID_Y_EN: 0
; COMPUTE_PGM_RSRC2:TGID_Z_EN: 0
; COMPUTE_PGM_RSRC2:TIDIG_COMP_CNT: 0
	.section	.text._ZN2at6native12_GLOBAL__N_125multi_tensor_apply_kernelINS1_28TensorListScalarListMetadataIfLi1EEENS1_25BinaryOpScalarListFunctorIfLi1ELi1ELi0EEEJSt4plusIfEEEEvT_T0_DpT1_,"axG",@progbits,_ZN2at6native12_GLOBAL__N_125multi_tensor_apply_kernelINS1_28TensorListScalarListMetadataIfLi1EEENS1_25BinaryOpScalarListFunctorIfLi1ELi1ELi0EEEJSt4plusIfEEEEvT_T0_DpT1_,comdat
	.globl	_ZN2at6native12_GLOBAL__N_125multi_tensor_apply_kernelINS1_28TensorListScalarListMetadataIfLi1EEENS1_25BinaryOpScalarListFunctorIfLi1ELi1ELi0EEEJSt4plusIfEEEEvT_T0_DpT1_ ; -- Begin function _ZN2at6native12_GLOBAL__N_125multi_tensor_apply_kernelINS1_28TensorListScalarListMetadataIfLi1EEENS1_25BinaryOpScalarListFunctorIfLi1ELi1ELi0EEEJSt4plusIfEEEEvT_T0_DpT1_
	.p2align	8
	.type	_ZN2at6native12_GLOBAL__N_125multi_tensor_apply_kernelINS1_28TensorListScalarListMetadataIfLi1EEENS1_25BinaryOpScalarListFunctorIfLi1ELi1ELi0EEEJSt4plusIfEEEEvT_T0_DpT1_,@function
_ZN2at6native12_GLOBAL__N_125multi_tensor_apply_kernelINS1_28TensorListScalarListMetadataIfLi1EEENS1_25BinaryOpScalarListFunctorIfLi1ELi1ELi0EEEJSt4plusIfEEEEvT_T0_DpT1_: ; @_ZN2at6native12_GLOBAL__N_125multi_tensor_apply_kernelINS1_28TensorListScalarListMetadataIfLi1EEENS1_25BinaryOpScalarListFunctorIfLi1ELi1ELi0EEEJSt4plusIfEEEEvT_T0_DpT1_
; %bb.0:
	v_mov_b32_e32 v1, s15
	s_add_u32 s2, s0, s15
	s_mul_i32 s3, s15, 3
	s_mul_hi_u32 s4, s15, 3
	s_addc_u32 s5, s1, 0
	global_load_u8 v1, v1, s[0:1] offset:1920
	s_add_u32 s2, s2, s3
	s_addc_u32 s3, s5, s4
	s_load_b32 s2, s[2:3], 0x8c0
	s_waitcnt vmcnt(0)
	v_readfirstlane_b32 s3, v1
	v_lshlrev_b32_e32 v1, 2, v1
	s_delay_alu instid0(VALU_DEP_2)
	s_lshl_b32 s6, s3, 3
	s_waitcnt lgkmcnt(0)
	s_ashr_i32 s3, s2, 31
	s_clause 0x1
	s_load_b64 s[4:5], s[0:1], s6 offset:0x300
	s_load_b64 s[8:9], s[0:1], s6 offset:0x0
	s_add_u32 s6, s0, s6
	s_addc_u32 s7, s1, 0
	v_sub_co_u32 v1, s6, s6, v1
	s_delay_alu instid0(VALU_DEP_1) | instskip(SKIP_1) | instid1(VALU_DEP_2)
	v_sub_co_ci_u32_e64 v2, null, s7, 0, s6
	s_lshl_b64 s[10:11], s[2:3], 18
	v_readfirstlane_b32 s6, v1
	s_lshl_b64 s[2:3], s[2:3], 16
	s_delay_alu instid0(VALU_DEP_2)
	v_readfirstlane_b32 s7, v2
	s_load_b32 s16, s[6:7], 0x600
	s_waitcnt lgkmcnt(0)
	s_and_b32 s12, s8, 15
	s_sub_u32 s6, s4, s2
	s_subb_u32 s7, s5, s3
	s_and_b32 s2, s4, 3
	s_mov_b32 s3, 0
	s_or_b32 s2, s12, s2
	s_delay_alu instid0(SALU_CYCLE_1)
	s_cmp_eq_u64 s[2:3], 0
	s_cbranch_scc1 .LBB6_21
; %bb.1:
	v_cmp_lt_i64_e64 s2, s[6:7], 1
	s_delay_alu instid0(VALU_DEP_1)
	s_and_b32 vcc_lo, exec_lo, s2
	s_cbranch_vccnz .LBB6_20
; %bb.2:
	s_load_b32 s2, s[0:1], 0xdd4
	v_cmp_gt_u64_e64 s3, 0x10000, s[6:7]
	v_lshlrev_b32_e32 v1, 2, v0
	s_waitcnt lgkmcnt(0)
	s_and_b32 s2, s2, 0xffff
	s_delay_alu instid0(VALU_DEP_2)
	s_and_b32 s3, s3, exec_lo
	v_add_co_u32 v5, s5, v0, s2
	s_cselect_b32 s13, s7, 0
	s_cselect_b32 s12, s6, 0x10000
	s_lshl_b32 s3, s2, 1
	s_lshl_b32 s17, s2, 2
	v_lshlrev_b32_e32 v3, 2, v5
	v_add_co_ci_u32_e64 v6, null, 0, 0, s5
	s_add_u32 s5, s8, s10
	v_add_co_u32 v9, s3, s3, v0
	s_mul_i32 s4, s2, 3
	s_addc_u32 s14, s9, s11
	v_add_co_ci_u32_e64 v10, null, 0, 0, s3
	v_add_co_u32 v1, s3, s5, v1
	v_add_co_u32 v7, s4, s4, v0
	v_add_co_ci_u32_e64 v2, null, s14, 0, s3
	v_add_co_u32 v3, s3, s5, v3
	v_add_co_ci_u32_e64 v8, null, 0, 0, s4
	v_add_co_ci_u32_e64 v4, null, s14, 0, s3
	s_lshl_b32 s18, s2, 4
	s_mul_i32 s19, s2, 12
	s_lshl_b32 s20, s2, 3
	s_mov_b64 s[14:15], 0
	s_branch .LBB6_4
.LBB6_3:                                ;   in Loop: Header=BB6_4 Depth=1
	s_or_b32 exec_lo, exec_lo, s2
	s_add_u32 s14, s14, s17
	s_addc_u32 s15, s15, 0
	v_add_co_u32 v1, vcc_lo, v1, s18
	v_cmp_lt_i64_e64 s2, s[14:15], s[6:7]
	v_cmp_gt_u64_e64 s3, 0x10000, s[14:15]
	v_add_co_ci_u32_e32 v2, vcc_lo, 0, v2, vcc_lo
	v_add_co_u32 v3, vcc_lo, v3, s18
	v_add_co_ci_u32_e32 v4, vcc_lo, 0, v4, vcc_lo
	s_delay_alu instid0(VALU_DEP_4) | instskip(NEXT) | instid1(SALU_CYCLE_1)
	s_and_b32 s2, s2, s3
	s_and_b32 vcc_lo, exec_lo, s2
	s_cbranch_vccz .LBB6_20
.LBB6_4:                                ; =>This Inner Loop Header: Depth=1
	s_waitcnt vmcnt(0)
	v_add_co_u32 v11, s2, v0, s14
	s_delay_alu instid0(VALU_DEP_1) | instskip(NEXT) | instid1(VALU_DEP_1)
	v_add_co_ci_u32_e64 v12, null, 0, s15, s2
	v_cmp_gt_u64_e32 vcc_lo, s[12:13], v[11:12]
	v_mov_b32_e32 v11, 0
	s_and_saveexec_b32 s2, vcc_lo
	s_cbranch_execz .LBB6_6
; %bb.5:                                ;   in Loop: Header=BB6_4 Depth=1
	global_load_b32 v11, v[1:2], off
.LBB6_6:                                ;   in Loop: Header=BB6_4 Depth=1
	s_or_b32 exec_lo, exec_lo, s2
	v_add_co_u32 v12, s2, v5, s14
	s_delay_alu instid0(VALU_DEP_1) | instskip(NEXT) | instid1(VALU_DEP_1)
	v_add_co_ci_u32_e64 v13, s2, s15, v6, s2
	v_cmp_gt_u64_e64 s2, s[12:13], v[12:13]
	v_mov_b32_e32 v13, 0
	s_delay_alu instid0(VALU_DEP_2)
	s_and_saveexec_b32 s3, s2
	s_cbranch_execz .LBB6_8
; %bb.7:                                ;   in Loop: Header=BB6_4 Depth=1
	global_load_b32 v13, v[3:4], off
.LBB6_8:                                ;   in Loop: Header=BB6_4 Depth=1
	s_or_b32 exec_lo, exec_lo, s3
	v_add_co_u32 v14, s3, v9, s14
	s_delay_alu instid0(VALU_DEP_1) | instskip(SKIP_1) | instid1(VALU_DEP_2)
	v_add_co_ci_u32_e64 v15, s3, s15, v10, s3
	v_mov_b32_e32 v12, 0
	v_cmp_gt_u64_e64 s3, s[12:13], v[14:15]
	v_mov_b32_e32 v14, 0
	s_delay_alu instid0(VALU_DEP_2)
	s_and_saveexec_b32 s5, s3
	s_cbranch_execz .LBB6_10
; %bb.9:                                ;   in Loop: Header=BB6_4 Depth=1
	v_add_co_u32 v14, s4, v1, s20
	s_delay_alu instid0(VALU_DEP_1)
	v_add_co_ci_u32_e64 v15, s4, 0, v2, s4
	global_load_b32 v14, v[14:15], off
.LBB6_10:                               ;   in Loop: Header=BB6_4 Depth=1
	s_or_b32 exec_lo, exec_lo, s5
	v_add_co_u32 v15, s4, v7, s14
	s_delay_alu instid0(VALU_DEP_1) | instskip(NEXT) | instid1(VALU_DEP_1)
	v_add_co_ci_u32_e64 v16, s4, s15, v8, s4
	v_cmp_gt_u64_e64 s4, s[12:13], v[15:16]
	s_delay_alu instid0(VALU_DEP_1)
	s_and_saveexec_b32 s21, s4
	s_cbranch_execnz .LBB6_15
; %bb.11:                               ;   in Loop: Header=BB6_4 Depth=1
	s_or_b32 exec_lo, exec_lo, s21
	s_and_saveexec_b32 s5, vcc_lo
	s_cbranch_execnz .LBB6_16
.LBB6_12:                               ;   in Loop: Header=BB6_4 Depth=1
	s_or_b32 exec_lo, exec_lo, s5
	s_and_saveexec_b32 s5, s2
	s_cbranch_execnz .LBB6_17
.LBB6_13:                               ;   in Loop: Header=BB6_4 Depth=1
	s_or_b32 exec_lo, exec_lo, s5
	s_and_saveexec_b32 s2, s3
	s_cbranch_execnz .LBB6_18
.LBB6_14:                               ;   in Loop: Header=BB6_4 Depth=1
	s_or_b32 exec_lo, exec_lo, s2
	s_and_saveexec_b32 s2, s4
	s_cbranch_execz .LBB6_3
	s_branch .LBB6_19
.LBB6_15:                               ;   in Loop: Header=BB6_4 Depth=1
	v_add_co_u32 v15, s5, v1, s19
	s_delay_alu instid0(VALU_DEP_1)
	v_add_co_ci_u32_e64 v16, s5, 0, v2, s5
	global_load_b32 v12, v[15:16], off
	s_or_b32 exec_lo, exec_lo, s21
	s_and_saveexec_b32 s5, vcc_lo
	s_cbranch_execz .LBB6_12
.LBB6_16:                               ;   in Loop: Header=BB6_4 Depth=1
	s_waitcnt vmcnt(0)
	v_add_f32_e32 v11, s16, v11
	global_store_b32 v[1:2], v11, off
	s_or_b32 exec_lo, exec_lo, s5
	s_and_saveexec_b32 s5, s2
	s_cbranch_execz .LBB6_13
.LBB6_17:                               ;   in Loop: Header=BB6_4 Depth=1
	s_waitcnt vmcnt(0)
	v_add_f32_e32 v11, s16, v13
	global_store_b32 v[3:4], v11, off
	s_or_b32 exec_lo, exec_lo, s5
	s_and_saveexec_b32 s2, s3
	s_cbranch_execz .LBB6_14
.LBB6_18:                               ;   in Loop: Header=BB6_4 Depth=1
	s_waitcnt vmcnt(0)
	v_add_co_u32 v13, vcc_lo, v1, s20
	v_add_f32_e32 v11, s16, v14
	v_add_co_ci_u32_e32 v14, vcc_lo, 0, v2, vcc_lo
	global_store_b32 v[13:14], v11, off
	s_or_b32 exec_lo, exec_lo, s2
	s_and_saveexec_b32 s2, s4
	s_cbranch_execz .LBB6_3
.LBB6_19:                               ;   in Loop: Header=BB6_4 Depth=1
	s_waitcnt vmcnt(0)
	v_add_co_u32 v11, vcc_lo, v1, s19
	v_add_f32_e32 v13, s16, v12
	v_add_co_ci_u32_e32 v12, vcc_lo, 0, v2, vcc_lo
	global_store_b32 v[11:12], v13, off
	s_branch .LBB6_3
.LBB6_20:
	s_cbranch_execz .LBB6_22
	s_branch .LBB6_25
.LBB6_21:
.LBB6_22:
	v_dual_mov_b32 v2, 0 :: v_dual_lshlrev_b32 v1, 2, v0
	s_mov_b32 s2, 0
	s_mov_b32 s3, exec_lo
	s_delay_alu instid0(VALU_DEP_1)
	v_cmpx_gt_i64_e64 s[6:7], v[1:2]
	s_cbranch_execz .LBB6_25
; %bb.23:
	s_load_b32 s0, s[0:1], 0xdd4
	v_lshlrev_b32_e32 v1, 4, v0
	s_waitcnt lgkmcnt(0)
	s_and_b32 s0, s0, 0xffff
	s_delay_alu instid0(SALU_CYCLE_1) | instskip(SKIP_3) | instid1(VALU_DEP_1)
	s_lshl_b32 s3, s0, 2
	s_add_u32 s1, s8, s10
	s_addc_u32 s4, s9, s11
	v_add_co_u32 v3, s1, s1, v1
	v_add_co_ci_u32_e64 v4, null, s4, 0, s1
	v_add_lshl_u32 v1, v0, s0, 2
	s_delay_alu instid0(VALU_DEP_3) | instskip(NEXT) | instid1(VALU_DEP_3)
	v_add_co_u32 v3, vcc_lo, v3, 8
	v_add_co_ci_u32_e32 v4, vcc_lo, 0, v4, vcc_lo
	s_lshl_b32 s4, s0, 4
	.p2align	6
.LBB6_24:                               ; =>This Inner Loop Header: Depth=1
	global_load_b128 v[5:8], v[3:4], off offset:-8
	v_cmp_le_i64_e32 vcc_lo, s[6:7], v[1:2]
	v_cmp_lt_u64_e64 s0, 0xffff, v[1:2]
	v_add_co_u32 v1, s1, v1, s3
	s_delay_alu instid0(VALU_DEP_1) | instskip(NEXT) | instid1(VALU_DEP_3)
	v_add_co_ci_u32_e64 v2, s1, 0, v2, s1
	s_or_b32 s0, vcc_lo, s0
	s_delay_alu instid0(SALU_CYCLE_1) | instskip(NEXT) | instid1(SALU_CYCLE_1)
	s_and_b32 s0, exec_lo, s0
	s_or_b32 s2, s0, s2
	s_waitcnt vmcnt(0)
	v_dual_add_f32 v5, s16, v5 :: v_dual_add_f32 v6, s16, v6
	v_dual_add_f32 v7, s16, v7 :: v_dual_add_f32 v8, s16, v8
	global_store_b128 v[3:4], v[5:8], off offset:-8
	v_add_co_u32 v3, vcc_lo, v3, s4
	v_add_co_ci_u32_e32 v4, vcc_lo, 0, v4, vcc_lo
	s_and_not1_b32 exec_lo, exec_lo, s2
	s_cbranch_execnz .LBB6_24
.LBB6_25:
	s_nop 0
	s_sendmsg sendmsg(MSG_DEALLOC_VGPRS)
	s_endpgm
	.section	.rodata,"a",@progbits
	.p2align	6, 0x0
	.amdhsa_kernel _ZN2at6native12_GLOBAL__N_125multi_tensor_apply_kernelINS1_28TensorListScalarListMetadataIfLi1EEENS1_25BinaryOpScalarListFunctorIfLi1ELi1ELi0EEEJSt4plusIfEEEEvT_T0_DpT1_
		.amdhsa_group_segment_fixed_size 0
		.amdhsa_private_segment_fixed_size 0
		.amdhsa_kernarg_size 3784
		.amdhsa_user_sgpr_count 15
		.amdhsa_user_sgpr_dispatch_ptr 0
		.amdhsa_user_sgpr_queue_ptr 0
		.amdhsa_user_sgpr_kernarg_segment_ptr 1
		.amdhsa_user_sgpr_dispatch_id 0
		.amdhsa_user_sgpr_private_segment_size 0
		.amdhsa_wavefront_size32 1
		.amdhsa_uses_dynamic_stack 0
		.amdhsa_enable_private_segment 0
		.amdhsa_system_sgpr_workgroup_id_x 1
		.amdhsa_system_sgpr_workgroup_id_y 0
		.amdhsa_system_sgpr_workgroup_id_z 0
		.amdhsa_system_sgpr_workgroup_info 0
		.amdhsa_system_vgpr_workitem_id 0
		.amdhsa_next_free_vgpr 17
		.amdhsa_next_free_sgpr 22
		.amdhsa_reserve_vcc 1
		.amdhsa_float_round_mode_32 0
		.amdhsa_float_round_mode_16_64 0
		.amdhsa_float_denorm_mode_32 3
		.amdhsa_float_denorm_mode_16_64 3
		.amdhsa_dx10_clamp 1
		.amdhsa_ieee_mode 1
		.amdhsa_fp16_overflow 0
		.amdhsa_workgroup_processor_mode 1
		.amdhsa_memory_ordered 1
		.amdhsa_forward_progress 0
		.amdhsa_shared_vgpr_count 0
		.amdhsa_exception_fp_ieee_invalid_op 0
		.amdhsa_exception_fp_denorm_src 0
		.amdhsa_exception_fp_ieee_div_zero 0
		.amdhsa_exception_fp_ieee_overflow 0
		.amdhsa_exception_fp_ieee_underflow 0
		.amdhsa_exception_fp_ieee_inexact 0
		.amdhsa_exception_int_div_zero 0
	.end_amdhsa_kernel
	.section	.text._ZN2at6native12_GLOBAL__N_125multi_tensor_apply_kernelINS1_28TensorListScalarListMetadataIfLi1EEENS1_25BinaryOpScalarListFunctorIfLi1ELi1ELi0EEEJSt4plusIfEEEEvT_T0_DpT1_,"axG",@progbits,_ZN2at6native12_GLOBAL__N_125multi_tensor_apply_kernelINS1_28TensorListScalarListMetadataIfLi1EEENS1_25BinaryOpScalarListFunctorIfLi1ELi1ELi0EEEJSt4plusIfEEEEvT_T0_DpT1_,comdat
.Lfunc_end6:
	.size	_ZN2at6native12_GLOBAL__N_125multi_tensor_apply_kernelINS1_28TensorListScalarListMetadataIfLi1EEENS1_25BinaryOpScalarListFunctorIfLi1ELi1ELi0EEEJSt4plusIfEEEEvT_T0_DpT1_, .Lfunc_end6-_ZN2at6native12_GLOBAL__N_125multi_tensor_apply_kernelINS1_28TensorListScalarListMetadataIfLi1EEENS1_25BinaryOpScalarListFunctorIfLi1ELi1ELi0EEEJSt4plusIfEEEEvT_T0_DpT1_
                                        ; -- End function
	.section	.AMDGPU.csdata,"",@progbits
; Kernel info:
; codeLenInByte = 1152
; NumSgprs: 24
; NumVgprs: 17
; ScratchSize: 0
; MemoryBound: 0
; FloatMode: 240
; IeeeMode: 1
; LDSByteSize: 0 bytes/workgroup (compile time only)
; SGPRBlocks: 2
; VGPRBlocks: 2
; NumSGPRsForWavesPerEU: 24
; NumVGPRsForWavesPerEU: 17
; Occupancy: 16
; WaveLimiterHint : 0
; COMPUTE_PGM_RSRC2:SCRATCH_EN: 0
; COMPUTE_PGM_RSRC2:USER_SGPR: 15
; COMPUTE_PGM_RSRC2:TRAP_HANDLER: 0
; COMPUTE_PGM_RSRC2:TGID_X_EN: 1
; COMPUTE_PGM_RSRC2:TGID_Y_EN: 0
; COMPUTE_PGM_RSRC2:TGID_Z_EN: 0
; COMPUTE_PGM_RSRC2:TIDIG_COMP_CNT: 0
	.section	.text._ZN2at6native12_GLOBAL__N_125multi_tensor_apply_kernelINS1_28TensorListScalarListMetadataIN3c107complexIdEELi1EEENS1_25BinaryOpScalarListFunctorIS6_Li1ELi1ELi0EEEJSt4plusIS6_EEEEvT_T0_DpT1_,"axG",@progbits,_ZN2at6native12_GLOBAL__N_125multi_tensor_apply_kernelINS1_28TensorListScalarListMetadataIN3c107complexIdEELi1EEENS1_25BinaryOpScalarListFunctorIS6_Li1ELi1ELi0EEEJSt4plusIS6_EEEEvT_T0_DpT1_,comdat
	.globl	_ZN2at6native12_GLOBAL__N_125multi_tensor_apply_kernelINS1_28TensorListScalarListMetadataIN3c107complexIdEELi1EEENS1_25BinaryOpScalarListFunctorIS6_Li1ELi1ELi0EEEJSt4plusIS6_EEEEvT_T0_DpT1_ ; -- Begin function _ZN2at6native12_GLOBAL__N_125multi_tensor_apply_kernelINS1_28TensorListScalarListMetadataIN3c107complexIdEELi1EEENS1_25BinaryOpScalarListFunctorIS6_Li1ELi1ELi0EEEJSt4plusIS6_EEEEvT_T0_DpT1_
	.p2align	8
	.type	_ZN2at6native12_GLOBAL__N_125multi_tensor_apply_kernelINS1_28TensorListScalarListMetadataIN3c107complexIdEELi1EEENS1_25BinaryOpScalarListFunctorIS6_Li1ELi1ELi0EEEJSt4plusIS6_EEEEvT_T0_DpT1_,@function
_ZN2at6native12_GLOBAL__N_125multi_tensor_apply_kernelINS1_28TensorListScalarListMetadataIN3c107complexIdEELi1EEENS1_25BinaryOpScalarListFunctorIS6_Li1ELi1ELi0EEEJSt4plusIS6_EEEEvT_T0_DpT1_: ; @_ZN2at6native12_GLOBAL__N_125multi_tensor_apply_kernelINS1_28TensorListScalarListMetadataIN3c107complexIdEELi1EEENS1_25BinaryOpScalarListFunctorIS6_Li1ELi1ELi0EEEJSt4plusIS6_EEEEvT_T0_DpT1_
; %bb.0:
	v_mov_b32_e32 v1, s15
	s_add_u32 s2, s0, s15
	s_mul_i32 s3, s15, 3
	s_mul_hi_u32 s4, s15, 3
	s_addc_u32 s5, s1, 0
	global_load_u8 v1, v1, s[0:1] offset:2304
	s_add_u32 s2, s2, s3
	s_addc_u32 s3, s5, s4
	s_load_b32 s2, s[2:3], 0xa40
	s_waitcnt vmcnt(0)
	v_readfirstlane_b32 s3, v1
	s_delay_alu instid0(VALU_DEP_1)
	s_lshl_b32 s8, s3, 3
	s_waitcnt lgkmcnt(0)
	s_ashr_i32 s3, s2, 31
	s_clause 0x1
	s_load_b64 s[12:13], s[0:1], s8 offset:0x0
	s_load_b64 s[4:5], s[0:1], s8 offset:0x240
	s_add_u32 s6, s0, s8
	s_addc_u32 s7, s1, 0
	s_lshl_b64 s[14:15], s[2:3], 20
	s_load_b128 s[8:11], s[6:7], s8 offset:0x480
	s_waitcnt lgkmcnt(0)
	s_add_u32 s20, s12, s14
	s_addc_u32 s21, s13, s15
	s_lshl_b64 s[2:3], s[2:3], 16
	s_and_b32 s16, s20, 63
	s_sub_u32 s6, s4, s2
	s_subb_u32 s7, s5, s3
	s_and_b32 s2, s4, 3
	s_mov_b32 s3, 0
	s_or_b32 s2, s16, s2
	s_delay_alu instid0(SALU_CYCLE_1)
	s_cmp_eq_u64 s[2:3], 0
	s_cbranch_scc1 .LBB7_21
; %bb.1:
	v_cmp_lt_i64_e64 s2, s[6:7], 1
	s_delay_alu instid0(VALU_DEP_1)
	s_and_b32 vcc_lo, exec_lo, s2
	s_cbranch_vccnz .LBB7_20
; %bb.2:
	s_load_b32 s2, s[0:1], 0xf54
	v_cmp_gt_u64_e64 s3, 0x10000, s[6:7]
	v_dual_mov_b32 v18, 0 :: v_dual_lshlrev_b32 v17, 4, v0
	s_mov_b64 s[18:19], 0
	s_waitcnt lgkmcnt(0)
	s_and_b32 s2, s2, 0xffff
	s_delay_alu instid0(VALU_DEP_2)
	s_and_b32 s3, s3, exec_lo
	v_add_co_u32 v21, s5, v0, s2
	v_mad_u64_u32 v[19:20], null, s2, 48, v[17:18]
	s_cselect_b32 s17, s7, 0
	s_cselect_b32 s16, s6, 0x10000
	v_add_co_ci_u32_e64 v22, null, 0, 0, s5
	s_lshl_b32 s5, s2, 5
	s_lshl_b32 s3, s2, 1
	v_add_co_u32 v1, s5, s5, v17
	s_mul_i32 s4, s2, 3
	v_add_co_u32 v27, s3, s3, v0
	v_add_co_u32 v18, s4, s4, v0
	s_delay_alu instid0(VALU_DEP_1)
	v_add_co_ci_u32_e64 v23, null, 0, 0, s4
	v_add_co_ci_u32_e64 v24, null, 0, 0, s5
	v_lshlrev_b32_e32 v25, 4, v21
	v_or_b32_e32 v26, 8, v1
	v_or_b32_e32 v19, 8, v19
	v_add_co_ci_u32_e64 v28, null, 0, 0, s3
	s_lshl_b32 s22, s2, 2
	s_lshl_b32 s23, s2, 6
	s_branch .LBB7_4
.LBB7_3:                                ;   in Loop: Header=BB7_4 Depth=1
	s_or_b32 exec_lo, exec_lo, s2
	s_add_u32 s18, s18, s22
	s_addc_u32 s19, s19, 0
	s_delay_alu instid0(SALU_CYCLE_1) | instskip(SKIP_1) | instid1(VALU_DEP_1)
	v_cmp_lt_i64_e64 s2, s[18:19], s[6:7]
	v_cmp_gt_u64_e64 s3, 0x10000, s[18:19]
	s_and_b32 s2, s2, s3
	s_add_u32 s20, s20, s23
	s_addc_u32 s21, s21, 0
	s_and_b32 vcc_lo, exec_lo, s2
	s_cbranch_vccz .LBB7_20
.LBB7_4:                                ; =>This Inner Loop Header: Depth=1
	s_waitcnt vmcnt(0)
	v_add_co_u32 v1, s2, v0, s18
	s_delay_alu instid0(VALU_DEP_1) | instskip(SKIP_2) | instid1(VALU_DEP_3)
	v_add_co_ci_u32_e64 v2, null, 0, s19, s2
	v_mov_b32_e32 v3, 0
	v_mov_b32_e32 v4, 0
	v_cmp_gt_u64_e32 vcc_lo, s[16:17], v[1:2]
	s_delay_alu instid0(VALU_DEP_2)
	v_dual_mov_b32 v12, v4 :: v_dual_mov_b32 v11, v3
	v_dual_mov_b32 v10, v4 :: v_dual_mov_b32 v9, v3
	s_and_saveexec_b32 s2, vcc_lo
	s_cbranch_execz .LBB7_6
; %bb.5:                                ;   in Loop: Header=BB7_4 Depth=1
	v_add_co_u32 v1, s3, s20, v17
	s_delay_alu instid0(VALU_DEP_1)
	v_add_co_ci_u32_e64 v2, null, s21, 0, s3
	global_load_b128 v[9:12], v[1:2], off
.LBB7_6:                                ;   in Loop: Header=BB7_4 Depth=1
	s_or_b32 exec_lo, exec_lo, s2
	v_add_co_u32 v1, s2, v21, s18
	s_delay_alu instid0(VALU_DEP_1) | instskip(NEXT) | instid1(VALU_DEP_1)
	v_add_co_ci_u32_e64 v2, s2, s19, v22, s2
	v_cmp_gt_u64_e64 s2, s[16:17], v[1:2]
	v_dual_mov_b32 v1, v3 :: v_dual_mov_b32 v2, v4
	s_delay_alu instid0(VALU_DEP_2)
	s_and_saveexec_b32 s3, s2
	s_cbranch_execz .LBB7_8
; %bb.7:                                ;   in Loop: Header=BB7_4 Depth=1
	v_add_co_u32 v1, s4, s20, v25
	s_delay_alu instid0(VALU_DEP_1)
	v_add_co_ci_u32_e64 v2, null, s21, 0, s4
	global_load_b128 v[1:4], v[1:2], off
.LBB7_8:                                ;   in Loop: Header=BB7_4 Depth=1
	s_or_b32 exec_lo, exec_lo, s3
	v_add_co_u32 v5, s3, v27, s18
	s_delay_alu instid0(VALU_DEP_1) | instskip(SKIP_2) | instid1(VALU_DEP_3)
	v_add_co_ci_u32_e64 v6, s3, s19, v28, s3
	v_mov_b32_e32 v7, 0
	v_mov_b32_e32 v8, 0
	v_cmp_gt_u64_e64 s3, s[16:17], v[5:6]
	s_delay_alu instid0(VALU_DEP_2) | instskip(SKIP_1) | instid1(VALU_DEP_3)
	v_dual_mov_b32 v16, v8 :: v_dual_mov_b32 v15, v7
	v_dual_mov_b32 v14, v8 :: v_dual_mov_b32 v13, v7
	s_and_saveexec_b32 s5, s3
	s_cbranch_execz .LBB7_10
; %bb.9:                                ;   in Loop: Header=BB7_4 Depth=1
	v_add_co_u32 v5, s4, s20, v26
	s_delay_alu instid0(VALU_DEP_1)
	v_add_co_ci_u32_e64 v6, s4, s21, v24, s4
	global_load_b128 v[13:16], v[5:6], off offset:-8
.LBB7_10:                               ;   in Loop: Header=BB7_4 Depth=1
	s_or_b32 exec_lo, exec_lo, s5
	v_add_co_u32 v5, s4, v18, s18
	s_delay_alu instid0(VALU_DEP_1) | instskip(NEXT) | instid1(VALU_DEP_1)
	v_add_co_ci_u32_e64 v6, s4, s19, v23, s4
	v_cmp_gt_u64_e64 s4, s[16:17], v[5:6]
	v_dual_mov_b32 v5, v7 :: v_dual_mov_b32 v6, v8
	s_delay_alu instid0(VALU_DEP_2)
	s_and_saveexec_b32 s24, s4
	s_cbranch_execnz .LBB7_15
; %bb.11:                               ;   in Loop: Header=BB7_4 Depth=1
	s_or_b32 exec_lo, exec_lo, s24
	s_and_saveexec_b32 s5, vcc_lo
	s_cbranch_execnz .LBB7_16
.LBB7_12:                               ;   in Loop: Header=BB7_4 Depth=1
	s_or_b32 exec_lo, exec_lo, s5
	s_and_saveexec_b32 s5, s2
	s_cbranch_execnz .LBB7_17
.LBB7_13:                               ;   in Loop: Header=BB7_4 Depth=1
	s_or_b32 exec_lo, exec_lo, s5
	s_and_saveexec_b32 s2, s3
	s_cbranch_execnz .LBB7_18
.LBB7_14:                               ;   in Loop: Header=BB7_4 Depth=1
	s_or_b32 exec_lo, exec_lo, s2
	s_and_saveexec_b32 s2, s4
	s_cbranch_execz .LBB7_3
	s_branch .LBB7_19
.LBB7_15:                               ;   in Loop: Header=BB7_4 Depth=1
	v_add_co_u32 v5, s5, s20, v19
	s_delay_alu instid0(VALU_DEP_1)
	v_add_co_ci_u32_e64 v6, s5, s21, v20, s5
	global_load_b128 v[5:8], v[5:6], off offset:-8
	s_or_b32 exec_lo, exec_lo, s24
	s_and_saveexec_b32 s5, vcc_lo
	s_cbranch_execz .LBB7_12
.LBB7_16:                               ;   in Loop: Header=BB7_4 Depth=1
	s_waitcnt vmcnt(0)
	v_add_f64 v[11:12], s[10:11], v[11:12]
	v_add_f64 v[9:10], s[8:9], v[9:10]
	v_add_co_u32 v29, s24, s20, v17
	s_delay_alu instid0(VALU_DEP_1)
	v_add_co_ci_u32_e64 v30, null, s21, 0, s24
	global_store_b128 v[29:30], v[9:12], off
	s_or_b32 exec_lo, exec_lo, s5
	s_and_saveexec_b32 s5, s2
	s_cbranch_execz .LBB7_13
.LBB7_17:                               ;   in Loop: Header=BB7_4 Depth=1
	s_waitcnt vmcnt(0)
	v_add_f64 v[1:2], s[8:9], v[1:2]
	v_add_f64 v[3:4], s[10:11], v[3:4]
	v_add_co_u32 v9, s2, s20, v25
	s_delay_alu instid0(VALU_DEP_1)
	v_add_co_ci_u32_e64 v10, null, s21, 0, s2
	global_store_b128 v[9:10], v[1:4], off
	s_or_b32 exec_lo, exec_lo, s5
	s_and_saveexec_b32 s2, s3
	s_cbranch_execz .LBB7_14
.LBB7_18:                               ;   in Loop: Header=BB7_4 Depth=1
	s_waitcnt vmcnt(0)
	v_add_f64 v[1:2], s[8:9], v[13:14]
	v_add_f64 v[3:4], s[10:11], v[15:16]
	v_add_co_u32 v9, vcc_lo, s20, v26
	v_add_co_ci_u32_e32 v10, vcc_lo, s21, v24, vcc_lo
	global_store_b128 v[9:10], v[1:4], off offset:-8
	s_or_b32 exec_lo, exec_lo, s2
	s_and_saveexec_b32 s2, s4
	s_cbranch_execz .LBB7_3
.LBB7_19:                               ;   in Loop: Header=BB7_4 Depth=1
	s_waitcnt vmcnt(0)
	v_add_f64 v[1:2], s[8:9], v[5:6]
	v_add_f64 v[3:4], s[10:11], v[7:8]
	v_add_co_u32 v5, vcc_lo, s20, v19
	v_add_co_ci_u32_e32 v6, vcc_lo, s21, v20, vcc_lo
	global_store_b128 v[5:6], v[1:4], off offset:-8
	s_branch .LBB7_3
.LBB7_20:
	s_cbranch_execz .LBB7_22
	s_branch .LBB7_25
.LBB7_21:
.LBB7_22:
	s_waitcnt vmcnt(0)
	v_dual_mov_b32 v2, 0 :: v_dual_lshlrev_b32 v1, 2, v0
	s_mov_b32 s2, 0
	s_mov_b32 s3, exec_lo
	s_delay_alu instid0(VALU_DEP_1)
	v_cmpx_gt_i64_e64 s[6:7], v[1:2]
	s_cbranch_execz .LBB7_25
; %bb.23:
	s_load_b32 s0, s[0:1], 0xf54
	v_lshlrev_b32_e32 v3, 6, v0
	s_waitcnt lgkmcnt(0)
	s_and_b32 s0, s0, 0xffff
	s_delay_alu instid0(SALU_CYCLE_1)
	s_lshl_b32 s3, s0, 2
	s_add_u32 s1, s12, s14
	s_addc_u32 s4, s13, s15
	v_add_co_u32 v3, s1, s1, v3
	v_add_lshl_u32 v1, v0, s0, 2
	v_add_co_ci_u32_e64 v4, null, s4, 0, s1
	s_lshl_b32 s4, s0, 6
	s_set_inst_prefetch_distance 0x1
	.p2align	6
.LBB7_24:                               ; =>This Inner Loop Header: Depth=1
	s_clause 0x3
	global_load_b128 v[5:8], v[3:4], off
	global_load_b128 v[9:12], v[3:4], off offset:16
	global_load_b128 v[13:16], v[3:4], off offset:32
	;; [unrolled: 1-line block ×3, first 2 shown]
	v_cmp_le_i64_e32 vcc_lo, s[6:7], v[1:2]
	v_cmp_lt_u64_e64 s0, 0xffff, v[1:2]
	v_add_co_u32 v1, s1, v1, s3
	s_delay_alu instid0(VALU_DEP_1) | instskip(NEXT) | instid1(VALU_DEP_3)
	v_add_co_ci_u32_e64 v2, s1, 0, v2, s1
	s_or_b32 s0, vcc_lo, s0
	s_delay_alu instid0(SALU_CYCLE_1) | instskip(NEXT) | instid1(SALU_CYCLE_1)
	s_and_b32 s0, exec_lo, s0
	s_or_b32 s2, s0, s2
	s_waitcnt vmcnt(3)
	v_add_f64 v[5:6], s[8:9], v[5:6]
	v_add_f64 v[7:8], s[10:11], v[7:8]
	s_waitcnt vmcnt(2)
	v_add_f64 v[9:10], s[8:9], v[9:10]
	v_add_f64 v[11:12], s[10:11], v[11:12]
	;; [unrolled: 3-line block ×4, first 2 shown]
	s_clause 0x3
	global_store_b128 v[3:4], v[5:8], off
	global_store_b128 v[3:4], v[9:12], off offset:16
	global_store_b128 v[3:4], v[13:16], off offset:32
	;; [unrolled: 1-line block ×3, first 2 shown]
	v_add_co_u32 v3, vcc_lo, v3, s4
	v_add_co_ci_u32_e32 v4, vcc_lo, 0, v4, vcc_lo
	s_and_not1_b32 exec_lo, exec_lo, s2
	s_cbranch_execnz .LBB7_24
.LBB7_25:
	s_set_inst_prefetch_distance 0x2
	s_nop 0
	s_sendmsg sendmsg(MSG_DEALLOC_VGPRS)
	s_endpgm
	.section	.rodata,"a",@progbits
	.p2align	6, 0x0
	.amdhsa_kernel _ZN2at6native12_GLOBAL__N_125multi_tensor_apply_kernelINS1_28TensorListScalarListMetadataIN3c107complexIdEELi1EEENS1_25BinaryOpScalarListFunctorIS6_Li1ELi1ELi0EEEJSt4plusIS6_EEEEvT_T0_DpT1_
		.amdhsa_group_segment_fixed_size 0
		.amdhsa_private_segment_fixed_size 0
		.amdhsa_kernarg_size 4168
		.amdhsa_user_sgpr_count 15
		.amdhsa_user_sgpr_dispatch_ptr 0
		.amdhsa_user_sgpr_queue_ptr 0
		.amdhsa_user_sgpr_kernarg_segment_ptr 1
		.amdhsa_user_sgpr_dispatch_id 0
		.amdhsa_user_sgpr_private_segment_size 0
		.amdhsa_wavefront_size32 1
		.amdhsa_uses_dynamic_stack 0
		.amdhsa_enable_private_segment 0
		.amdhsa_system_sgpr_workgroup_id_x 1
		.amdhsa_system_sgpr_workgroup_id_y 0
		.amdhsa_system_sgpr_workgroup_id_z 0
		.amdhsa_system_sgpr_workgroup_info 0
		.amdhsa_system_vgpr_workitem_id 0
		.amdhsa_next_free_vgpr 31
		.amdhsa_next_free_sgpr 25
		.amdhsa_reserve_vcc 1
		.amdhsa_float_round_mode_32 0
		.amdhsa_float_round_mode_16_64 0
		.amdhsa_float_denorm_mode_32 3
		.amdhsa_float_denorm_mode_16_64 3
		.amdhsa_dx10_clamp 1
		.amdhsa_ieee_mode 1
		.amdhsa_fp16_overflow 0
		.amdhsa_workgroup_processor_mode 1
		.amdhsa_memory_ordered 1
		.amdhsa_forward_progress 0
		.amdhsa_shared_vgpr_count 0
		.amdhsa_exception_fp_ieee_invalid_op 0
		.amdhsa_exception_fp_denorm_src 0
		.amdhsa_exception_fp_ieee_div_zero 0
		.amdhsa_exception_fp_ieee_overflow 0
		.amdhsa_exception_fp_ieee_underflow 0
		.amdhsa_exception_fp_ieee_inexact 0
		.amdhsa_exception_int_div_zero 0
	.end_amdhsa_kernel
	.section	.text._ZN2at6native12_GLOBAL__N_125multi_tensor_apply_kernelINS1_28TensorListScalarListMetadataIN3c107complexIdEELi1EEENS1_25BinaryOpScalarListFunctorIS6_Li1ELi1ELi0EEEJSt4plusIS6_EEEEvT_T0_DpT1_,"axG",@progbits,_ZN2at6native12_GLOBAL__N_125multi_tensor_apply_kernelINS1_28TensorListScalarListMetadataIN3c107complexIdEELi1EEENS1_25BinaryOpScalarListFunctorIS6_Li1ELi1ELi0EEEJSt4plusIS6_EEEEvT_T0_DpT1_,comdat
.Lfunc_end7:
	.size	_ZN2at6native12_GLOBAL__N_125multi_tensor_apply_kernelINS1_28TensorListScalarListMetadataIN3c107complexIdEELi1EEENS1_25BinaryOpScalarListFunctorIS6_Li1ELi1ELi0EEEJSt4plusIS6_EEEEvT_T0_DpT1_, .Lfunc_end7-_ZN2at6native12_GLOBAL__N_125multi_tensor_apply_kernelINS1_28TensorListScalarListMetadataIN3c107complexIdEELi1EEENS1_25BinaryOpScalarListFunctorIS6_Li1ELi1ELi0EEEJSt4plusIS6_EEEEvT_T0_DpT1_
                                        ; -- End function
	.section	.AMDGPU.csdata,"",@progbits
; Kernel info:
; codeLenInByte = 1396
; NumSgprs: 27
; NumVgprs: 31
; ScratchSize: 0
; MemoryBound: 1
; FloatMode: 240
; IeeeMode: 1
; LDSByteSize: 0 bytes/workgroup (compile time only)
; SGPRBlocks: 3
; VGPRBlocks: 3
; NumSGPRsForWavesPerEU: 27
; NumVGPRsForWavesPerEU: 31
; Occupancy: 16
; WaveLimiterHint : 0
; COMPUTE_PGM_RSRC2:SCRATCH_EN: 0
; COMPUTE_PGM_RSRC2:USER_SGPR: 15
; COMPUTE_PGM_RSRC2:TRAP_HANDLER: 0
; COMPUTE_PGM_RSRC2:TGID_X_EN: 1
; COMPUTE_PGM_RSRC2:TGID_Y_EN: 0
; COMPUTE_PGM_RSRC2:TGID_Z_EN: 0
; COMPUTE_PGM_RSRC2:TIDIG_COMP_CNT: 0
	.section	.text._ZN2at6native12_GLOBAL__N_125multi_tensor_apply_kernelINS1_28TensorListScalarListMetadataIN3c107complexIfEELi1EEENS1_25BinaryOpScalarListFunctorIS6_Li1ELi1ELi0EEEJSt4plusIS6_EEEEvT_T0_DpT1_,"axG",@progbits,_ZN2at6native12_GLOBAL__N_125multi_tensor_apply_kernelINS1_28TensorListScalarListMetadataIN3c107complexIfEELi1EEENS1_25BinaryOpScalarListFunctorIS6_Li1ELi1ELi0EEEJSt4plusIS6_EEEEvT_T0_DpT1_,comdat
	.globl	_ZN2at6native12_GLOBAL__N_125multi_tensor_apply_kernelINS1_28TensorListScalarListMetadataIN3c107complexIfEELi1EEENS1_25BinaryOpScalarListFunctorIS6_Li1ELi1ELi0EEEJSt4plusIS6_EEEEvT_T0_DpT1_ ; -- Begin function _ZN2at6native12_GLOBAL__N_125multi_tensor_apply_kernelINS1_28TensorListScalarListMetadataIN3c107complexIfEELi1EEENS1_25BinaryOpScalarListFunctorIS6_Li1ELi1ELi0EEEJSt4plusIS6_EEEEvT_T0_DpT1_
	.p2align	8
	.type	_ZN2at6native12_GLOBAL__N_125multi_tensor_apply_kernelINS1_28TensorListScalarListMetadataIN3c107complexIfEELi1EEENS1_25BinaryOpScalarListFunctorIS6_Li1ELi1ELi0EEEJSt4plusIS6_EEEEvT_T0_DpT1_,@function
_ZN2at6native12_GLOBAL__N_125multi_tensor_apply_kernelINS1_28TensorListScalarListMetadataIN3c107complexIfEELi1EEENS1_25BinaryOpScalarListFunctorIS6_Li1ELi1ELi0EEEJSt4plusIS6_EEEEvT_T0_DpT1_: ; @_ZN2at6native12_GLOBAL__N_125multi_tensor_apply_kernelINS1_28TensorListScalarListMetadataIN3c107complexIfEELi1EEENS1_25BinaryOpScalarListFunctorIS6_Li1ELi1ELi0EEEJSt4plusIS6_EEEEvT_T0_DpT1_
; %bb.0:
	v_mov_b32_e32 v1, s15
	s_load_b64 s[0:1], s[0:1], 0x4
	s_mul_i32 s4, s15, 3
	s_mul_hi_u32 s5, s15, 3
	v_and_b32_e32 v15, 0x3ff, v0
	global_load_u8 v1, v1, s[2:3] offset:2304
	v_bfe_u32 v2, v0, 10, 10
	v_bfe_u32 v0, v0, 20, 10
	s_mov_b32 s17, 0
	s_waitcnt lgkmcnt(0)
	s_lshr_b32 s0, s0, 16
	s_add_u32 s6, s2, s15
	s_addc_u32 s7, s3, 0
	s_add_u32 s4, s6, s4
	s_addc_u32 s5, s7, s5
	s_mul_i32 s0, s0, s1
	s_load_b32 s8, s[4:5], 0xa40
	s_waitcnt vmcnt(0)
	v_readfirstlane_b32 s9, v1
	v_mul_lo_u32 v1, s0, v15
	s_delay_alu instid0(VALU_DEP_2)
	s_lshl_b32 s4, s9, 3
	s_waitcnt lgkmcnt(0)
	s_ashr_i32 s9, s8, 31
	s_clause 0x2
	s_load_b64 s[6:7], s[2:3], s4 offset:0x600
	s_load_b64 s[10:11], s[2:3], s4 offset:0x0
	;; [unrolled: 1-line block ×3, first 2 shown]
	s_lshl_b64 s[12:13], s[8:9], 19
	v_mad_u32_u24 v1, v2, s1, v1
	s_delay_alu instid0(VALU_DEP_1)
	v_add_lshl_u32 v14, v1, v0, 3
	s_waitcnt lgkmcnt(0)
	s_add_u32 s5, s10, s12
	s_addc_u32 s18, s11, s13
	s_lshl_b64 s[0:1], s[8:9], 16
	s_and_b32 s16, s5, 31
	s_sub_u32 s8, s14, s0
	s_subb_u32 s9, s15, s1
	s_and_b32 s0, s14, 3
	s_mov_b32 s1, s17
	s_delay_alu instid0(SALU_CYCLE_1) | instskip(NEXT) | instid1(SALU_CYCLE_1)
	s_or_b64 s[0:1], s[16:17], s[0:1]
	s_cmp_eq_u64 s[0:1], 0
	s_cbranch_scc1 .LBB8_19
; %bb.1:
	v_cmp_lt_i64_e64 s0, s[8:9], 1
	s_delay_alu instid0(VALU_DEP_1)
	s_and_b32 vcc_lo, exec_lo, s0
	s_cbranch_vccnz .LBB8_18
; %bb.2:
	s_load_b32 s4, s[2:3], 0xf54
	v_cmp_gt_u64_e64 s14, 0x10000, s[8:9]
	s_mov_b64 s[0:1], src_shared_base
	v_dual_mov_b32 v1, 0 :: v_dual_lshlrev_b32 v0, 3, v15
	s_delay_alu instid0(VALU_DEP_1)
	v_dual_mov_b32 v16, s1 :: v_dual_mov_b32 v5, v1
	s_waitcnt lgkmcnt(0)
	s_and_b32 s0, s4, 0xffff
	s_and_b32 s1, s14, exec_lo
	v_add_co_u32 v17, s16, v15, s0
	s_cselect_b32 s15, s9, 0
	s_cselect_b32 s14, s8, 0x10000
	v_add_co_ci_u32_e64 v18, null, 0, 0, s16
	s_lshl_b32 s16, s0, 4
	s_lshl_b32 s1, s0, 1
	v_add_co_u32 v4, s16, s16, v0
	s_mul_i32 s4, s0, 3
	v_mad_u64_u32 v[2:3], null, s0, 24, v[0:1]
	v_add_co_u32 v19, s4, s4, v15
	v_add_co_u32 v23, s1, s1, v15
	v_add_co_ci_u32_e64 v20, null, 0, 0, s4
	v_add_co_ci_u32_e64 v21, null, 0, 0, s16
	v_or_b32_e32 v22, 4, v4
	v_add_co_ci_u32_e64 v24, null, 0, 0, s1
	v_lshl_or_b32 v25, v17, 3, 4
	v_mov_b32_e32 v4, v1
	s_lshl_b32 s19, s0, 2
	s_lshl_b32 s20, s0, 5
	s_mov_b64 s[16:17], 0
	s_branch .LBB8_4
.LBB8_3:                                ;   in Loop: Header=BB8_4 Depth=1
	s_or_b32 exec_lo, exec_lo, s0
	s_add_u32 s16, s16, s19
	s_addc_u32 s17, s17, 0
	s_delay_alu instid0(SALU_CYCLE_1) | instskip(SKIP_1) | instid1(VALU_DEP_1)
	v_cmp_lt_i64_e64 s0, s[16:17], s[8:9]
	v_cmp_gt_u64_e64 s1, 0x10000, s[16:17]
	s_and_b32 s0, s0, s1
	s_add_u32 s5, s5, s20
	s_addc_u32 s18, s18, 0
	s_and_b32 vcc_lo, exec_lo, s0
	s_cbranch_vccz .LBB8_18
.LBB8_4:                                ; =>This Inner Loop Header: Depth=1
	v_add_co_u32 v6, s0, v15, s16
	s_delay_alu instid0(VALU_DEP_1) | instskip(SKIP_1) | instid1(VALU_DEP_2)
	v_add_co_ci_u32_e64 v7, null, 0, s17, s0
	v_dual_mov_b32 v9, 0 :: v_dual_mov_b32 v8, 0
	v_cmp_gt_u64_e32 vcc_lo, s[14:15], v[6:7]
	s_and_saveexec_b32 s0, vcc_lo
	s_cbranch_execz .LBB8_6
; %bb.5:                                ;   in Loop: Header=BB8_4 Depth=1
	v_add_co_u32 v6, s1, s5, v0
	s_delay_alu instid0(VALU_DEP_1)
	v_add_co_ci_u32_e64 v7, null, s18, 0, s1
	global_load_b64 v[8:9], v[6:7], off
.LBB8_6:                                ;   in Loop: Header=BB8_4 Depth=1
	s_or_b32 exec_lo, exec_lo, s0
	v_add_co_u32 v10, s0, v17, s16
	s_delay_alu instid0(VALU_DEP_1) | instskip(SKIP_1) | instid1(VALU_DEP_2)
	v_add_co_ci_u32_e64 v11, s0, s17, v18, s0
	v_mov_b32_e32 v7, 0
	v_cmp_gt_u64_e64 s0, s[14:15], v[10:11]
	v_dual_mov_b32 v10, 0 :: v_dual_mov_b32 v11, 0
	s_delay_alu instid0(VALU_DEP_2)
	s_and_saveexec_b32 s1, s0
	s_cbranch_execz .LBB8_8
; %bb.7:                                ;   in Loop: Header=BB8_4 Depth=1
	v_add_co_u32 v10, s4, s5, v25
	s_delay_alu instid0(VALU_DEP_1)
	v_add_co_ci_u32_e64 v11, null, s18, 0, s4
	global_load_b64 v[10:11], v[10:11], off offset:-4
.LBB8_8:                                ;   in Loop: Header=BB8_4 Depth=1
	s_or_b32 exec_lo, exec_lo, s1
	v_add_co_u32 v12, s1, v23, s16
	s_delay_alu instid0(VALU_DEP_1) | instskip(SKIP_1) | instid1(VALU_DEP_2)
	v_add_co_ci_u32_e64 v13, s1, s17, v24, s1
	v_mov_b32_e32 v6, 0
	v_cmp_gt_u64_e64 s1, s[14:15], v[12:13]
	s_delay_alu instid0(VALU_DEP_1)
	s_and_saveexec_b32 s21, s1
	s_cbranch_execz .LBB8_10
; %bb.9:                                ;   in Loop: Header=BB8_4 Depth=1
	v_add_co_u32 v6, s4, s5, v22
	s_delay_alu instid0(VALU_DEP_1)
	v_add_co_ci_u32_e64 v7, s4, s18, v21, s4
	global_load_b64 v[6:7], v[6:7], off offset:-4
.LBB8_10:                               ;   in Loop: Header=BB8_4 Depth=1
	s_or_b32 exec_lo, exec_lo, s21
	v_add_co_u32 v26, s4, v19, s16
	s_delay_alu instid0(VALU_DEP_1) | instskip(SKIP_1) | instid1(VALU_DEP_1)
	v_add_co_ci_u32_e64 v27, s4, s17, v20, s4
	v_add_co_u32 v12, s4, s5, v2
	v_add_co_ci_u32_e64 v13, s4, s18, v3, s4
	s_delay_alu instid0(VALU_DEP_3)
	v_cmp_gt_u64_e64 s4, s[14:15], v[26:27]
	ds_store_b64 v14, v[4:5]
	v_cndmask_b32_e64 v27, v16, v13, s4
	v_cndmask_b32_e64 v26, v14, v12, s4
	flat_load_b64 v[26:27], v[26:27]
	s_waitcnt vmcnt(0) lgkmcnt(0)
	v_dual_add_f32 v26, s6, v26 :: v_dual_add_f32 v27, s7, v27
	ds_store_b64 v14, v[26:27]
	s_and_saveexec_b32 s21, vcc_lo
	s_cbranch_execnz .LBB8_14
; %bb.11:                               ;   in Loop: Header=BB8_4 Depth=1
	s_or_b32 exec_lo, exec_lo, s21
	s_and_saveexec_b32 s21, s0
	s_cbranch_execnz .LBB8_15
.LBB8_12:                               ;   in Loop: Header=BB8_4 Depth=1
	s_or_b32 exec_lo, exec_lo, s21
	s_and_saveexec_b32 s0, s1
	s_cbranch_execnz .LBB8_16
.LBB8_13:                               ;   in Loop: Header=BB8_4 Depth=1
	s_or_b32 exec_lo, exec_lo, s0
	s_and_saveexec_b32 s0, s4
	s_cbranch_execz .LBB8_3
	s_branch .LBB8_17
.LBB8_14:                               ;   in Loop: Header=BB8_4 Depth=1
	v_add_co_u32 v26, s22, s5, v0
	s_delay_alu instid0(VALU_DEP_1)
	v_add_co_ci_u32_e64 v27, null, s18, 0, s22
	v_dual_add_f32 v8, s6, v8 :: v_dual_add_f32 v9, s7, v9
	global_store_b64 v[26:27], v[8:9], off
	s_or_b32 exec_lo, exec_lo, s21
	s_and_saveexec_b32 s21, s0
	s_cbranch_execz .LBB8_12
.LBB8_15:                               ;   in Loop: Header=BB8_4 Depth=1
	v_dual_add_f32 v8, s6, v10 :: v_dual_add_f32 v9, s7, v11
	v_add_co_u32 v10, s0, s5, v25
	s_delay_alu instid0(VALU_DEP_1)
	v_add_co_ci_u32_e64 v11, null, s18, 0, s0
	global_store_b64 v[10:11], v[8:9], off offset:-4
	s_or_b32 exec_lo, exec_lo, s21
	s_and_saveexec_b32 s0, s1
	s_cbranch_execz .LBB8_13
.LBB8_16:                               ;   in Loop: Header=BB8_4 Depth=1
	v_add_co_u32 v8, vcc_lo, s5, v22
	v_dual_add_f32 v6, s6, v6 :: v_dual_add_f32 v7, s7, v7
	v_add_co_ci_u32_e32 v9, vcc_lo, s18, v21, vcc_lo
	global_store_b64 v[8:9], v[6:7], off offset:-4
	s_or_b32 exec_lo, exec_lo, s0
	s_and_saveexec_b32 s0, s4
	s_cbranch_execz .LBB8_3
.LBB8_17:                               ;   in Loop: Header=BB8_4 Depth=1
	ds_load_b64 v[6:7], v14
	s_waitcnt lgkmcnt(0)
	global_store_b64 v[12:13], v[6:7], off
	s_branch .LBB8_3
.LBB8_18:
	s_cbranch_execz .LBB8_20
	s_branch .LBB8_23
.LBB8_19:
.LBB8_20:
	v_dual_mov_b32 v1, 0 :: v_dual_lshlrev_b32 v0, 2, v15
	s_mov_b32 s4, 0
	s_mov_b32 s0, exec_lo
	s_delay_alu instid0(VALU_DEP_1)
	v_cmpx_gt_i64_e64 s[8:9], v[0:1]
	s_cbranch_execz .LBB8_23
; %bb.21:
	s_load_b32 s0, s[2:3], 0xf54
	v_lshlrev_b32_e32 v2, 5, v15
	s_waitcnt lgkmcnt(0)
	s_and_b32 s0, s0, 0xffff
	s_delay_alu instid0(SALU_CYCLE_1)
	s_lshl_b32 s2, s0, 2
	s_add_u32 s1, s10, s12
	s_addc_u32 s3, s11, s13
	v_add_co_u32 v2, s1, s1, v2
	v_add_lshl_u32 v0, v15, s0, 2
	v_add_co_ci_u32_e64 v3, null, s3, 0, s1
	s_lshl_b32 s3, s0, 5
	s_set_inst_prefetch_distance 0x1
	.p2align	6
.LBB8_22:                               ; =>This Inner Loop Header: Depth=1
	s_clause 0x1
	global_load_b128 v[4:7], v[2:3], off
	global_load_b128 v[8:11], v[2:3], off offset:16
	v_cmp_le_i64_e32 vcc_lo, s[8:9], v[0:1]
	v_cmp_lt_u64_e64 s0, 0xffff, v[0:1]
	v_add_co_u32 v0, s1, v0, s2
	s_delay_alu instid0(VALU_DEP_1) | instskip(NEXT) | instid1(VALU_DEP_3)
	v_add_co_ci_u32_e64 v1, s1, 0, v1, s1
	s_or_b32 s0, vcc_lo, s0
	s_delay_alu instid0(SALU_CYCLE_1) | instskip(NEXT) | instid1(SALU_CYCLE_1)
	s_and_b32 s0, exec_lo, s0
	s_or_b32 s4, s0, s4
	s_waitcnt vmcnt(1)
	v_dual_add_f32 v4, s6, v4 :: v_dual_add_f32 v5, s7, v5
	v_dual_add_f32 v6, s6, v6 :: v_dual_add_f32 v7, s7, v7
	s_waitcnt vmcnt(0)
	v_dual_add_f32 v8, s6, v8 :: v_dual_add_f32 v9, s7, v9
	v_dual_add_f32 v10, s6, v10 :: v_dual_add_f32 v11, s7, v11
	s_clause 0x1
	global_store_b128 v[2:3], v[4:7], off
	global_store_b128 v[2:3], v[8:11], off offset:16
	v_add_co_u32 v2, vcc_lo, v2, s3
	v_add_co_ci_u32_e32 v3, vcc_lo, 0, v3, vcc_lo
	ds_store_b64 v14, v[10:11]
	s_and_not1_b32 exec_lo, exec_lo, s4
	s_cbranch_execnz .LBB8_22
.LBB8_23:
	s_set_inst_prefetch_distance 0x2
	s_nop 0
	s_sendmsg sendmsg(MSG_DEALLOC_VGPRS)
	s_endpgm
	.section	.rodata,"a",@progbits
	.p2align	6, 0x0
	.amdhsa_kernel _ZN2at6native12_GLOBAL__N_125multi_tensor_apply_kernelINS1_28TensorListScalarListMetadataIN3c107complexIfEELi1EEENS1_25BinaryOpScalarListFunctorIS6_Li1ELi1ELi0EEEJSt4plusIS6_EEEEvT_T0_DpT1_
		.amdhsa_group_segment_fixed_size 4096
		.amdhsa_private_segment_fixed_size 0
		.amdhsa_kernarg_size 4168
		.amdhsa_user_sgpr_count 15
		.amdhsa_user_sgpr_dispatch_ptr 1
		.amdhsa_user_sgpr_queue_ptr 0
		.amdhsa_user_sgpr_kernarg_segment_ptr 1
		.amdhsa_user_sgpr_dispatch_id 0
		.amdhsa_user_sgpr_private_segment_size 0
		.amdhsa_wavefront_size32 1
		.amdhsa_uses_dynamic_stack 0
		.amdhsa_enable_private_segment 0
		.amdhsa_system_sgpr_workgroup_id_x 1
		.amdhsa_system_sgpr_workgroup_id_y 0
		.amdhsa_system_sgpr_workgroup_id_z 0
		.amdhsa_system_sgpr_workgroup_info 0
		.amdhsa_system_vgpr_workitem_id 2
		.amdhsa_next_free_vgpr 28
		.amdhsa_next_free_sgpr 23
		.amdhsa_reserve_vcc 1
		.amdhsa_float_round_mode_32 0
		.amdhsa_float_round_mode_16_64 0
		.amdhsa_float_denorm_mode_32 3
		.amdhsa_float_denorm_mode_16_64 3
		.amdhsa_dx10_clamp 1
		.amdhsa_ieee_mode 1
		.amdhsa_fp16_overflow 0
		.amdhsa_workgroup_processor_mode 1
		.amdhsa_memory_ordered 1
		.amdhsa_forward_progress 0
		.amdhsa_shared_vgpr_count 0
		.amdhsa_exception_fp_ieee_invalid_op 0
		.amdhsa_exception_fp_denorm_src 0
		.amdhsa_exception_fp_ieee_div_zero 0
		.amdhsa_exception_fp_ieee_overflow 0
		.amdhsa_exception_fp_ieee_underflow 0
		.amdhsa_exception_fp_ieee_inexact 0
		.amdhsa_exception_int_div_zero 0
	.end_amdhsa_kernel
	.section	.text._ZN2at6native12_GLOBAL__N_125multi_tensor_apply_kernelINS1_28TensorListScalarListMetadataIN3c107complexIfEELi1EEENS1_25BinaryOpScalarListFunctorIS6_Li1ELi1ELi0EEEJSt4plusIS6_EEEEvT_T0_DpT1_,"axG",@progbits,_ZN2at6native12_GLOBAL__N_125multi_tensor_apply_kernelINS1_28TensorListScalarListMetadataIN3c107complexIfEELi1EEENS1_25BinaryOpScalarListFunctorIS6_Li1ELi1ELi0EEEJSt4plusIS6_EEEEvT_T0_DpT1_,comdat
.Lfunc_end8:
	.size	_ZN2at6native12_GLOBAL__N_125multi_tensor_apply_kernelINS1_28TensorListScalarListMetadataIN3c107complexIfEELi1EEENS1_25BinaryOpScalarListFunctorIS6_Li1ELi1ELi0EEEJSt4plusIS6_EEEEvT_T0_DpT1_, .Lfunc_end8-_ZN2at6native12_GLOBAL__N_125multi_tensor_apply_kernelINS1_28TensorListScalarListMetadataIN3c107complexIfEELi1EEENS1_25BinaryOpScalarListFunctorIS6_Li1ELi1ELi0EEEJSt4plusIS6_EEEEvT_T0_DpT1_
                                        ; -- End function
	.section	.AMDGPU.csdata,"",@progbits
; Kernel info:
; codeLenInByte = 1320
; NumSgprs: 25
; NumVgprs: 28
; ScratchSize: 0
; MemoryBound: 0
; FloatMode: 240
; IeeeMode: 1
; LDSByteSize: 4096 bytes/workgroup (compile time only)
; SGPRBlocks: 3
; VGPRBlocks: 3
; NumSGPRsForWavesPerEU: 25
; NumVGPRsForWavesPerEU: 28
; Occupancy: 16
; WaveLimiterHint : 1
; COMPUTE_PGM_RSRC2:SCRATCH_EN: 0
; COMPUTE_PGM_RSRC2:USER_SGPR: 15
; COMPUTE_PGM_RSRC2:TRAP_HANDLER: 0
; COMPUTE_PGM_RSRC2:TGID_X_EN: 1
; COMPUTE_PGM_RSRC2:TGID_Y_EN: 0
; COMPUTE_PGM_RSRC2:TGID_Z_EN: 0
; COMPUTE_PGM_RSRC2:TIDIG_COMP_CNT: 2
	.section	.text._ZN2at6native12_GLOBAL__N_125multi_tensor_apply_kernelINS1_28TensorListScalarListMetadataIbLi1EEENS1_25BinaryOpScalarListFunctorIbLi1ELi1ELi0EEEJSt4plusIbEEEEvT_T0_DpT1_,"axG",@progbits,_ZN2at6native12_GLOBAL__N_125multi_tensor_apply_kernelINS1_28TensorListScalarListMetadataIbLi1EEENS1_25BinaryOpScalarListFunctorIbLi1ELi1ELi0EEEJSt4plusIbEEEEvT_T0_DpT1_,comdat
	.globl	_ZN2at6native12_GLOBAL__N_125multi_tensor_apply_kernelINS1_28TensorListScalarListMetadataIbLi1EEENS1_25BinaryOpScalarListFunctorIbLi1ELi1ELi0EEEJSt4plusIbEEEEvT_T0_DpT1_ ; -- Begin function _ZN2at6native12_GLOBAL__N_125multi_tensor_apply_kernelINS1_28TensorListScalarListMetadataIbLi1EEENS1_25BinaryOpScalarListFunctorIbLi1ELi1ELi0EEEJSt4plusIbEEEEvT_T0_DpT1_
	.p2align	8
	.type	_ZN2at6native12_GLOBAL__N_125multi_tensor_apply_kernelINS1_28TensorListScalarListMetadataIbLi1EEENS1_25BinaryOpScalarListFunctorIbLi1ELi1ELi0EEEJSt4plusIbEEEEvT_T0_DpT1_,@function
_ZN2at6native12_GLOBAL__N_125multi_tensor_apply_kernelINS1_28TensorListScalarListMetadataIbLi1EEENS1_25BinaryOpScalarListFunctorIbLi1ELi1ELi0EEEJSt4plusIbEEEEvT_T0_DpT1_: ; @_ZN2at6native12_GLOBAL__N_125multi_tensor_apply_kernelINS1_28TensorListScalarListMetadataIbLi1EEENS1_25BinaryOpScalarListFunctorIbLi1ELi1ELi0EEEJSt4plusIbEEEEvT_T0_DpT1_
; %bb.0:
	v_mov_b32_e32 v1, s15
	s_mul_i32 s4, s15, 3
	s_mul_hi_u32 s5, s15, 3
	global_load_u8 v3, v1, s[0:1] offset:1632
	s_waitcnt vmcnt(0)
	v_add_co_u32 v1, s2, s0, v3
	s_delay_alu instid0(VALU_DEP_1)
	v_add_co_ci_u32_e64 v2, null, s1, 0, s2
	s_add_u32 s2, s0, s15
	s_addc_u32 s3, s1, 0
	s_add_u32 s2, s2, s4
	global_load_u8 v2, v[1:2], off offset:1536
	v_readfirstlane_b32 s6, v3
	s_addc_u32 s3, s3, s5
	s_load_b32 s4, s[2:3], 0x7a0
	s_delay_alu instid0(VALU_DEP_1)
	s_lshl_b32 s5, s6, 3
	s_clause 0x1
	s_load_b64 s[2:3], s[0:1], s5 offset:0x0
	s_load_b64 s[8:9], s[0:1], s5 offset:0x300
	s_waitcnt lgkmcnt(0)
	s_ashr_i32 s5, s4, 31
	s_delay_alu instid0(SALU_CYCLE_1) | instskip(NEXT) | instid1(SALU_CYCLE_1)
	s_lshl_b64 s[4:5], s[4:5], 16
	s_add_u32 s12, s2, s4
	s_addc_u32 s13, s3, s5
	s_sub_u32 s6, s8, s4
	s_subb_u32 s7, s9, s5
	s_or_b32 s8, s8, s12
	s_delay_alu instid0(SALU_CYCLE_1) | instskip(NEXT) | instid1(SALU_CYCLE_1)
	s_and_b32 s8, s8, 3
	s_cmp_eq_u32 s8, 0
	s_cbranch_scc1 .LBB9_21
; %bb.1:
	v_cmp_lt_i64_e64 s8, s[6:7], 1
	s_delay_alu instid0(VALU_DEP_1)
	s_and_b32 vcc_lo, exec_lo, s8
	s_cbranch_vccnz .LBB9_20
; %bb.2:
	s_load_b32 s8, s[0:1], 0xcb4
	v_add_co_u32 v12, s9, s4, v0
	s_delay_alu instid0(VALU_DEP_1) | instskip(SKIP_1) | instid1(VALU_DEP_3)
	v_add_co_ci_u32_e64 v13, null, s5, 0, s9
	v_cmp_gt_u64_e64 s9, 0x10000, s[6:7]
	v_add_co_u32 v1, vcc_lo, s2, v12
	s_delay_alu instid0(VALU_DEP_3) | instskip(SKIP_2) | instid1(VALU_DEP_3)
	v_add_co_ci_u32_e32 v3, vcc_lo, s3, v13, vcc_lo
	s_waitcnt lgkmcnt(0)
	s_and_b32 s10, s8, 0xffff
	s_and_b32 s8, s9, exec_lo
	s_mul_i32 s15, s10, 3
	s_cselect_b32 s9, s7, 0
	s_cselect_b32 s8, s6, 0x10000
	s_lshl_b32 s11, s10, 1
	s_lshl_b32 s14, s10, 2
	s_add_u32 s16, s4, s15
	v_add_co_u32 v4, s15, s15, v0
	s_delay_alu instid0(VALU_DEP_1)
	v_add_co_ci_u32_e64 v5, null, 0, 0, s15
	s_addc_u32 s15, s5, 0
	s_add_u32 s16, s2, s16
	s_addc_u32 s15, s3, s15
	s_add_u32 s4, s4, s11
	;; [unrolled: 2-line block ×3, first 2 shown]
	s_addc_u32 s5, s3, s5
	v_add_co_u32 v8, s4, s4, v0
	s_add_u32 s2, s2, s10
	v_add_co_u32 v6, s16, s16, v0
	v_add_co_ci_u32_e64 v9, null, s5, 0, s4
	v_add_co_u32 v10, s4, s11, v0
	s_addc_u32 s3, s3, 0
	v_add_co_u32 v12, vcc_lo, s2, v12
	v_add_co_u32 v14, s2, v0, s10
	v_add_co_ci_u32_e64 v7, null, s15, 0, s16
	v_add_co_ci_u32_e64 v11, null, 0, 0, s4
	v_add_co_ci_u32_e32 v13, vcc_lo, s3, v13, vcc_lo
	v_add_co_ci_u32_e64 v15, null, 0, 0, s2
	s_mov_b64 s[10:11], 0
	s_branch .LBB9_4
.LBB9_3:                                ;   in Loop: Header=BB9_4 Depth=1
	s_or_b32 exec_lo, exec_lo, s2
	s_add_u32 s10, s10, s14
	s_addc_u32 s11, s11, 0
	s_delay_alu instid0(SALU_CYCLE_1) | instskip(SKIP_1) | instid1(VALU_DEP_1)
	v_cmp_lt_i64_e64 s2, s[10:11], s[6:7]
	v_cmp_gt_u64_e64 s3, 0x10000, s[10:11]
	s_and_b32 s2, s2, s3
	s_delay_alu instid0(SALU_CYCLE_1)
	s_and_b32 vcc_lo, exec_lo, s2
	s_cbranch_vccz .LBB9_20
.LBB9_4:                                ; =>This Inner Loop Header: Depth=1
	s_waitcnt vmcnt(0)
	v_add_co_u32 v16, s2, v0, s10
	s_delay_alu instid0(VALU_DEP_1) | instskip(NEXT) | instid1(VALU_DEP_1)
	v_add_co_ci_u32_e64 v17, null, 0, s11, s2
	v_cmp_gt_u64_e32 vcc_lo, s[8:9], v[16:17]
	v_mov_b32_e32 v16, 0
	s_and_saveexec_b32 s3, vcc_lo
	s_cbranch_execz .LBB9_6
; %bb.5:                                ;   in Loop: Header=BB9_4 Depth=1
	v_add_co_u32 v16, s2, v1, s10
	s_delay_alu instid0(VALU_DEP_1)
	v_add_co_ci_u32_e64 v17, s2, s11, v3, s2
	global_load_u8 v16, v[16:17], off
.LBB9_6:                                ;   in Loop: Header=BB9_4 Depth=1
	s_or_b32 exec_lo, exec_lo, s3
	v_add_co_u32 v17, s2, v14, s10
	s_delay_alu instid0(VALU_DEP_1) | instskip(NEXT) | instid1(VALU_DEP_1)
	v_add_co_ci_u32_e64 v18, s2, s11, v15, s2
	v_cmp_gt_u64_e64 s2, s[8:9], v[17:18]
	v_mov_b32_e32 v18, 0
	s_delay_alu instid0(VALU_DEP_2)
	s_and_saveexec_b32 s4, s2
	s_cbranch_execz .LBB9_8
; %bb.7:                                ;   in Loop: Header=BB9_4 Depth=1
	v_add_co_u32 v17, s3, v12, s10
	s_delay_alu instid0(VALU_DEP_1)
	v_add_co_ci_u32_e64 v18, s3, s11, v13, s3
	global_load_u8 v18, v[17:18], off
.LBB9_8:                                ;   in Loop: Header=BB9_4 Depth=1
	s_or_b32 exec_lo, exec_lo, s4
	v_add_co_u32 v19, s3, v10, s10
	s_delay_alu instid0(VALU_DEP_1) | instskip(SKIP_1) | instid1(VALU_DEP_2)
	v_add_co_ci_u32_e64 v20, s3, s11, v11, s3
	v_mov_b32_e32 v17, 0
	v_cmp_gt_u64_e64 s3, s[8:9], v[19:20]
	v_mov_b32_e32 v19, 0
	s_delay_alu instid0(VALU_DEP_2)
	s_and_saveexec_b32 s5, s3
	s_cbranch_execz .LBB9_10
; %bb.9:                                ;   in Loop: Header=BB9_4 Depth=1
	v_add_co_u32 v19, s4, v8, s10
	s_delay_alu instid0(VALU_DEP_1)
	v_add_co_ci_u32_e64 v20, s4, s11, v9, s4
	global_load_u8 v19, v[19:20], off
.LBB9_10:                               ;   in Loop: Header=BB9_4 Depth=1
	s_or_b32 exec_lo, exec_lo, s5
	v_add_co_u32 v20, s4, v4, s10
	s_delay_alu instid0(VALU_DEP_1) | instskip(NEXT) | instid1(VALU_DEP_1)
	v_add_co_ci_u32_e64 v21, s4, s11, v5, s4
	v_cmp_gt_u64_e64 s4, s[8:9], v[20:21]
	s_delay_alu instid0(VALU_DEP_1)
	s_and_saveexec_b32 s15, s4
	s_cbranch_execnz .LBB9_15
; %bb.11:                               ;   in Loop: Header=BB9_4 Depth=1
	s_or_b32 exec_lo, exec_lo, s15
	s_and_saveexec_b32 s5, vcc_lo
	s_cbranch_execnz .LBB9_16
.LBB9_12:                               ;   in Loop: Header=BB9_4 Depth=1
	s_or_b32 exec_lo, exec_lo, s5
	s_and_saveexec_b32 s5, s2
	s_cbranch_execnz .LBB9_17
.LBB9_13:                               ;   in Loop: Header=BB9_4 Depth=1
	s_or_b32 exec_lo, exec_lo, s5
	s_and_saveexec_b32 s2, s3
	s_cbranch_execnz .LBB9_18
.LBB9_14:                               ;   in Loop: Header=BB9_4 Depth=1
	s_or_b32 exec_lo, exec_lo, s2
	s_and_saveexec_b32 s2, s4
	s_cbranch_execz .LBB9_3
	s_branch .LBB9_19
.LBB9_15:                               ;   in Loop: Header=BB9_4 Depth=1
	v_add_co_u32 v20, s5, v6, s10
	s_delay_alu instid0(VALU_DEP_1)
	v_add_co_ci_u32_e64 v21, s5, s11, v7, s5
	global_load_u8 v17, v[20:21], off
	s_or_b32 exec_lo, exec_lo, s15
	s_and_saveexec_b32 s5, vcc_lo
	s_cbranch_execz .LBB9_12
.LBB9_16:                               ;   in Loop: Header=BB9_4 Depth=1
	v_add_co_u32 v20, vcc_lo, v1, s10
	s_waitcnt vmcnt(0)
	v_or_b32_e32 v16, v16, v2
	v_add_co_ci_u32_e32 v21, vcc_lo, s11, v3, vcc_lo
	global_store_b8 v[20:21], v16, off
	s_or_b32 exec_lo, exec_lo, s5
	s_and_saveexec_b32 s5, s2
	s_cbranch_execz .LBB9_13
.LBB9_17:                               ;   in Loop: Header=BB9_4 Depth=1
	v_add_co_u32 v20, vcc_lo, v12, s10
	s_waitcnt vmcnt(0)
	v_or_b32_e32 v16, v18, v2
	v_add_co_ci_u32_e32 v21, vcc_lo, s11, v13, vcc_lo
	global_store_b8 v[20:21], v16, off
	s_or_b32 exec_lo, exec_lo, s5
	s_and_saveexec_b32 s2, s3
	s_cbranch_execz .LBB9_14
.LBB9_18:                               ;   in Loop: Header=BB9_4 Depth=1
	s_waitcnt vmcnt(0)
	v_add_co_u32 v18, vcc_lo, v8, s10
	v_or_b32_e32 v16, v19, v2
	v_add_co_ci_u32_e32 v19, vcc_lo, s11, v9, vcc_lo
	global_store_b8 v[18:19], v16, off
	s_or_b32 exec_lo, exec_lo, s2
	s_and_saveexec_b32 s2, s4
	s_cbranch_execz .LBB9_3
.LBB9_19:                               ;   in Loop: Header=BB9_4 Depth=1
	s_waitcnt vmcnt(0)
	v_add_co_u32 v16, vcc_lo, v6, s10
	v_or_b32_e32 v18, v17, v2
	v_add_co_ci_u32_e32 v17, vcc_lo, s11, v7, vcc_lo
	global_store_b8 v[16:17], v18, off
	s_branch .LBB9_3
.LBB9_20:
	s_cbranch_execz .LBB9_22
	s_branch .LBB9_25
.LBB9_21:
.LBB9_22:
	v_dual_mov_b32 v1, 0 :: v_dual_lshlrev_b32 v0, 2, v0
	s_mov_b32 s2, exec_lo
	s_delay_alu instid0(VALU_DEP_1)
	v_cmpx_gt_i64_e64 s[6:7], v[0:1]
	s_cbranch_execz .LBB9_25
; %bb.23:
	s_load_b32 s0, s[0:1], 0xcb4
	s_mov_b32 s2, 0
	s_waitcnt lgkmcnt(0)
	s_and_b32 s0, s0, 0xffff
	s_delay_alu instid0(SALU_CYCLE_1)
	s_lshl_b32 s1, s0, 2
	s_set_inst_prefetch_distance 0x1
	.p2align	6
.LBB9_24:                               ; =>This Inner Loop Header: Depth=1
	v_add_co_u32 v3, vcc_lo, s12, v0
	v_add_co_ci_u32_e32 v4, vcc_lo, s13, v1, vcc_lo
	v_add_co_u32 v0, vcc_lo, s1, v0
	v_add_co_ci_u32_e32 v1, vcc_lo, 0, v1, vcc_lo
	global_load_b32 v5, v[3:4], off
	v_cmp_le_i64_e32 vcc_lo, s[6:7], v[0:1]
	v_cmp_lt_u64_e64 s0, 0xffff, v[0:1]
	s_delay_alu instid0(VALU_DEP_1) | instskip(NEXT) | instid1(SALU_CYCLE_1)
	s_or_b32 s0, vcc_lo, s0
	s_and_b32 s0, exec_lo, s0
	s_delay_alu instid0(SALU_CYCLE_1)
	s_or_b32 s2, s0, s2
	s_waitcnt vmcnt(0)
	v_lshrrev_b32_e32 v6, 16, v5
	v_lshrrev_b32_e32 v7, 8, v5
	;; [unrolled: 1-line block ×3, first 2 shown]
	v_or_b32_e32 v5, v2, v5
	s_delay_alu instid0(VALU_DEP_4) | instskip(NEXT) | instid1(VALU_DEP_4)
	v_or_b32_e32 v6, v2, v6
	v_or_b32_e32 v7, v2, v7
	s_delay_alu instid0(VALU_DEP_4) | instskip(NEXT) | instid1(VALU_DEP_4)
	v_or_b32_e32 v8, v2, v8
	v_and_b32_e32 v5, 0xff, v5
	s_delay_alu instid0(VALU_DEP_4) | instskip(NEXT) | instid1(VALU_DEP_4)
	v_and_b32_e32 v6, 0xff, v6
	v_and_b32_e32 v7, 0xff, v7
	s_delay_alu instid0(VALU_DEP_2) | instskip(NEXT) | instid1(VALU_DEP_2)
	v_lshlrev_b32_e32 v6, 16, v6
	v_lshlrev_b32_e32 v7, 8, v7
	s_delay_alu instid0(VALU_DEP_2) | instskip(NEXT) | instid1(VALU_DEP_1)
	v_lshl_or_b32 v6, v8, 24, v6
	v_or3_b32 v5, v6, v7, v5
	global_store_b32 v[3:4], v5, off
	s_and_not1_b32 exec_lo, exec_lo, s2
	s_cbranch_execnz .LBB9_24
.LBB9_25:
	s_set_inst_prefetch_distance 0x2
	s_nop 0
	s_sendmsg sendmsg(MSG_DEALLOC_VGPRS)
	s_endpgm
	.section	.rodata,"a",@progbits
	.p2align	6, 0x0
	.amdhsa_kernel _ZN2at6native12_GLOBAL__N_125multi_tensor_apply_kernelINS1_28TensorListScalarListMetadataIbLi1EEENS1_25BinaryOpScalarListFunctorIbLi1ELi1ELi0EEEJSt4plusIbEEEEvT_T0_DpT1_
		.amdhsa_group_segment_fixed_size 0
		.amdhsa_private_segment_fixed_size 0
		.amdhsa_kernarg_size 3496
		.amdhsa_user_sgpr_count 15
		.amdhsa_user_sgpr_dispatch_ptr 0
		.amdhsa_user_sgpr_queue_ptr 0
		.amdhsa_user_sgpr_kernarg_segment_ptr 1
		.amdhsa_user_sgpr_dispatch_id 0
		.amdhsa_user_sgpr_private_segment_size 0
		.amdhsa_wavefront_size32 1
		.amdhsa_uses_dynamic_stack 0
		.amdhsa_enable_private_segment 0
		.amdhsa_system_sgpr_workgroup_id_x 1
		.amdhsa_system_sgpr_workgroup_id_y 0
		.amdhsa_system_sgpr_workgroup_id_z 0
		.amdhsa_system_sgpr_workgroup_info 0
		.amdhsa_system_vgpr_workitem_id 0
		.amdhsa_next_free_vgpr 22
		.amdhsa_next_free_sgpr 17
		.amdhsa_reserve_vcc 1
		.amdhsa_float_round_mode_32 0
		.amdhsa_float_round_mode_16_64 0
		.amdhsa_float_denorm_mode_32 3
		.amdhsa_float_denorm_mode_16_64 3
		.amdhsa_dx10_clamp 1
		.amdhsa_ieee_mode 1
		.amdhsa_fp16_overflow 0
		.amdhsa_workgroup_processor_mode 1
		.amdhsa_memory_ordered 1
		.amdhsa_forward_progress 0
		.amdhsa_shared_vgpr_count 0
		.amdhsa_exception_fp_ieee_invalid_op 0
		.amdhsa_exception_fp_denorm_src 0
		.amdhsa_exception_fp_ieee_div_zero 0
		.amdhsa_exception_fp_ieee_overflow 0
		.amdhsa_exception_fp_ieee_underflow 0
		.amdhsa_exception_fp_ieee_inexact 0
		.amdhsa_exception_int_div_zero 0
	.end_amdhsa_kernel
	.section	.text._ZN2at6native12_GLOBAL__N_125multi_tensor_apply_kernelINS1_28TensorListScalarListMetadataIbLi1EEENS1_25BinaryOpScalarListFunctorIbLi1ELi1ELi0EEEJSt4plusIbEEEEvT_T0_DpT1_,"axG",@progbits,_ZN2at6native12_GLOBAL__N_125multi_tensor_apply_kernelINS1_28TensorListScalarListMetadataIbLi1EEENS1_25BinaryOpScalarListFunctorIbLi1ELi1ELi0EEEJSt4plusIbEEEEvT_T0_DpT1_,comdat
.Lfunc_end9:
	.size	_ZN2at6native12_GLOBAL__N_125multi_tensor_apply_kernelINS1_28TensorListScalarListMetadataIbLi1EEENS1_25BinaryOpScalarListFunctorIbLi1ELi1ELi0EEEJSt4plusIbEEEEvT_T0_DpT1_, .Lfunc_end9-_ZN2at6native12_GLOBAL__N_125multi_tensor_apply_kernelINS1_28TensorListScalarListMetadataIbLi1EEENS1_25BinaryOpScalarListFunctorIbLi1ELi1ELi0EEEJSt4plusIbEEEEvT_T0_DpT1_
                                        ; -- End function
	.section	.AMDGPU.csdata,"",@progbits
; Kernel info:
; codeLenInByte = 1256
; NumSgprs: 19
; NumVgprs: 22
; ScratchSize: 0
; MemoryBound: 0
; FloatMode: 240
; IeeeMode: 1
; LDSByteSize: 0 bytes/workgroup (compile time only)
; SGPRBlocks: 2
; VGPRBlocks: 2
; NumSGPRsForWavesPerEU: 19
; NumVGPRsForWavesPerEU: 22
; Occupancy: 16
; WaveLimiterHint : 0
; COMPUTE_PGM_RSRC2:SCRATCH_EN: 0
; COMPUTE_PGM_RSRC2:USER_SGPR: 15
; COMPUTE_PGM_RSRC2:TRAP_HANDLER: 0
; COMPUTE_PGM_RSRC2:TGID_X_EN: 1
; COMPUTE_PGM_RSRC2:TGID_Y_EN: 0
; COMPUTE_PGM_RSRC2:TGID_Z_EN: 0
; COMPUTE_PGM_RSRC2:TIDIG_COMP_CNT: 0
	.section	.text._ZN2at6native12_GLOBAL__N_125multi_tensor_apply_kernelINS1_28TensorListScalarListMetadataIfLi1EEENS1_25BinaryOpScalarListFunctorIN3c104HalfELi1ELi1ELi0EEEJSt4plusIfEEEEvT_T0_DpT1_,"axG",@progbits,_ZN2at6native12_GLOBAL__N_125multi_tensor_apply_kernelINS1_28TensorListScalarListMetadataIfLi1EEENS1_25BinaryOpScalarListFunctorIN3c104HalfELi1ELi1ELi0EEEJSt4plusIfEEEEvT_T0_DpT1_,comdat
	.globl	_ZN2at6native12_GLOBAL__N_125multi_tensor_apply_kernelINS1_28TensorListScalarListMetadataIfLi1EEENS1_25BinaryOpScalarListFunctorIN3c104HalfELi1ELi1ELi0EEEJSt4plusIfEEEEvT_T0_DpT1_ ; -- Begin function _ZN2at6native12_GLOBAL__N_125multi_tensor_apply_kernelINS1_28TensorListScalarListMetadataIfLi1EEENS1_25BinaryOpScalarListFunctorIN3c104HalfELi1ELi1ELi0EEEJSt4plusIfEEEEvT_T0_DpT1_
	.p2align	8
	.type	_ZN2at6native12_GLOBAL__N_125multi_tensor_apply_kernelINS1_28TensorListScalarListMetadataIfLi1EEENS1_25BinaryOpScalarListFunctorIN3c104HalfELi1ELi1ELi0EEEJSt4plusIfEEEEvT_T0_DpT1_,@function
_ZN2at6native12_GLOBAL__N_125multi_tensor_apply_kernelINS1_28TensorListScalarListMetadataIfLi1EEENS1_25BinaryOpScalarListFunctorIN3c104HalfELi1ELi1ELi0EEEJSt4plusIfEEEEvT_T0_DpT1_: ; @_ZN2at6native12_GLOBAL__N_125multi_tensor_apply_kernelINS1_28TensorListScalarListMetadataIfLi1EEENS1_25BinaryOpScalarListFunctorIN3c104HalfELi1ELi1ELi0EEEJSt4plusIfEEEEvT_T0_DpT1_
; %bb.0:
	v_mov_b32_e32 v1, s15
	s_add_u32 s2, s0, s15
	s_mul_i32 s3, s15, 3
	s_mul_hi_u32 s4, s15, 3
	s_addc_u32 s5, s1, 0
	global_load_u8 v1, v1, s[0:1] offset:1920
	s_add_u32 s2, s2, s3
	s_addc_u32 s3, s5, s4
	s_load_b32 s2, s[2:3], 0x8c0
	s_waitcnt vmcnt(0)
	v_readfirstlane_b32 s3, v1
	v_lshlrev_b32_e32 v1, 2, v1
	s_delay_alu instid0(VALU_DEP_2)
	s_lshl_b32 s6, s3, 3
	s_waitcnt lgkmcnt(0)
	s_ashr_i32 s3, s2, 31
	s_clause 0x1
	s_load_b64 s[4:5], s[0:1], s6 offset:0x300
	s_load_b64 s[8:9], s[0:1], s6 offset:0x0
	s_add_u32 s6, s0, s6
	s_addc_u32 s7, s1, 0
	v_sub_co_u32 v1, s6, s6, v1
	s_delay_alu instid0(VALU_DEP_1) | instskip(SKIP_1) | instid1(VALU_DEP_2)
	v_sub_co_ci_u32_e64 v2, null, s7, 0, s6
	s_lshl_b64 s[10:11], s[2:3], 17
	v_readfirstlane_b32 s6, v1
	s_lshl_b64 s[2:3], s[2:3], 16
	s_delay_alu instid0(VALU_DEP_2)
	v_readfirstlane_b32 s7, v2
	s_load_b32 s16, s[6:7], 0x600
	s_waitcnt lgkmcnt(0)
	s_and_b32 s12, s8, 7
	s_sub_u32 s6, s4, s2
	s_subb_u32 s7, s5, s3
	s_and_b32 s2, s4, 3
	s_mov_b32 s3, 0
	s_or_b32 s2, s12, s2
	s_delay_alu instid0(SALU_CYCLE_1)
	s_cmp_eq_u64 s[2:3], 0
	s_cbranch_scc1 .LBB10_21
; %bb.1:
	v_cmp_lt_i64_e64 s2, s[6:7], 1
	s_delay_alu instid0(VALU_DEP_1)
	s_and_b32 vcc_lo, exec_lo, s2
	s_cbranch_vccnz .LBB10_20
; %bb.2:
	s_load_b32 s2, s[0:1], 0xdd4
	v_cmp_gt_u64_e64 s3, 0x10000, s[6:7]
	v_lshlrev_b32_e32 v1, 1, v0
	s_waitcnt lgkmcnt(0)
	s_and_b32 s2, s2, 0xffff
	s_delay_alu instid0(VALU_DEP_2)
	s_and_b32 s3, s3, exec_lo
	v_add_co_u32 v5, s5, v0, s2
	s_cselect_b32 s13, s7, 0
	s_cselect_b32 s12, s6, 0x10000
	s_lshl_b32 s3, s2, 1
	s_lshl_b32 s17, s2, 2
	v_lshlrev_b32_e32 v3, 1, v5
	v_add_co_ci_u32_e64 v6, null, 0, 0, s5
	s_add_u32 s5, s8, s10
	v_add_co_u32 v9, s3, s3, v0
	s_mul_i32 s4, s2, 3
	s_addc_u32 s14, s9, s11
	v_add_co_ci_u32_e64 v10, null, 0, 0, s3
	v_add_co_u32 v1, s3, s5, v1
	v_add_co_u32 v7, s4, s4, v0
	v_add_co_ci_u32_e64 v2, null, s14, 0, s3
	v_add_co_u32 v3, s3, s5, v3
	v_add_co_ci_u32_e64 v8, null, 0, 0, s4
	v_add_co_ci_u32_e64 v4, null, s14, 0, s3
	s_lshl_b32 s18, s2, 3
	s_mul_i32 s19, s2, 6
	s_mov_b64 s[14:15], 0
	s_branch .LBB10_4
.LBB10_3:                               ;   in Loop: Header=BB10_4 Depth=1
	s_or_b32 exec_lo, exec_lo, s2
	s_add_u32 s14, s14, s17
	s_addc_u32 s15, s15, 0
	v_add_co_u32 v1, vcc_lo, v1, s18
	v_cmp_lt_i64_e64 s2, s[14:15], s[6:7]
	v_cmp_gt_u64_e64 s3, 0x10000, s[14:15]
	v_add_co_ci_u32_e32 v2, vcc_lo, 0, v2, vcc_lo
	v_add_co_u32 v3, vcc_lo, v3, s18
	v_add_co_ci_u32_e32 v4, vcc_lo, 0, v4, vcc_lo
	s_delay_alu instid0(VALU_DEP_4) | instskip(NEXT) | instid1(SALU_CYCLE_1)
	s_and_b32 s2, s2, s3
	s_and_b32 vcc_lo, exec_lo, s2
	s_cbranch_vccz .LBB10_20
.LBB10_4:                               ; =>This Inner Loop Header: Depth=1
	s_waitcnt vmcnt(0)
	v_add_co_u32 v11, s2, v0, s14
	s_delay_alu instid0(VALU_DEP_1) | instskip(NEXT) | instid1(VALU_DEP_1)
	v_add_co_ci_u32_e64 v12, null, 0, s15, s2
	v_cmp_gt_u64_e32 vcc_lo, s[12:13], v[11:12]
	v_mov_b32_e32 v12, 0
	s_and_saveexec_b32 s2, vcc_lo
	s_cbranch_execz .LBB10_6
; %bb.5:                                ;   in Loop: Header=BB10_4 Depth=1
	global_load_u16 v12, v[1:2], off
.LBB10_6:                               ;   in Loop: Header=BB10_4 Depth=1
	s_or_b32 exec_lo, exec_lo, s2
	v_add_co_u32 v13, s2, v5, s14
	s_delay_alu instid0(VALU_DEP_1) | instskip(NEXT) | instid1(VALU_DEP_1)
	v_add_co_ci_u32_e64 v14, s2, s15, v6, s2
	v_cmp_gt_u64_e64 s2, s[12:13], v[13:14]
	v_mov_b32_e32 v13, 0
	s_delay_alu instid0(VALU_DEP_2)
	s_and_saveexec_b32 s3, s2
	s_cbranch_execz .LBB10_8
; %bb.7:                                ;   in Loop: Header=BB10_4 Depth=1
	global_load_u16 v13, v[3:4], off
.LBB10_8:                               ;   in Loop: Header=BB10_4 Depth=1
	s_or_b32 exec_lo, exec_lo, s3
	v_add_co_u32 v14, s3, v9, s14
	s_delay_alu instid0(VALU_DEP_1) | instskip(SKIP_1) | instid1(VALU_DEP_2)
	v_add_co_ci_u32_e64 v15, s3, s15, v10, s3
	v_mov_b32_e32 v11, 0
	v_cmp_gt_u64_e64 s3, s[12:13], v[14:15]
	v_mov_b32_e32 v14, 0
	s_delay_alu instid0(VALU_DEP_2)
	s_and_saveexec_b32 s5, s3
	s_cbranch_execz .LBB10_10
; %bb.9:                                ;   in Loop: Header=BB10_4 Depth=1
	v_add_co_u32 v14, s4, v1, s17
	s_delay_alu instid0(VALU_DEP_1)
	v_add_co_ci_u32_e64 v15, s4, 0, v2, s4
	global_load_u16 v14, v[14:15], off
.LBB10_10:                              ;   in Loop: Header=BB10_4 Depth=1
	s_or_b32 exec_lo, exec_lo, s5
	v_add_co_u32 v15, s4, v7, s14
	s_delay_alu instid0(VALU_DEP_1) | instskip(NEXT) | instid1(VALU_DEP_1)
	v_add_co_ci_u32_e64 v16, s4, s15, v8, s4
	v_cmp_gt_u64_e64 s4, s[12:13], v[15:16]
	s_delay_alu instid0(VALU_DEP_1)
	s_and_saveexec_b32 s20, s4
	s_cbranch_execnz .LBB10_15
; %bb.11:                               ;   in Loop: Header=BB10_4 Depth=1
	s_or_b32 exec_lo, exec_lo, s20
	s_and_saveexec_b32 s5, vcc_lo
	s_cbranch_execnz .LBB10_16
.LBB10_12:                              ;   in Loop: Header=BB10_4 Depth=1
	s_or_b32 exec_lo, exec_lo, s5
	s_and_saveexec_b32 s5, s2
	s_cbranch_execnz .LBB10_17
.LBB10_13:                              ;   in Loop: Header=BB10_4 Depth=1
	s_or_b32 exec_lo, exec_lo, s5
	s_and_saveexec_b32 s2, s3
	s_cbranch_execnz .LBB10_18
.LBB10_14:                              ;   in Loop: Header=BB10_4 Depth=1
	s_or_b32 exec_lo, exec_lo, s2
	s_and_saveexec_b32 s2, s4
	s_cbranch_execz .LBB10_3
	s_branch .LBB10_19
.LBB10_15:                              ;   in Loop: Header=BB10_4 Depth=1
	v_add_co_u32 v15, s5, v1, s19
	s_delay_alu instid0(VALU_DEP_1)
	v_add_co_ci_u32_e64 v16, s5, 0, v2, s5
	global_load_u16 v11, v[15:16], off
	s_or_b32 exec_lo, exec_lo, s20
	s_and_saveexec_b32 s5, vcc_lo
	s_cbranch_execz .LBB10_12
.LBB10_16:                              ;   in Loop: Header=BB10_4 Depth=1
	s_waitcnt vmcnt(0)
	v_cvt_f32_f16_e32 v12, v12
	s_delay_alu instid0(VALU_DEP_1) | instskip(NEXT) | instid1(VALU_DEP_1)
	v_add_f32_e32 v12, s16, v12
	v_cvt_f16_f32_e32 v12, v12
	global_store_b16 v[1:2], v12, off
	s_or_b32 exec_lo, exec_lo, s5
	s_and_saveexec_b32 s5, s2
	s_cbranch_execz .LBB10_13
.LBB10_17:                              ;   in Loop: Header=BB10_4 Depth=1
	s_waitcnt vmcnt(0)
	v_cvt_f32_f16_e32 v12, v13
	s_delay_alu instid0(VALU_DEP_1) | instskip(NEXT) | instid1(VALU_DEP_1)
	v_add_f32_e32 v12, s16, v12
	v_cvt_f16_f32_e32 v12, v12
	global_store_b16 v[3:4], v12, off
	s_or_b32 exec_lo, exec_lo, s5
	s_and_saveexec_b32 s2, s3
	s_cbranch_execz .LBB10_14
.LBB10_18:                              ;   in Loop: Header=BB10_4 Depth=1
	s_waitcnt vmcnt(0)
	v_cvt_f32_f16_e32 v12, v14
	s_delay_alu instid0(VALU_DEP_1) | instskip(NEXT) | instid1(VALU_DEP_1)
	v_add_f32_e32 v12, s16, v12
	v_cvt_f16_f32_e32 v14, v12
	v_add_co_u32 v12, vcc_lo, v1, s17
	v_add_co_ci_u32_e32 v13, vcc_lo, 0, v2, vcc_lo
	global_store_b16 v[12:13], v14, off
	s_or_b32 exec_lo, exec_lo, s2
	s_and_saveexec_b32 s2, s4
	s_cbranch_execz .LBB10_3
.LBB10_19:                              ;   in Loop: Header=BB10_4 Depth=1
	s_waitcnt vmcnt(0)
	v_cvt_f32_f16_e32 v11, v11
	s_delay_alu instid0(VALU_DEP_1) | instskip(NEXT) | instid1(VALU_DEP_1)
	v_add_f32_e32 v11, s16, v11
	v_cvt_f16_f32_e32 v13, v11
	v_add_co_u32 v11, vcc_lo, v1, s19
	v_add_co_ci_u32_e32 v12, vcc_lo, 0, v2, vcc_lo
	global_store_b16 v[11:12], v13, off
	s_branch .LBB10_3
.LBB10_20:
	s_cbranch_execz .LBB10_22
	s_branch .LBB10_25
.LBB10_21:
.LBB10_22:
	v_dual_mov_b32 v2, 0 :: v_dual_lshlrev_b32 v1, 2, v0
	s_mov_b32 s2, 0
	s_mov_b32 s3, exec_lo
	s_delay_alu instid0(VALU_DEP_1)
	v_cmpx_gt_i64_e64 s[6:7], v[1:2]
	s_cbranch_execz .LBB10_25
; %bb.23:
	s_load_b32 s0, s[0:1], 0xdd4
	v_lshlrev_b32_e32 v1, 3, v0
	s_waitcnt lgkmcnt(0)
	s_and_b32 s0, s0, 0xffff
	s_add_u32 s1, s8, s10
	s_addc_u32 s3, s9, s11
	v_add_co_u32 v1, s1, s1, v1
	s_delay_alu instid0(VALU_DEP_1) | instskip(SKIP_1) | instid1(VALU_DEP_2)
	v_add_co_ci_u32_e64 v4, null, s3, 0, s1
	s_mov_b32 s3, s16
	v_add_co_u32 v3, vcc_lo, v1, 4
	s_delay_alu instid0(VALU_DEP_2)
	v_add_co_ci_u32_e32 v4, vcc_lo, 0, v4, vcc_lo
	v_add_lshl_u32 v1, v0, s0, 2
	s_lshl_b32 s4, s0, 3
	s_lshl_b32 s5, s0, 2
	s_set_inst_prefetch_distance 0x1
	.p2align	6
.LBB10_24:                              ; =>This Inner Loop Header: Depth=1
	global_load_b64 v[5:6], v[3:4], off offset:-4
	v_cmp_le_i64_e32 vcc_lo, s[6:7], v[1:2]
	v_cmp_lt_u64_e64 s0, 0xffff, v[1:2]
	v_add_co_u32 v1, s1, v1, s5
	s_delay_alu instid0(VALU_DEP_1) | instskip(NEXT) | instid1(VALU_DEP_3)
	v_add_co_ci_u32_e64 v2, s1, 0, v2, s1
	s_or_b32 s0, vcc_lo, s0
	s_delay_alu instid0(SALU_CYCLE_1) | instskip(NEXT) | instid1(SALU_CYCLE_1)
	s_and_b32 s0, exec_lo, s0
	s_or_b32 s2, s0, s2
	s_waitcnt vmcnt(0)
	v_lshrrev_b32_e32 v0, 16, v6
	v_lshrrev_b32_e32 v7, 16, v5
	v_cvt_f32_f16_e32 v5, v5
	v_cvt_f32_f16_e32 v6, v6
	s_delay_alu instid0(VALU_DEP_4) | instskip(NEXT) | instid1(VALU_DEP_4)
	v_cvt_f32_f16_e32 v0, v0
	v_cvt_f32_f16_e32 v7, v7
	s_delay_alu instid0(VALU_DEP_3) | instskip(NEXT) | instid1(VALU_DEP_2)
	v_dual_add_f32 v5, s16, v5 :: v_dual_add_f32 v6, s16, v6
	v_dual_add_f32 v0, s3, v0 :: v_dual_add_f32 v7, s3, v7
	s_delay_alu instid0(VALU_DEP_2) | instskip(NEXT) | instid1(VALU_DEP_3)
	v_cvt_f16_f32_e32 v5, v5
	v_cvt_f16_f32_e32 v6, v6
	s_delay_alu instid0(VALU_DEP_3) | instskip(NEXT) | instid1(VALU_DEP_4)
	v_cvt_f16_f32_e32 v0, v0
	v_cvt_f16_f32_e32 v7, v7
	s_delay_alu instid0(VALU_DEP_2) | instskip(NEXT) | instid1(VALU_DEP_2)
	v_pack_b32_f16 v6, v6, v0
	v_pack_b32_f16 v5, v5, v7
	global_store_b64 v[3:4], v[5:6], off offset:-4
	v_add_co_u32 v3, vcc_lo, v3, s4
	v_add_co_ci_u32_e32 v4, vcc_lo, 0, v4, vcc_lo
	s_and_not1_b32 exec_lo, exec_lo, s2
	s_cbranch_execnz .LBB10_24
.LBB10_25:
	s_set_inst_prefetch_distance 0x2
	s_nop 0
	s_sendmsg sendmsg(MSG_DEALLOC_VGPRS)
	s_endpgm
	.section	.rodata,"a",@progbits
	.p2align	6, 0x0
	.amdhsa_kernel _ZN2at6native12_GLOBAL__N_125multi_tensor_apply_kernelINS1_28TensorListScalarListMetadataIfLi1EEENS1_25BinaryOpScalarListFunctorIN3c104HalfELi1ELi1ELi0EEEJSt4plusIfEEEEvT_T0_DpT1_
		.amdhsa_group_segment_fixed_size 0
		.amdhsa_private_segment_fixed_size 0
		.amdhsa_kernarg_size 3784
		.amdhsa_user_sgpr_count 15
		.amdhsa_user_sgpr_dispatch_ptr 0
		.amdhsa_user_sgpr_queue_ptr 0
		.amdhsa_user_sgpr_kernarg_segment_ptr 1
		.amdhsa_user_sgpr_dispatch_id 0
		.amdhsa_user_sgpr_private_segment_size 0
		.amdhsa_wavefront_size32 1
		.amdhsa_uses_dynamic_stack 0
		.amdhsa_enable_private_segment 0
		.amdhsa_system_sgpr_workgroup_id_x 1
		.amdhsa_system_sgpr_workgroup_id_y 0
		.amdhsa_system_sgpr_workgroup_id_z 0
		.amdhsa_system_sgpr_workgroup_info 0
		.amdhsa_system_vgpr_workitem_id 0
		.amdhsa_next_free_vgpr 17
		.amdhsa_next_free_sgpr 21
		.amdhsa_reserve_vcc 1
		.amdhsa_float_round_mode_32 0
		.amdhsa_float_round_mode_16_64 0
		.amdhsa_float_denorm_mode_32 3
		.amdhsa_float_denorm_mode_16_64 3
		.amdhsa_dx10_clamp 1
		.amdhsa_ieee_mode 1
		.amdhsa_fp16_overflow 0
		.amdhsa_workgroup_processor_mode 1
		.amdhsa_memory_ordered 1
		.amdhsa_forward_progress 0
		.amdhsa_shared_vgpr_count 0
		.amdhsa_exception_fp_ieee_invalid_op 0
		.amdhsa_exception_fp_denorm_src 0
		.amdhsa_exception_fp_ieee_div_zero 0
		.amdhsa_exception_fp_ieee_overflow 0
		.amdhsa_exception_fp_ieee_underflow 0
		.amdhsa_exception_fp_ieee_inexact 0
		.amdhsa_exception_int_div_zero 0
	.end_amdhsa_kernel
	.section	.text._ZN2at6native12_GLOBAL__N_125multi_tensor_apply_kernelINS1_28TensorListScalarListMetadataIfLi1EEENS1_25BinaryOpScalarListFunctorIN3c104HalfELi1ELi1ELi0EEEJSt4plusIfEEEEvT_T0_DpT1_,"axG",@progbits,_ZN2at6native12_GLOBAL__N_125multi_tensor_apply_kernelINS1_28TensorListScalarListMetadataIfLi1EEENS1_25BinaryOpScalarListFunctorIN3c104HalfELi1ELi1ELi0EEEJSt4plusIfEEEEvT_T0_DpT1_,comdat
.Lfunc_end10:
	.size	_ZN2at6native12_GLOBAL__N_125multi_tensor_apply_kernelINS1_28TensorListScalarListMetadataIfLi1EEENS1_25BinaryOpScalarListFunctorIN3c104HalfELi1ELi1ELi0EEEJSt4plusIfEEEEvT_T0_DpT1_, .Lfunc_end10-_ZN2at6native12_GLOBAL__N_125multi_tensor_apply_kernelINS1_28TensorListScalarListMetadataIfLi1EEENS1_25BinaryOpScalarListFunctorIN3c104HalfELi1ELi1ELi0EEEJSt4plusIfEEEEvT_T0_DpT1_
                                        ; -- End function
	.section	.AMDGPU.csdata,"",@progbits
; Kernel info:
; codeLenInByte = 1284
; NumSgprs: 23
; NumVgprs: 17
; ScratchSize: 0
; MemoryBound: 0
; FloatMode: 240
; IeeeMode: 1
; LDSByteSize: 0 bytes/workgroup (compile time only)
; SGPRBlocks: 2
; VGPRBlocks: 2
; NumSGPRsForWavesPerEU: 23
; NumVGPRsForWavesPerEU: 17
; Occupancy: 16
; WaveLimiterHint : 0
; COMPUTE_PGM_RSRC2:SCRATCH_EN: 0
; COMPUTE_PGM_RSRC2:USER_SGPR: 15
; COMPUTE_PGM_RSRC2:TRAP_HANDLER: 0
; COMPUTE_PGM_RSRC2:TGID_X_EN: 1
; COMPUTE_PGM_RSRC2:TGID_Y_EN: 0
; COMPUTE_PGM_RSRC2:TGID_Z_EN: 0
; COMPUTE_PGM_RSRC2:TIDIG_COMP_CNT: 0
	.section	.text._ZN2at6native12_GLOBAL__N_125multi_tensor_apply_kernelINS1_28TensorListScalarListMetadataIfLi1EEENS1_25BinaryOpScalarListFunctorIN3c108BFloat16ELi1ELi1ELi0EEEJSt4plusIfEEEEvT_T0_DpT1_,"axG",@progbits,_ZN2at6native12_GLOBAL__N_125multi_tensor_apply_kernelINS1_28TensorListScalarListMetadataIfLi1EEENS1_25BinaryOpScalarListFunctorIN3c108BFloat16ELi1ELi1ELi0EEEJSt4plusIfEEEEvT_T0_DpT1_,comdat
	.globl	_ZN2at6native12_GLOBAL__N_125multi_tensor_apply_kernelINS1_28TensorListScalarListMetadataIfLi1EEENS1_25BinaryOpScalarListFunctorIN3c108BFloat16ELi1ELi1ELi0EEEJSt4plusIfEEEEvT_T0_DpT1_ ; -- Begin function _ZN2at6native12_GLOBAL__N_125multi_tensor_apply_kernelINS1_28TensorListScalarListMetadataIfLi1EEENS1_25BinaryOpScalarListFunctorIN3c108BFloat16ELi1ELi1ELi0EEEJSt4plusIfEEEEvT_T0_DpT1_
	.p2align	8
	.type	_ZN2at6native12_GLOBAL__N_125multi_tensor_apply_kernelINS1_28TensorListScalarListMetadataIfLi1EEENS1_25BinaryOpScalarListFunctorIN3c108BFloat16ELi1ELi1ELi0EEEJSt4plusIfEEEEvT_T0_DpT1_,@function
_ZN2at6native12_GLOBAL__N_125multi_tensor_apply_kernelINS1_28TensorListScalarListMetadataIfLi1EEENS1_25BinaryOpScalarListFunctorIN3c108BFloat16ELi1ELi1ELi0EEEJSt4plusIfEEEEvT_T0_DpT1_: ; @_ZN2at6native12_GLOBAL__N_125multi_tensor_apply_kernelINS1_28TensorListScalarListMetadataIfLi1EEENS1_25BinaryOpScalarListFunctorIN3c108BFloat16ELi1ELi1ELi0EEEJSt4plusIfEEEEvT_T0_DpT1_
; %bb.0:
	v_mov_b32_e32 v1, s15
	s_add_u32 s2, s0, s15
	s_mul_i32 s3, s15, 3
	s_mul_hi_u32 s4, s15, 3
	s_addc_u32 s5, s1, 0
	global_load_u8 v1, v1, s[0:1] offset:1920
	s_add_u32 s2, s2, s3
	s_addc_u32 s3, s5, s4
	s_load_b32 s2, s[2:3], 0x8c0
	s_waitcnt vmcnt(0)
	v_readfirstlane_b32 s3, v1
	v_lshlrev_b32_e32 v1, 2, v1
	s_delay_alu instid0(VALU_DEP_2)
	s_lshl_b32 s6, s3, 3
	s_waitcnt lgkmcnt(0)
	s_ashr_i32 s3, s2, 31
	s_clause 0x1
	s_load_b64 s[4:5], s[0:1], s6 offset:0x300
	s_load_b64 s[8:9], s[0:1], s6 offset:0x0
	s_add_u32 s6, s0, s6
	s_addc_u32 s7, s1, 0
	v_sub_co_u32 v1, s6, s6, v1
	s_delay_alu instid0(VALU_DEP_1) | instskip(SKIP_1) | instid1(VALU_DEP_2)
	v_sub_co_ci_u32_e64 v2, null, s7, 0, s6
	s_lshl_b64 s[10:11], s[2:3], 17
	v_readfirstlane_b32 s6, v1
	s_lshl_b64 s[2:3], s[2:3], 16
	s_delay_alu instid0(VALU_DEP_2)
	v_readfirstlane_b32 s7, v2
	s_load_b32 s16, s[6:7], 0x600
	s_waitcnt lgkmcnt(0)
	s_and_b32 s12, s8, 7
	s_sub_u32 s6, s4, s2
	s_subb_u32 s7, s5, s3
	s_and_b32 s2, s4, 3
	s_mov_b32 s3, 0
	s_or_b32 s2, s12, s2
	s_delay_alu instid0(SALU_CYCLE_1)
	s_cmp_eq_u64 s[2:3], 0
	s_cbranch_scc1 .LBB11_21
; %bb.1:
	v_cmp_lt_i64_e64 s2, s[6:7], 1
	s_delay_alu instid0(VALU_DEP_1)
	s_and_b32 vcc_lo, exec_lo, s2
	s_cbranch_vccnz .LBB11_20
; %bb.2:
	s_load_b32 s2, s[0:1], 0xdd4
	v_cmp_gt_u64_e64 s3, 0x10000, s[6:7]
	v_lshlrev_b32_e32 v1, 1, v0
	s_waitcnt lgkmcnt(0)
	s_and_b32 s2, s2, 0xffff
	s_delay_alu instid0(VALU_DEP_2)
	s_and_b32 s3, s3, exec_lo
	v_add_co_u32 v5, s5, v0, s2
	s_cselect_b32 s13, s7, 0
	s_cselect_b32 s12, s6, 0x10000
	s_lshl_b32 s3, s2, 1
	s_lshl_b32 s17, s2, 2
	v_lshlrev_b32_e32 v3, 1, v5
	v_add_co_ci_u32_e64 v6, null, 0, 0, s5
	s_add_u32 s5, s8, s10
	v_add_co_u32 v9, s3, s3, v0
	s_mul_i32 s4, s2, 3
	s_addc_u32 s14, s9, s11
	v_add_co_ci_u32_e64 v10, null, 0, 0, s3
	v_add_co_u32 v1, s3, s5, v1
	v_add_co_u32 v7, s4, s4, v0
	v_add_co_ci_u32_e64 v2, null, s14, 0, s3
	v_add_co_u32 v3, s3, s5, v3
	v_add_co_ci_u32_e64 v8, null, 0, 0, s4
	v_add_co_ci_u32_e64 v4, null, s14, 0, s3
	s_lshl_b32 s18, s2, 3
	s_mul_i32 s19, s2, 6
	s_mov_b64 s[14:15], 0
	s_branch .LBB11_4
.LBB11_3:                               ;   in Loop: Header=BB11_4 Depth=1
	s_or_b32 exec_lo, exec_lo, s2
	s_add_u32 s14, s14, s17
	s_addc_u32 s15, s15, 0
	v_add_co_u32 v1, vcc_lo, v1, s18
	v_cmp_lt_i64_e64 s2, s[14:15], s[6:7]
	v_cmp_gt_u64_e64 s3, 0x10000, s[14:15]
	v_add_co_ci_u32_e32 v2, vcc_lo, 0, v2, vcc_lo
	v_add_co_u32 v3, vcc_lo, v3, s18
	v_add_co_ci_u32_e32 v4, vcc_lo, 0, v4, vcc_lo
	s_delay_alu instid0(VALU_DEP_4) | instskip(NEXT) | instid1(SALU_CYCLE_1)
	s_and_b32 s2, s2, s3
	s_and_b32 vcc_lo, exec_lo, s2
	s_cbranch_vccz .LBB11_20
.LBB11_4:                               ; =>This Inner Loop Header: Depth=1
	s_waitcnt vmcnt(0)
	v_add_co_u32 v11, s2, v0, s14
	s_delay_alu instid0(VALU_DEP_1) | instskip(NEXT) | instid1(VALU_DEP_1)
	v_add_co_ci_u32_e64 v12, null, 0, s15, s2
	v_cmp_gt_u64_e32 vcc_lo, s[12:13], v[11:12]
	v_mov_b32_e32 v12, 0
	s_and_saveexec_b32 s2, vcc_lo
	s_cbranch_execz .LBB11_6
; %bb.5:                                ;   in Loop: Header=BB11_4 Depth=1
	global_load_u16 v12, v[1:2], off
.LBB11_6:                               ;   in Loop: Header=BB11_4 Depth=1
	s_or_b32 exec_lo, exec_lo, s2
	v_add_co_u32 v13, s2, v5, s14
	s_delay_alu instid0(VALU_DEP_1) | instskip(NEXT) | instid1(VALU_DEP_1)
	v_add_co_ci_u32_e64 v14, s2, s15, v6, s2
	v_cmp_gt_u64_e64 s2, s[12:13], v[13:14]
	v_mov_b32_e32 v13, 0
	s_delay_alu instid0(VALU_DEP_2)
	s_and_saveexec_b32 s3, s2
	s_cbranch_execz .LBB11_8
; %bb.7:                                ;   in Loop: Header=BB11_4 Depth=1
	global_load_u16 v13, v[3:4], off
.LBB11_8:                               ;   in Loop: Header=BB11_4 Depth=1
	s_or_b32 exec_lo, exec_lo, s3
	v_add_co_u32 v14, s3, v9, s14
	s_delay_alu instid0(VALU_DEP_1) | instskip(SKIP_1) | instid1(VALU_DEP_2)
	v_add_co_ci_u32_e64 v15, s3, s15, v10, s3
	v_mov_b32_e32 v11, 0
	v_cmp_gt_u64_e64 s3, s[12:13], v[14:15]
	v_mov_b32_e32 v14, 0
	s_delay_alu instid0(VALU_DEP_2)
	s_and_saveexec_b32 s5, s3
	s_cbranch_execz .LBB11_10
; %bb.9:                                ;   in Loop: Header=BB11_4 Depth=1
	v_add_co_u32 v14, s4, v1, s17
	s_delay_alu instid0(VALU_DEP_1)
	v_add_co_ci_u32_e64 v15, s4, 0, v2, s4
	global_load_u16 v14, v[14:15], off
.LBB11_10:                              ;   in Loop: Header=BB11_4 Depth=1
	s_or_b32 exec_lo, exec_lo, s5
	v_add_co_u32 v15, s4, v7, s14
	s_delay_alu instid0(VALU_DEP_1) | instskip(NEXT) | instid1(VALU_DEP_1)
	v_add_co_ci_u32_e64 v16, s4, s15, v8, s4
	v_cmp_gt_u64_e64 s4, s[12:13], v[15:16]
	s_delay_alu instid0(VALU_DEP_1)
	s_and_saveexec_b32 s20, s4
	s_cbranch_execnz .LBB11_15
; %bb.11:                               ;   in Loop: Header=BB11_4 Depth=1
	s_or_b32 exec_lo, exec_lo, s20
	s_and_saveexec_b32 s5, vcc_lo
	s_cbranch_execnz .LBB11_16
.LBB11_12:                              ;   in Loop: Header=BB11_4 Depth=1
	s_or_b32 exec_lo, exec_lo, s5
	s_and_saveexec_b32 s5, s2
	s_cbranch_execnz .LBB11_17
.LBB11_13:                              ;   in Loop: Header=BB11_4 Depth=1
	s_or_b32 exec_lo, exec_lo, s5
	s_and_saveexec_b32 s2, s3
	s_cbranch_execnz .LBB11_18
.LBB11_14:                              ;   in Loop: Header=BB11_4 Depth=1
	s_or_b32 exec_lo, exec_lo, s2
	s_and_saveexec_b32 s2, s4
	s_cbranch_execz .LBB11_3
	s_branch .LBB11_19
.LBB11_15:                              ;   in Loop: Header=BB11_4 Depth=1
	v_add_co_u32 v15, s5, v1, s19
	s_delay_alu instid0(VALU_DEP_1)
	v_add_co_ci_u32_e64 v16, s5, 0, v2, s5
	global_load_u16 v11, v[15:16], off
	s_or_b32 exec_lo, exec_lo, s20
	s_and_saveexec_b32 s5, vcc_lo
	s_cbranch_execz .LBB11_12
.LBB11_16:                              ;   in Loop: Header=BB11_4 Depth=1
	s_waitcnt vmcnt(0)
	v_lshlrev_b32_e32 v12, 16, v12
	s_delay_alu instid0(VALU_DEP_1) | instskip(NEXT) | instid1(VALU_DEP_1)
	v_add_f32_e32 v12, s16, v12
	v_bfe_u32 v15, v12, 16, 1
	v_cmp_o_f32_e32 vcc_lo, v12, v12
	s_delay_alu instid0(VALU_DEP_2) | instskip(NEXT) | instid1(VALU_DEP_1)
	v_add3_u32 v15, v12, v15, 0x7fff
	v_lshrrev_b32_e32 v15, 16, v15
	s_delay_alu instid0(VALU_DEP_1)
	v_cndmask_b32_e32 v12, 0x7fc0, v15, vcc_lo
	global_store_b16 v[1:2], v12, off
	s_or_b32 exec_lo, exec_lo, s5
	s_and_saveexec_b32 s5, s2
	s_cbranch_execz .LBB11_13
.LBB11_17:                              ;   in Loop: Header=BB11_4 Depth=1
	s_waitcnt vmcnt(0)
	v_lshlrev_b32_e32 v12, 16, v13
	s_delay_alu instid0(VALU_DEP_1) | instskip(NEXT) | instid1(VALU_DEP_1)
	v_add_f32_e32 v12, s16, v12
	v_bfe_u32 v13, v12, 16, 1
	v_cmp_o_f32_e32 vcc_lo, v12, v12
	s_delay_alu instid0(VALU_DEP_2) | instskip(NEXT) | instid1(VALU_DEP_1)
	v_add3_u32 v13, v12, v13, 0x7fff
	v_lshrrev_b32_e32 v13, 16, v13
	s_delay_alu instid0(VALU_DEP_1)
	v_cndmask_b32_e32 v12, 0x7fc0, v13, vcc_lo
	global_store_b16 v[3:4], v12, off
	s_or_b32 exec_lo, exec_lo, s5
	s_and_saveexec_b32 s2, s3
	s_cbranch_execz .LBB11_14
.LBB11_18:                              ;   in Loop: Header=BB11_4 Depth=1
	s_waitcnt vmcnt(0)
	v_lshlrev_b32_e32 v12, 16, v14
	s_delay_alu instid0(VALU_DEP_1) | instskip(NEXT) | instid1(VALU_DEP_1)
	v_add_f32_e32 v12, s16, v12
	v_bfe_u32 v13, v12, 16, 1
	v_cmp_o_f32_e32 vcc_lo, v12, v12
	s_delay_alu instid0(VALU_DEP_2) | instskip(NEXT) | instid1(VALU_DEP_1)
	v_add3_u32 v13, v12, v13, 0x7fff
	v_lshrrev_b32_e32 v13, 16, v13
	s_delay_alu instid0(VALU_DEP_1)
	v_cndmask_b32_e32 v14, 0x7fc0, v13, vcc_lo
	v_add_co_u32 v12, vcc_lo, v1, s17
	v_add_co_ci_u32_e32 v13, vcc_lo, 0, v2, vcc_lo
	global_store_b16 v[12:13], v14, off
	s_or_b32 exec_lo, exec_lo, s2
	s_and_saveexec_b32 s2, s4
	s_cbranch_execz .LBB11_3
.LBB11_19:                              ;   in Loop: Header=BB11_4 Depth=1
	s_waitcnt vmcnt(0)
	v_lshlrev_b32_e32 v11, 16, v11
	s_delay_alu instid0(VALU_DEP_1) | instskip(NEXT) | instid1(VALU_DEP_1)
	v_add_f32_e32 v11, s16, v11
	v_bfe_u32 v12, v11, 16, 1
	v_cmp_o_f32_e32 vcc_lo, v11, v11
	s_delay_alu instid0(VALU_DEP_2) | instskip(NEXT) | instid1(VALU_DEP_1)
	v_add3_u32 v12, v11, v12, 0x7fff
	v_lshrrev_b32_e32 v12, 16, v12
	s_delay_alu instid0(VALU_DEP_1)
	v_cndmask_b32_e32 v13, 0x7fc0, v12, vcc_lo
	v_add_co_u32 v11, vcc_lo, v1, s19
	v_add_co_ci_u32_e32 v12, vcc_lo, 0, v2, vcc_lo
	global_store_b16 v[11:12], v13, off
	s_branch .LBB11_3
.LBB11_20:
	s_cbranch_execz .LBB11_22
	s_branch .LBB11_25
.LBB11_21:
.LBB11_22:
	v_dual_mov_b32 v2, 0 :: v_dual_lshlrev_b32 v1, 2, v0
	s_mov_b32 s2, 0
	s_mov_b32 s3, exec_lo
	s_delay_alu instid0(VALU_DEP_1)
	v_cmpx_gt_i64_e64 s[6:7], v[1:2]
	s_cbranch_execz .LBB11_25
; %bb.23:
	s_load_b32 s0, s[0:1], 0xdd4
	v_lshlrev_b32_e32 v1, 3, v0
	s_waitcnt lgkmcnt(0)
	s_and_b32 s0, s0, 0xffff
	s_add_u32 s1, s8, s10
	s_addc_u32 s3, s9, s11
	v_add_co_u32 v3, s1, s1, v1
	s_delay_alu instid0(VALU_DEP_1)
	v_add_co_ci_u32_e64 v4, null, s3, 0, s1
	v_add_lshl_u32 v1, v0, s0, 2
	s_lshl_b32 s3, s0, 3
	s_lshl_b32 s4, s0, 2
.LBB11_24:                              ; =>This Inner Loop Header: Depth=1
	global_load_b64 v[5:6], v[3:4], off
	v_cmp_lt_u64_e64 s0, 0xffff, v[1:2]
	s_waitcnt vmcnt(0)
	v_alignbit_b32 v0, v6, v5, 16
	v_and_b32_e32 v6, 0xffff0000, v6
	v_and_b32_e32 v7, 0xffff0000, v5
	s_delay_alu instid0(VALU_DEP_3) | instskip(NEXT) | instid1(VALU_DEP_3)
	v_and_b32_e32 v0, 0xffff0000, v0
	v_dual_add_f32 v6, s16, v6 :: v_dual_lshlrev_b32 v5, 16, v5
	s_delay_alu instid0(VALU_DEP_2) | instskip(NEXT) | instid1(VALU_DEP_2)
	v_dual_add_f32 v7, s16, v7 :: v_dual_add_f32 v0, s16, v0
	v_add_f32_e32 v5, s16, v5
	s_delay_alu instid0(VALU_DEP_3) | instskip(NEXT) | instid1(VALU_DEP_3)
	v_bfe_u32 v10, v6, 16, 1
	v_bfe_u32 v8, v7, 16, 1
	v_cmp_o_f32_e32 vcc_lo, v7, v7
	v_bfe_u32 v11, v0, 16, 1
	v_bfe_u32 v9, v5, 16, 1
	v_add3_u32 v10, v6, v10, 0x7fff
	v_add3_u32 v8, v7, v8, 0x7fff
	s_delay_alu instid0(VALU_DEP_4) | instskip(NEXT) | instid1(VALU_DEP_4)
	v_add3_u32 v11, v0, v11, 0x7fff
	v_add3_u32 v9, v5, v9, 0x7fff
	s_delay_alu instid0(VALU_DEP_4) | instskip(NEXT) | instid1(VALU_DEP_4)
	v_and_b32_e32 v10, 0xffff0000, v10
	v_and_b32_e32 v8, 0xffff0000, v8
	s_delay_alu instid0(VALU_DEP_4) | instskip(NEXT) | instid1(VALU_DEP_4)
	v_lshrrev_b32_e32 v11, 16, v11
	v_lshrrev_b32_e32 v9, 16, v9
	s_delay_alu instid0(VALU_DEP_3) | instskip(SKIP_1) | instid1(VALU_DEP_3)
	v_cndmask_b32_e32 v7, 0x7fc00000, v8, vcc_lo
	v_cmp_o_f32_e32 vcc_lo, v5, v5
	v_cndmask_b32_e32 v5, 0x7fc0, v9, vcc_lo
	v_cmp_o_f32_e32 vcc_lo, v6, v6
	s_delay_alu instid0(VALU_DEP_2) | instskip(SKIP_2) | instid1(VALU_DEP_3)
	v_or_b32_e32 v5, v5, v7
	v_cndmask_b32_e32 v6, 0x7fc00000, v10, vcc_lo
	v_cmp_o_f32_e32 vcc_lo, v0, v0
	v_or3_b32 v5, v5, 0, 0
	v_cndmask_b32_e32 v0, 0x7fc0, v11, vcc_lo
	v_cmp_le_i64_e32 vcc_lo, s[6:7], v[1:2]
	v_add_co_u32 v1, s1, v1, s4
	s_delay_alu instid0(VALU_DEP_1) | instskip(NEXT) | instid1(VALU_DEP_4)
	v_add_co_ci_u32_e64 v2, s1, 0, v2, s1
	v_or3_b32 v6, 0, v0, v6
	s_or_b32 s0, vcc_lo, s0
	s_delay_alu instid0(SALU_CYCLE_1) | instskip(SKIP_4) | instid1(SALU_CYCLE_1)
	s_and_b32 s0, exec_lo, s0
	global_store_b64 v[3:4], v[5:6], off
	v_add_co_u32 v3, vcc_lo, v3, s3
	v_add_co_ci_u32_e32 v4, vcc_lo, 0, v4, vcc_lo
	s_or_b32 s2, s0, s2
	s_and_not1_b32 exec_lo, exec_lo, s2
	s_cbranch_execnz .LBB11_24
.LBB11_25:
	s_nop 0
	s_sendmsg sendmsg(MSG_DEALLOC_VGPRS)
	s_endpgm
	.section	.rodata,"a",@progbits
	.p2align	6, 0x0
	.amdhsa_kernel _ZN2at6native12_GLOBAL__N_125multi_tensor_apply_kernelINS1_28TensorListScalarListMetadataIfLi1EEENS1_25BinaryOpScalarListFunctorIN3c108BFloat16ELi1ELi1ELi0EEEJSt4plusIfEEEEvT_T0_DpT1_
		.amdhsa_group_segment_fixed_size 0
		.amdhsa_private_segment_fixed_size 0
		.amdhsa_kernarg_size 3784
		.amdhsa_user_sgpr_count 15
		.amdhsa_user_sgpr_dispatch_ptr 0
		.amdhsa_user_sgpr_queue_ptr 0
		.amdhsa_user_sgpr_kernarg_segment_ptr 1
		.amdhsa_user_sgpr_dispatch_id 0
		.amdhsa_user_sgpr_private_segment_size 0
		.amdhsa_wavefront_size32 1
		.amdhsa_uses_dynamic_stack 0
		.amdhsa_enable_private_segment 0
		.amdhsa_system_sgpr_workgroup_id_x 1
		.amdhsa_system_sgpr_workgroup_id_y 0
		.amdhsa_system_sgpr_workgroup_id_z 0
		.amdhsa_system_sgpr_workgroup_info 0
		.amdhsa_system_vgpr_workitem_id 0
		.amdhsa_next_free_vgpr 17
		.amdhsa_next_free_sgpr 21
		.amdhsa_reserve_vcc 1
		.amdhsa_float_round_mode_32 0
		.amdhsa_float_round_mode_16_64 0
		.amdhsa_float_denorm_mode_32 3
		.amdhsa_float_denorm_mode_16_64 3
		.amdhsa_dx10_clamp 1
		.amdhsa_ieee_mode 1
		.amdhsa_fp16_overflow 0
		.amdhsa_workgroup_processor_mode 1
		.amdhsa_memory_ordered 1
		.amdhsa_forward_progress 0
		.amdhsa_shared_vgpr_count 0
		.amdhsa_exception_fp_ieee_invalid_op 0
		.amdhsa_exception_fp_denorm_src 0
		.amdhsa_exception_fp_ieee_div_zero 0
		.amdhsa_exception_fp_ieee_overflow 0
		.amdhsa_exception_fp_ieee_underflow 0
		.amdhsa_exception_fp_ieee_inexact 0
		.amdhsa_exception_int_div_zero 0
	.end_amdhsa_kernel
	.section	.text._ZN2at6native12_GLOBAL__N_125multi_tensor_apply_kernelINS1_28TensorListScalarListMetadataIfLi1EEENS1_25BinaryOpScalarListFunctorIN3c108BFloat16ELi1ELi1ELi0EEEJSt4plusIfEEEEvT_T0_DpT1_,"axG",@progbits,_ZN2at6native12_GLOBAL__N_125multi_tensor_apply_kernelINS1_28TensorListScalarListMetadataIfLi1EEENS1_25BinaryOpScalarListFunctorIN3c108BFloat16ELi1ELi1ELi0EEEJSt4plusIfEEEEvT_T0_DpT1_,comdat
.Lfunc_end11:
	.size	_ZN2at6native12_GLOBAL__N_125multi_tensor_apply_kernelINS1_28TensorListScalarListMetadataIfLi1EEENS1_25BinaryOpScalarListFunctorIN3c108BFloat16ELi1ELi1ELi0EEEJSt4plusIfEEEEvT_T0_DpT1_, .Lfunc_end11-_ZN2at6native12_GLOBAL__N_125multi_tensor_apply_kernelINS1_28TensorListScalarListMetadataIfLi1EEENS1_25BinaryOpScalarListFunctorIN3c108BFloat16ELi1ELi1ELi0EEEJSt4plusIfEEEEvT_T0_DpT1_
                                        ; -- End function
	.section	.AMDGPU.csdata,"",@progbits
; Kernel info:
; codeLenInByte = 1580
; NumSgprs: 23
; NumVgprs: 17
; ScratchSize: 0
; MemoryBound: 0
; FloatMode: 240
; IeeeMode: 1
; LDSByteSize: 0 bytes/workgroup (compile time only)
; SGPRBlocks: 2
; VGPRBlocks: 2
; NumSGPRsForWavesPerEU: 23
; NumVGPRsForWavesPerEU: 17
; Occupancy: 16
; WaveLimiterHint : 0
; COMPUTE_PGM_RSRC2:SCRATCH_EN: 0
; COMPUTE_PGM_RSRC2:USER_SGPR: 15
; COMPUTE_PGM_RSRC2:TRAP_HANDLER: 0
; COMPUTE_PGM_RSRC2:TGID_X_EN: 1
; COMPUTE_PGM_RSRC2:TGID_Y_EN: 0
; COMPUTE_PGM_RSRC2:TGID_Z_EN: 0
; COMPUTE_PGM_RSRC2:TIDIG_COMP_CNT: 0
	.section	.text._ZN2at6native12_GLOBAL__N_125multi_tensor_apply_kernelINS1_28TensorListScalarListMetadataIhLi2EEENS1_25BinaryOpScalarListFunctorIhLi2ELi1ELi1EEEJSt4plusIhEEEEvT_T0_DpT1_,"axG",@progbits,_ZN2at6native12_GLOBAL__N_125multi_tensor_apply_kernelINS1_28TensorListScalarListMetadataIhLi2EEENS1_25BinaryOpScalarListFunctorIhLi2ELi1ELi1EEEJSt4plusIhEEEEvT_T0_DpT1_,comdat
	.globl	_ZN2at6native12_GLOBAL__N_125multi_tensor_apply_kernelINS1_28TensorListScalarListMetadataIhLi2EEENS1_25BinaryOpScalarListFunctorIhLi2ELi1ELi1EEEJSt4plusIhEEEEvT_T0_DpT1_ ; -- Begin function _ZN2at6native12_GLOBAL__N_125multi_tensor_apply_kernelINS1_28TensorListScalarListMetadataIhLi2EEENS1_25BinaryOpScalarListFunctorIhLi2ELi1ELi1EEEJSt4plusIhEEEEvT_T0_DpT1_
	.p2align	8
	.type	_ZN2at6native12_GLOBAL__N_125multi_tensor_apply_kernelINS1_28TensorListScalarListMetadataIhLi2EEENS1_25BinaryOpScalarListFunctorIhLi2ELi1ELi1EEEJSt4plusIhEEEEvT_T0_DpT1_,@function
_ZN2at6native12_GLOBAL__N_125multi_tensor_apply_kernelINS1_28TensorListScalarListMetadataIhLi2EEENS1_25BinaryOpScalarListFunctorIhLi2ELi1ELi1EEEJSt4plusIhEEEEvT_T0_DpT1_: ; @_ZN2at6native12_GLOBAL__N_125multi_tensor_apply_kernelINS1_28TensorListScalarListMetadataIhLi2EEENS1_25BinaryOpScalarListFunctorIhLi2ELi1ELi1EEEJSt4plusIhEEEEvT_T0_DpT1_
; %bb.0:
	v_mov_b32_e32 v1, s15
	s_mul_i32 s4, s15, 3
	s_mul_hi_u32 s5, s15, 3
	global_load_u8 v3, v1, s[0:1] offset:1600
	s_waitcnt vmcnt(0)
	v_add_co_u32 v1, s2, s0, v3
	s_delay_alu instid0(VALU_DEP_1)
	v_add_co_ci_u32_e64 v2, null, s1, 0, s2
	s_add_u32 s2, s0, s15
	s_addc_u32 s3, s1, 0
	s_add_u32 s2, s2, s4
	global_load_u8 v2, v[1:2], off offset:1536
	s_addc_u32 s3, s3, s5
	v_readfirstlane_b32 s4, v3
	s_load_b32 s6, s[2:3], 0x780
	s_delay_alu instid0(VALU_DEP_1)
	s_lshl_b32 s7, s4, 3
	s_clause 0x2
	s_load_b64 s[4:5], s[0:1], s7 offset:0x0
	s_load_b64 s[2:3], s[0:1], s7 offset:0x200
	s_load_b64 s[8:9], s[0:1], s7 offset:0x400
	s_waitcnt lgkmcnt(0)
	s_ashr_i32 s7, s6, 31
	s_delay_alu instid0(SALU_CYCLE_1) | instskip(NEXT) | instid1(SALU_CYCLE_1)
	s_lshl_b64 s[12:13], s[6:7], 16
	s_add_u32 s6, s4, s12
	s_addc_u32 s7, s5, s13
	s_add_u32 s14, s2, s12
	s_addc_u32 s15, s3, s13
	s_or_b64 s[10:11], s[8:9], s[6:7]
	s_delay_alu instid0(SALU_CYCLE_1) | instskip(NEXT) | instid1(SALU_CYCLE_1)
	s_or_b32 s10, s14, s10
	s_and_b32 s10, s10, 3
	s_sub_u32 s8, s8, s12
	s_subb_u32 s9, s9, s13
	s_cmp_eq_u32 s10, 0
	s_mov_b32 s10, -1
	s_cbranch_scc1 .LBB12_21
; %bb.1:
	v_cmp_lt_i64_e64 s10, s[8:9], 1
	s_delay_alu instid0(VALU_DEP_1)
	s_and_b32 vcc_lo, exec_lo, s10
	s_cbranch_vccnz .LBB12_20
; %bb.2:
	s_load_b32 s10, s[0:1], 0xc94
	v_add_co_u32 v16, s11, s12, v0
	s_delay_alu instid0(VALU_DEP_1) | instskip(SKIP_1) | instid1(VALU_DEP_3)
	v_add_co_ci_u32_e64 v17, null, s13, 0, s11
	v_cmp_gt_u64_e64 s11, 0x10000, s[8:9]
	v_add_co_u32 v1, vcc_lo, s4, v16
	s_delay_alu instid0(VALU_DEP_3)
	v_add_co_ci_u32_e32 v3, vcc_lo, s5, v17, vcc_lo
	v_add_co_u32 v4, vcc_lo, s2, v16
	v_add_co_ci_u32_e32 v5, vcc_lo, s3, v17, vcc_lo
	s_waitcnt lgkmcnt(0)
	s_and_b32 s17, s10, 0xffff
	s_and_b32 s10, s11, exec_lo
	s_mul_i32 s19, s17, 3
	s_cselect_b32 s11, s9, 0
	s_cselect_b32 s10, s8, 0x10000
	s_lshl_b32 s18, s17, 1
	s_lshl_b32 s16, s17, 2
	s_add_u32 s20, s12, s19
	s_addc_u32 s21, s13, 0
	v_add_co_u32 v8, s20, s20, v0
	s_delay_alu instid0(VALU_DEP_1) | instskip(SKIP_1) | instid1(VALU_DEP_2)
	v_add_co_ci_u32_e64 v9, null, s21, 0, s20
	s_add_u32 s12, s12, s18
	v_add_co_u32 v6, vcc_lo, s4, v8
	s_addc_u32 s13, s13, 0
	v_add_co_u32 v14, s12, s12, v0
	v_add_co_ci_u32_e32 v7, vcc_lo, s5, v9, vcc_lo
	v_add_co_u32 v8, vcc_lo, s2, v8
	v_add_co_ci_u32_e64 v15, null, s13, 0, s12
	v_add_co_ci_u32_e32 v9, vcc_lo, s3, v9, vcc_lo
	v_add_co_u32 v12, vcc_lo, s4, v14
	s_delay_alu instid0(VALU_DEP_3)
	v_add_co_ci_u32_e32 v13, vcc_lo, s5, v15, vcc_lo
	v_add_co_u32 v14, vcc_lo, s2, v14
	v_add_co_ci_u32_e32 v15, vcc_lo, s3, v15, vcc_lo
	v_add_co_u32 v20, vcc_lo, v16, s17
	v_add_co_ci_u32_e32 v21, vcc_lo, 0, v17, vcc_lo
	v_add_co_u32 v10, s12, s19, v0
	s_delay_alu instid0(VALU_DEP_3) | instskip(NEXT) | instid1(VALU_DEP_3)
	v_add_co_u32 v18, vcc_lo, s4, v20
	v_add_co_ci_u32_e32 v19, vcc_lo, s5, v21, vcc_lo
	v_add_co_ci_u32_e64 v11, null, 0, 0, s12
	v_add_co_u32 v16, s12, s18, v0
	v_add_co_u32 v20, vcc_lo, s2, v20
	v_add_co_u32 v22, s2, v0, s17
	v_add_co_ci_u32_e64 v17, null, 0, 0, s12
	v_add_co_ci_u32_e32 v21, vcc_lo, s3, v21, vcc_lo
	v_add_co_ci_u32_e64 v23, null, 0, 0, s2
	s_mov_b64 s[12:13], 0
	s_branch .LBB12_4
.LBB12_3:                               ;   in Loop: Header=BB12_4 Depth=1
	s_or_b32 exec_lo, exec_lo, s2
	s_add_u32 s12, s12, s16
	s_addc_u32 s13, s13, 0
	s_delay_alu instid0(SALU_CYCLE_1) | instskip(SKIP_1) | instid1(VALU_DEP_1)
	v_cmp_lt_i64_e64 s2, s[12:13], s[8:9]
	v_cmp_gt_u64_e64 s3, 0x10000, s[12:13]
	s_and_b32 s2, s2, s3
	s_delay_alu instid0(SALU_CYCLE_1)
	s_and_b32 vcc_lo, exec_lo, s2
	s_cbranch_vccz .LBB12_20
.LBB12_4:                               ; =>This Inner Loop Header: Depth=1
	s_waitcnt vmcnt(0)
	v_add_co_u32 v24, s2, v0, s12
	s_delay_alu instid0(VALU_DEP_1) | instskip(NEXT) | instid1(VALU_DEP_1)
	v_add_co_ci_u32_e64 v25, null, 0, s13, s2
	v_cmp_gt_u64_e32 vcc_lo, s[10:11], v[24:25]
	v_mov_b32_e32 v24, 0
	s_and_saveexec_b32 s3, vcc_lo
	s_cbranch_execz .LBB12_6
; %bb.5:                                ;   in Loop: Header=BB12_4 Depth=1
	v_add_co_u32 v24, s2, v1, s12
	s_delay_alu instid0(VALU_DEP_1)
	v_add_co_ci_u32_e64 v25, s2, s13, v3, s2
	global_load_u8 v24, v[24:25], off
.LBB12_6:                               ;   in Loop: Header=BB12_4 Depth=1
	s_or_b32 exec_lo, exec_lo, s3
	v_add_co_u32 v25, s2, v22, s12
	s_delay_alu instid0(VALU_DEP_1) | instskip(NEXT) | instid1(VALU_DEP_1)
	v_add_co_ci_u32_e64 v26, s2, s13, v23, s2
	v_cmp_gt_u64_e64 s2, s[10:11], v[25:26]
	v_mov_b32_e32 v26, 0
	s_delay_alu instid0(VALU_DEP_2)
	s_and_saveexec_b32 s4, s2
	s_cbranch_execz .LBB12_8
; %bb.7:                                ;   in Loop: Header=BB12_4 Depth=1
	v_add_co_u32 v25, s3, v18, s12
	s_delay_alu instid0(VALU_DEP_1)
	v_add_co_ci_u32_e64 v26, s3, s13, v19, s3
	global_load_u8 v26, v[25:26], off
.LBB12_8:                               ;   in Loop: Header=BB12_4 Depth=1
	s_or_b32 exec_lo, exec_lo, s4
	v_add_co_u32 v27, s3, v16, s12
	s_delay_alu instid0(VALU_DEP_1) | instskip(SKIP_1) | instid1(VALU_DEP_2)
	v_add_co_ci_u32_e64 v28, s3, s13, v17, s3
	v_mov_b32_e32 v25, 0
	v_cmp_gt_u64_e64 s3, s[10:11], v[27:28]
	v_mov_b32_e32 v27, 0
	s_delay_alu instid0(VALU_DEP_2)
	s_and_saveexec_b32 s5, s3
	s_cbranch_execz .LBB12_10
; %bb.9:                                ;   in Loop: Header=BB12_4 Depth=1
	v_add_co_u32 v27, s4, v12, s12
	s_delay_alu instid0(VALU_DEP_1)
	v_add_co_ci_u32_e64 v28, s4, s13, v13, s4
	global_load_u8 v27, v[27:28], off
.LBB12_10:                              ;   in Loop: Header=BB12_4 Depth=1
	s_or_b32 exec_lo, exec_lo, s5
	v_add_co_u32 v28, s4, v10, s12
	s_delay_alu instid0(VALU_DEP_1) | instskip(NEXT) | instid1(VALU_DEP_1)
	v_add_co_ci_u32_e64 v29, s4, s13, v11, s4
	v_cmp_gt_u64_e64 s4, s[10:11], v[28:29]
	s_delay_alu instid0(VALU_DEP_1)
	s_and_saveexec_b32 s17, s4
	s_cbranch_execnz .LBB12_15
; %bb.11:                               ;   in Loop: Header=BB12_4 Depth=1
	s_or_b32 exec_lo, exec_lo, s17
	s_and_saveexec_b32 s5, vcc_lo
	s_cbranch_execnz .LBB12_16
.LBB12_12:                              ;   in Loop: Header=BB12_4 Depth=1
	s_or_b32 exec_lo, exec_lo, s5
	s_and_saveexec_b32 s5, s2
	s_cbranch_execnz .LBB12_17
.LBB12_13:                              ;   in Loop: Header=BB12_4 Depth=1
	s_or_b32 exec_lo, exec_lo, s5
	s_and_saveexec_b32 s2, s3
	s_cbranch_execnz .LBB12_18
.LBB12_14:                              ;   in Loop: Header=BB12_4 Depth=1
	s_or_b32 exec_lo, exec_lo, s2
	s_and_saveexec_b32 s2, s4
	s_cbranch_execz .LBB12_3
	s_branch .LBB12_19
.LBB12_15:                              ;   in Loop: Header=BB12_4 Depth=1
	v_add_co_u32 v28, s5, v6, s12
	s_delay_alu instid0(VALU_DEP_1)
	v_add_co_ci_u32_e64 v29, s5, s13, v7, s5
	global_load_u8 v25, v[28:29], off
	s_or_b32 exec_lo, exec_lo, s17
	s_and_saveexec_b32 s5, vcc_lo
	s_cbranch_execz .LBB12_12
.LBB12_16:                              ;   in Loop: Header=BB12_4 Depth=1
	v_add_co_u32 v28, vcc_lo, v4, s12
	s_waitcnt vmcnt(0)
	v_add_nc_u16 v24, v24, v2
	v_add_co_ci_u32_e32 v29, vcc_lo, s13, v5, vcc_lo
	global_store_b8 v[28:29], v24, off
	s_or_b32 exec_lo, exec_lo, s5
	s_and_saveexec_b32 s5, s2
	s_cbranch_execz .LBB12_13
.LBB12_17:                              ;   in Loop: Header=BB12_4 Depth=1
	v_add_co_u32 v28, vcc_lo, v20, s12
	s_waitcnt vmcnt(0)
	v_add_nc_u16 v24, v26, v2
	v_add_co_ci_u32_e32 v29, vcc_lo, s13, v21, vcc_lo
	global_store_b8 v[28:29], v24, off
	s_or_b32 exec_lo, exec_lo, s5
	s_and_saveexec_b32 s2, s3
	s_cbranch_execz .LBB12_14
.LBB12_18:                              ;   in Loop: Header=BB12_4 Depth=1
	s_waitcnt vmcnt(0)
	v_add_co_u32 v26, vcc_lo, v14, s12
	v_add_nc_u16 v24, v27, v2
	v_add_co_ci_u32_e32 v27, vcc_lo, s13, v15, vcc_lo
	global_store_b8 v[26:27], v24, off
	s_or_b32 exec_lo, exec_lo, s2
	s_and_saveexec_b32 s2, s4
	s_cbranch_execz .LBB12_3
.LBB12_19:                              ;   in Loop: Header=BB12_4 Depth=1
	s_waitcnt vmcnt(0)
	v_add_co_u32 v24, vcc_lo, v8, s12
	v_add_nc_u16 v26, v25, v2
	v_add_co_ci_u32_e32 v25, vcc_lo, s13, v9, vcc_lo
	global_store_b8 v[24:25], v26, off
	s_branch .LBB12_3
.LBB12_20:
	s_mov_b32 s10, 0
.LBB12_21:
	s_delay_alu instid0(SALU_CYCLE_1)
	s_and_not1_b32 vcc_lo, exec_lo, s10
	s_cbranch_vccnz .LBB12_25
; %bb.22:
	v_dual_mov_b32 v1, 0 :: v_dual_lshlrev_b32 v0, 2, v0
	s_mov_b32 s2, exec_lo
	s_delay_alu instid0(VALU_DEP_1)
	v_cmpx_gt_i64_e64 s[8:9], v[0:1]
	s_cbranch_execz .LBB12_25
; %bb.23:
	s_load_b32 s0, s[0:1], 0xc94
	s_mov_b32 s2, 0
	s_waitcnt lgkmcnt(0)
	s_and_b32 s0, s0, 0xffff
	s_delay_alu instid0(SALU_CYCLE_1)
	s_lshl_b32 s1, s0, 2
	s_set_inst_prefetch_distance 0x1
	.p2align	6
.LBB12_24:                              ; =>This Inner Loop Header: Depth=1
	v_add_co_u32 v3, vcc_lo, s6, v0
	v_add_co_ci_u32_e32 v4, vcc_lo, s7, v1, vcc_lo
	global_load_b32 v5, v[3:4], off
	v_add_co_u32 v3, vcc_lo, s14, v0
	v_add_co_ci_u32_e32 v4, vcc_lo, s15, v1, vcc_lo
	v_add_co_u32 v0, vcc_lo, s1, v0
	v_add_co_ci_u32_e32 v1, vcc_lo, 0, v1, vcc_lo
	s_delay_alu instid0(VALU_DEP_1) | instskip(SKIP_1) | instid1(VALU_DEP_1)
	v_cmp_le_i64_e32 vcc_lo, s[8:9], v[0:1]
	v_cmp_lt_u64_e64 s0, 0xffff, v[0:1]
	s_or_b32 s0, vcc_lo, s0
	s_delay_alu instid0(SALU_CYCLE_1) | instskip(NEXT) | instid1(SALU_CYCLE_1)
	s_and_b32 s0, exec_lo, s0
	s_or_b32 s2, s0, s2
	s_waitcnt vmcnt(0)
	v_lshrrev_b32_e32 v6, 16, v5
	v_lshrrev_b32_e32 v7, 8, v5
	;; [unrolled: 1-line block ×3, first 2 shown]
	v_add_nc_u16 v5, v2, v5
	s_delay_alu instid0(VALU_DEP_4) | instskip(NEXT) | instid1(VALU_DEP_4)
	v_add_nc_u16 v6, v2, v6
	v_add_nc_u16 v7, v2, v7
	s_delay_alu instid0(VALU_DEP_4) | instskip(NEXT) | instid1(VALU_DEP_4)
	v_add_nc_u16 v8, v2, v8
	v_and_b32_e32 v5, 0xff, v5
	s_delay_alu instid0(VALU_DEP_4) | instskip(NEXT) | instid1(VALU_DEP_4)
	v_and_b32_e32 v6, 0xff, v6
	v_and_b32_e32 v7, 0xff, v7
	s_delay_alu instid0(VALU_DEP_2) | instskip(NEXT) | instid1(VALU_DEP_2)
	v_lshlrev_b32_e32 v6, 16, v6
	v_lshlrev_b32_e32 v7, 8, v7
	s_delay_alu instid0(VALU_DEP_2) | instskip(NEXT) | instid1(VALU_DEP_1)
	v_lshl_or_b32 v6, v8, 24, v6
	v_or3_b32 v5, v6, v7, v5
	global_store_b32 v[3:4], v5, off
	s_and_not1_b32 exec_lo, exec_lo, s2
	s_cbranch_execnz .LBB12_24
.LBB12_25:
	s_set_inst_prefetch_distance 0x2
	s_nop 0
	s_sendmsg sendmsg(MSG_DEALLOC_VGPRS)
	s_endpgm
	.section	.rodata,"a",@progbits
	.p2align	6, 0x0
	.amdhsa_kernel _ZN2at6native12_GLOBAL__N_125multi_tensor_apply_kernelINS1_28TensorListScalarListMetadataIhLi2EEENS1_25BinaryOpScalarListFunctorIhLi2ELi1ELi1EEEJSt4plusIhEEEEvT_T0_DpT1_
		.amdhsa_group_segment_fixed_size 0
		.amdhsa_private_segment_fixed_size 0
		.amdhsa_kernarg_size 3464
		.amdhsa_user_sgpr_count 15
		.amdhsa_user_sgpr_dispatch_ptr 0
		.amdhsa_user_sgpr_queue_ptr 0
		.amdhsa_user_sgpr_kernarg_segment_ptr 1
		.amdhsa_user_sgpr_dispatch_id 0
		.amdhsa_user_sgpr_private_segment_size 0
		.amdhsa_wavefront_size32 1
		.amdhsa_uses_dynamic_stack 0
		.amdhsa_enable_private_segment 0
		.amdhsa_system_sgpr_workgroup_id_x 1
		.amdhsa_system_sgpr_workgroup_id_y 0
		.amdhsa_system_sgpr_workgroup_id_z 0
		.amdhsa_system_sgpr_workgroup_info 0
		.amdhsa_system_vgpr_workitem_id 0
		.amdhsa_next_free_vgpr 30
		.amdhsa_next_free_sgpr 22
		.amdhsa_reserve_vcc 1
		.amdhsa_float_round_mode_32 0
		.amdhsa_float_round_mode_16_64 0
		.amdhsa_float_denorm_mode_32 3
		.amdhsa_float_denorm_mode_16_64 3
		.amdhsa_dx10_clamp 1
		.amdhsa_ieee_mode 1
		.amdhsa_fp16_overflow 0
		.amdhsa_workgroup_processor_mode 1
		.amdhsa_memory_ordered 1
		.amdhsa_forward_progress 0
		.amdhsa_shared_vgpr_count 0
		.amdhsa_exception_fp_ieee_invalid_op 0
		.amdhsa_exception_fp_denorm_src 0
		.amdhsa_exception_fp_ieee_div_zero 0
		.amdhsa_exception_fp_ieee_overflow 0
		.amdhsa_exception_fp_ieee_underflow 0
		.amdhsa_exception_fp_ieee_inexact 0
		.amdhsa_exception_int_div_zero 0
	.end_amdhsa_kernel
	.section	.text._ZN2at6native12_GLOBAL__N_125multi_tensor_apply_kernelINS1_28TensorListScalarListMetadataIhLi2EEENS1_25BinaryOpScalarListFunctorIhLi2ELi1ELi1EEEJSt4plusIhEEEEvT_T0_DpT1_,"axG",@progbits,_ZN2at6native12_GLOBAL__N_125multi_tensor_apply_kernelINS1_28TensorListScalarListMetadataIhLi2EEENS1_25BinaryOpScalarListFunctorIhLi2ELi1ELi1EEEJSt4plusIhEEEEvT_T0_DpT1_,comdat
.Lfunc_end12:
	.size	_ZN2at6native12_GLOBAL__N_125multi_tensor_apply_kernelINS1_28TensorListScalarListMetadataIhLi2EEENS1_25BinaryOpScalarListFunctorIhLi2ELi1ELi1EEEJSt4plusIhEEEEvT_T0_DpT1_, .Lfunc_end12-_ZN2at6native12_GLOBAL__N_125multi_tensor_apply_kernelINS1_28TensorListScalarListMetadataIhLi2EEENS1_25BinaryOpScalarListFunctorIhLi2ELi1ELi1EEEJSt4plusIhEEEEvT_T0_DpT1_
                                        ; -- End function
	.section	.AMDGPU.csdata,"",@progbits
; Kernel info:
; codeLenInByte = 1400
; NumSgprs: 24
; NumVgprs: 30
; ScratchSize: 0
; MemoryBound: 0
; FloatMode: 240
; IeeeMode: 1
; LDSByteSize: 0 bytes/workgroup (compile time only)
; SGPRBlocks: 2
; VGPRBlocks: 3
; NumSGPRsForWavesPerEU: 24
; NumVGPRsForWavesPerEU: 30
; Occupancy: 16
; WaveLimiterHint : 0
; COMPUTE_PGM_RSRC2:SCRATCH_EN: 0
; COMPUTE_PGM_RSRC2:USER_SGPR: 15
; COMPUTE_PGM_RSRC2:TRAP_HANDLER: 0
; COMPUTE_PGM_RSRC2:TGID_X_EN: 1
; COMPUTE_PGM_RSRC2:TGID_Y_EN: 0
; COMPUTE_PGM_RSRC2:TGID_Z_EN: 0
; COMPUTE_PGM_RSRC2:TIDIG_COMP_CNT: 0
	.section	.text._ZN2at6native12_GLOBAL__N_125multi_tensor_apply_kernelINS1_28TensorListScalarListMetadataIaLi2EEENS1_25BinaryOpScalarListFunctorIaLi2ELi1ELi1EEEJSt4plusIaEEEEvT_T0_DpT1_,"axG",@progbits,_ZN2at6native12_GLOBAL__N_125multi_tensor_apply_kernelINS1_28TensorListScalarListMetadataIaLi2EEENS1_25BinaryOpScalarListFunctorIaLi2ELi1ELi1EEEJSt4plusIaEEEEvT_T0_DpT1_,comdat
	.globl	_ZN2at6native12_GLOBAL__N_125multi_tensor_apply_kernelINS1_28TensorListScalarListMetadataIaLi2EEENS1_25BinaryOpScalarListFunctorIaLi2ELi1ELi1EEEJSt4plusIaEEEEvT_T0_DpT1_ ; -- Begin function _ZN2at6native12_GLOBAL__N_125multi_tensor_apply_kernelINS1_28TensorListScalarListMetadataIaLi2EEENS1_25BinaryOpScalarListFunctorIaLi2ELi1ELi1EEEJSt4plusIaEEEEvT_T0_DpT1_
	.p2align	8
	.type	_ZN2at6native12_GLOBAL__N_125multi_tensor_apply_kernelINS1_28TensorListScalarListMetadataIaLi2EEENS1_25BinaryOpScalarListFunctorIaLi2ELi1ELi1EEEJSt4plusIaEEEEvT_T0_DpT1_,@function
_ZN2at6native12_GLOBAL__N_125multi_tensor_apply_kernelINS1_28TensorListScalarListMetadataIaLi2EEENS1_25BinaryOpScalarListFunctorIaLi2ELi1ELi1EEEJSt4plusIaEEEEvT_T0_DpT1_: ; @_ZN2at6native12_GLOBAL__N_125multi_tensor_apply_kernelINS1_28TensorListScalarListMetadataIaLi2EEENS1_25BinaryOpScalarListFunctorIaLi2ELi1ELi1EEEJSt4plusIaEEEEvT_T0_DpT1_
; %bb.0:
	v_mov_b32_e32 v1, s15
	s_mul_i32 s4, s15, 3
	s_mul_hi_u32 s5, s15, 3
	global_load_u8 v3, v1, s[0:1] offset:1600
	s_waitcnt vmcnt(0)
	v_add_co_u32 v1, s2, s0, v3
	s_delay_alu instid0(VALU_DEP_1)
	v_add_co_ci_u32_e64 v2, null, s1, 0, s2
	s_add_u32 s2, s0, s15
	s_addc_u32 s3, s1, 0
	s_add_u32 s2, s2, s4
	global_load_u8 v2, v[1:2], off offset:1536
	s_addc_u32 s3, s3, s5
	v_readfirstlane_b32 s4, v3
	s_load_b32 s6, s[2:3], 0x780
	s_delay_alu instid0(VALU_DEP_1)
	s_lshl_b32 s7, s4, 3
	s_clause 0x2
	s_load_b64 s[4:5], s[0:1], s7 offset:0x0
	s_load_b64 s[2:3], s[0:1], s7 offset:0x200
	;; [unrolled: 1-line block ×3, first 2 shown]
	s_waitcnt lgkmcnt(0)
	s_ashr_i32 s7, s6, 31
	s_delay_alu instid0(SALU_CYCLE_1) | instskip(NEXT) | instid1(SALU_CYCLE_1)
	s_lshl_b64 s[12:13], s[6:7], 16
	s_add_u32 s6, s4, s12
	s_addc_u32 s7, s5, s13
	s_add_u32 s14, s2, s12
	s_addc_u32 s15, s3, s13
	s_or_b64 s[10:11], s[8:9], s[6:7]
	s_delay_alu instid0(SALU_CYCLE_1) | instskip(NEXT) | instid1(SALU_CYCLE_1)
	s_or_b32 s10, s14, s10
	s_and_b32 s10, s10, 3
	s_sub_u32 s8, s8, s12
	s_subb_u32 s9, s9, s13
	s_cmp_eq_u32 s10, 0
	s_mov_b32 s10, -1
	s_cbranch_scc1 .LBB13_21
; %bb.1:
	v_cmp_lt_i64_e64 s10, s[8:9], 1
	s_delay_alu instid0(VALU_DEP_1)
	s_and_b32 vcc_lo, exec_lo, s10
	s_cbranch_vccnz .LBB13_20
; %bb.2:
	s_load_b32 s10, s[0:1], 0xc94
	v_add_co_u32 v16, s11, s12, v0
	s_delay_alu instid0(VALU_DEP_1) | instskip(SKIP_1) | instid1(VALU_DEP_3)
	v_add_co_ci_u32_e64 v17, null, s13, 0, s11
	v_cmp_gt_u64_e64 s11, 0x10000, s[8:9]
	v_add_co_u32 v1, vcc_lo, s4, v16
	s_delay_alu instid0(VALU_DEP_3)
	v_add_co_ci_u32_e32 v3, vcc_lo, s5, v17, vcc_lo
	v_add_co_u32 v4, vcc_lo, s2, v16
	v_add_co_ci_u32_e32 v5, vcc_lo, s3, v17, vcc_lo
	s_waitcnt lgkmcnt(0)
	s_and_b32 s17, s10, 0xffff
	s_and_b32 s10, s11, exec_lo
	s_mul_i32 s19, s17, 3
	s_cselect_b32 s11, s9, 0
	s_cselect_b32 s10, s8, 0x10000
	s_lshl_b32 s18, s17, 1
	s_lshl_b32 s16, s17, 2
	s_add_u32 s20, s12, s19
	s_addc_u32 s21, s13, 0
	v_add_co_u32 v8, s20, s20, v0
	s_delay_alu instid0(VALU_DEP_1) | instskip(SKIP_1) | instid1(VALU_DEP_2)
	v_add_co_ci_u32_e64 v9, null, s21, 0, s20
	s_add_u32 s12, s12, s18
	v_add_co_u32 v6, vcc_lo, s4, v8
	s_addc_u32 s13, s13, 0
	v_add_co_u32 v14, s12, s12, v0
	v_add_co_ci_u32_e32 v7, vcc_lo, s5, v9, vcc_lo
	v_add_co_u32 v8, vcc_lo, s2, v8
	v_add_co_ci_u32_e64 v15, null, s13, 0, s12
	v_add_co_ci_u32_e32 v9, vcc_lo, s3, v9, vcc_lo
	v_add_co_u32 v12, vcc_lo, s4, v14
	s_delay_alu instid0(VALU_DEP_3)
	v_add_co_ci_u32_e32 v13, vcc_lo, s5, v15, vcc_lo
	v_add_co_u32 v14, vcc_lo, s2, v14
	v_add_co_ci_u32_e32 v15, vcc_lo, s3, v15, vcc_lo
	v_add_co_u32 v20, vcc_lo, v16, s17
	v_add_co_ci_u32_e32 v21, vcc_lo, 0, v17, vcc_lo
	v_add_co_u32 v10, s12, s19, v0
	s_delay_alu instid0(VALU_DEP_3) | instskip(NEXT) | instid1(VALU_DEP_3)
	v_add_co_u32 v18, vcc_lo, s4, v20
	v_add_co_ci_u32_e32 v19, vcc_lo, s5, v21, vcc_lo
	v_add_co_ci_u32_e64 v11, null, 0, 0, s12
	v_add_co_u32 v16, s12, s18, v0
	v_add_co_u32 v20, vcc_lo, s2, v20
	v_add_co_u32 v22, s2, v0, s17
	v_add_co_ci_u32_e64 v17, null, 0, 0, s12
	v_add_co_ci_u32_e32 v21, vcc_lo, s3, v21, vcc_lo
	v_add_co_ci_u32_e64 v23, null, 0, 0, s2
	s_mov_b64 s[12:13], 0
	s_branch .LBB13_4
.LBB13_3:                               ;   in Loop: Header=BB13_4 Depth=1
	s_or_b32 exec_lo, exec_lo, s2
	s_add_u32 s12, s12, s16
	s_addc_u32 s13, s13, 0
	s_delay_alu instid0(SALU_CYCLE_1) | instskip(SKIP_1) | instid1(VALU_DEP_1)
	v_cmp_lt_i64_e64 s2, s[12:13], s[8:9]
	v_cmp_gt_u64_e64 s3, 0x10000, s[12:13]
	s_and_b32 s2, s2, s3
	s_delay_alu instid0(SALU_CYCLE_1)
	s_and_b32 vcc_lo, exec_lo, s2
	s_cbranch_vccz .LBB13_20
.LBB13_4:                               ; =>This Inner Loop Header: Depth=1
	s_waitcnt vmcnt(0)
	v_add_co_u32 v24, s2, v0, s12
	s_delay_alu instid0(VALU_DEP_1) | instskip(NEXT) | instid1(VALU_DEP_1)
	v_add_co_ci_u32_e64 v25, null, 0, s13, s2
	v_cmp_gt_u64_e32 vcc_lo, s[10:11], v[24:25]
	v_mov_b32_e32 v24, 0
	s_and_saveexec_b32 s3, vcc_lo
	s_cbranch_execz .LBB13_6
; %bb.5:                                ;   in Loop: Header=BB13_4 Depth=1
	v_add_co_u32 v24, s2, v1, s12
	s_delay_alu instid0(VALU_DEP_1)
	v_add_co_ci_u32_e64 v25, s2, s13, v3, s2
	global_load_u8 v24, v[24:25], off
.LBB13_6:                               ;   in Loop: Header=BB13_4 Depth=1
	s_or_b32 exec_lo, exec_lo, s3
	v_add_co_u32 v25, s2, v22, s12
	s_delay_alu instid0(VALU_DEP_1) | instskip(NEXT) | instid1(VALU_DEP_1)
	v_add_co_ci_u32_e64 v26, s2, s13, v23, s2
	v_cmp_gt_u64_e64 s2, s[10:11], v[25:26]
	v_mov_b32_e32 v26, 0
	s_delay_alu instid0(VALU_DEP_2)
	s_and_saveexec_b32 s4, s2
	s_cbranch_execz .LBB13_8
; %bb.7:                                ;   in Loop: Header=BB13_4 Depth=1
	v_add_co_u32 v25, s3, v18, s12
	s_delay_alu instid0(VALU_DEP_1)
	v_add_co_ci_u32_e64 v26, s3, s13, v19, s3
	global_load_u8 v26, v[25:26], off
.LBB13_8:                               ;   in Loop: Header=BB13_4 Depth=1
	s_or_b32 exec_lo, exec_lo, s4
	v_add_co_u32 v27, s3, v16, s12
	s_delay_alu instid0(VALU_DEP_1) | instskip(SKIP_1) | instid1(VALU_DEP_2)
	v_add_co_ci_u32_e64 v28, s3, s13, v17, s3
	v_mov_b32_e32 v25, 0
	v_cmp_gt_u64_e64 s3, s[10:11], v[27:28]
	v_mov_b32_e32 v27, 0
	s_delay_alu instid0(VALU_DEP_2)
	s_and_saveexec_b32 s5, s3
	s_cbranch_execz .LBB13_10
; %bb.9:                                ;   in Loop: Header=BB13_4 Depth=1
	v_add_co_u32 v27, s4, v12, s12
	s_delay_alu instid0(VALU_DEP_1)
	v_add_co_ci_u32_e64 v28, s4, s13, v13, s4
	global_load_u8 v27, v[27:28], off
.LBB13_10:                              ;   in Loop: Header=BB13_4 Depth=1
	s_or_b32 exec_lo, exec_lo, s5
	v_add_co_u32 v28, s4, v10, s12
	s_delay_alu instid0(VALU_DEP_1) | instskip(NEXT) | instid1(VALU_DEP_1)
	v_add_co_ci_u32_e64 v29, s4, s13, v11, s4
	v_cmp_gt_u64_e64 s4, s[10:11], v[28:29]
	s_delay_alu instid0(VALU_DEP_1)
	s_and_saveexec_b32 s17, s4
	s_cbranch_execnz .LBB13_15
; %bb.11:                               ;   in Loop: Header=BB13_4 Depth=1
	s_or_b32 exec_lo, exec_lo, s17
	s_and_saveexec_b32 s5, vcc_lo
	s_cbranch_execnz .LBB13_16
.LBB13_12:                              ;   in Loop: Header=BB13_4 Depth=1
	s_or_b32 exec_lo, exec_lo, s5
	s_and_saveexec_b32 s5, s2
	s_cbranch_execnz .LBB13_17
.LBB13_13:                              ;   in Loop: Header=BB13_4 Depth=1
	s_or_b32 exec_lo, exec_lo, s5
	s_and_saveexec_b32 s2, s3
	s_cbranch_execnz .LBB13_18
.LBB13_14:                              ;   in Loop: Header=BB13_4 Depth=1
	s_or_b32 exec_lo, exec_lo, s2
	s_and_saveexec_b32 s2, s4
	s_cbranch_execz .LBB13_3
	s_branch .LBB13_19
.LBB13_15:                              ;   in Loop: Header=BB13_4 Depth=1
	v_add_co_u32 v28, s5, v6, s12
	s_delay_alu instid0(VALU_DEP_1)
	v_add_co_ci_u32_e64 v29, s5, s13, v7, s5
	global_load_u8 v25, v[28:29], off
	s_or_b32 exec_lo, exec_lo, s17
	s_and_saveexec_b32 s5, vcc_lo
	s_cbranch_execz .LBB13_12
.LBB13_16:                              ;   in Loop: Header=BB13_4 Depth=1
	v_add_co_u32 v28, vcc_lo, v4, s12
	s_waitcnt vmcnt(0)
	v_add_nc_u16 v24, v24, v2
	v_add_co_ci_u32_e32 v29, vcc_lo, s13, v5, vcc_lo
	global_store_b8 v[28:29], v24, off
	s_or_b32 exec_lo, exec_lo, s5
	s_and_saveexec_b32 s5, s2
	s_cbranch_execz .LBB13_13
.LBB13_17:                              ;   in Loop: Header=BB13_4 Depth=1
	v_add_co_u32 v28, vcc_lo, v20, s12
	s_waitcnt vmcnt(0)
	v_add_nc_u16 v24, v26, v2
	v_add_co_ci_u32_e32 v29, vcc_lo, s13, v21, vcc_lo
	global_store_b8 v[28:29], v24, off
	s_or_b32 exec_lo, exec_lo, s5
	s_and_saveexec_b32 s2, s3
	s_cbranch_execz .LBB13_14
.LBB13_18:                              ;   in Loop: Header=BB13_4 Depth=1
	s_waitcnt vmcnt(0)
	v_add_co_u32 v26, vcc_lo, v14, s12
	v_add_nc_u16 v24, v27, v2
	v_add_co_ci_u32_e32 v27, vcc_lo, s13, v15, vcc_lo
	global_store_b8 v[26:27], v24, off
	s_or_b32 exec_lo, exec_lo, s2
	s_and_saveexec_b32 s2, s4
	s_cbranch_execz .LBB13_3
.LBB13_19:                              ;   in Loop: Header=BB13_4 Depth=1
	s_waitcnt vmcnt(0)
	v_add_co_u32 v24, vcc_lo, v8, s12
	v_add_nc_u16 v26, v25, v2
	v_add_co_ci_u32_e32 v25, vcc_lo, s13, v9, vcc_lo
	global_store_b8 v[24:25], v26, off
	s_branch .LBB13_3
.LBB13_20:
	s_mov_b32 s10, 0
.LBB13_21:
	s_delay_alu instid0(SALU_CYCLE_1)
	s_and_not1_b32 vcc_lo, exec_lo, s10
	s_cbranch_vccnz .LBB13_25
; %bb.22:
	v_dual_mov_b32 v1, 0 :: v_dual_lshlrev_b32 v0, 2, v0
	s_mov_b32 s2, exec_lo
	s_delay_alu instid0(VALU_DEP_1)
	v_cmpx_gt_i64_e64 s[8:9], v[0:1]
	s_cbranch_execz .LBB13_25
; %bb.23:
	s_load_b32 s0, s[0:1], 0xc94
	s_mov_b32 s2, 0
	s_waitcnt lgkmcnt(0)
	s_and_b32 s0, s0, 0xffff
	s_delay_alu instid0(SALU_CYCLE_1)
	s_lshl_b32 s1, s0, 2
	s_set_inst_prefetch_distance 0x1
	.p2align	6
.LBB13_24:                              ; =>This Inner Loop Header: Depth=1
	v_add_co_u32 v3, vcc_lo, s6, v0
	v_add_co_ci_u32_e32 v4, vcc_lo, s7, v1, vcc_lo
	global_load_b32 v5, v[3:4], off
	v_add_co_u32 v3, vcc_lo, s14, v0
	v_add_co_ci_u32_e32 v4, vcc_lo, s15, v1, vcc_lo
	v_add_co_u32 v0, vcc_lo, s1, v0
	v_add_co_ci_u32_e32 v1, vcc_lo, 0, v1, vcc_lo
	s_delay_alu instid0(VALU_DEP_1) | instskip(SKIP_1) | instid1(VALU_DEP_1)
	v_cmp_le_i64_e32 vcc_lo, s[8:9], v[0:1]
	v_cmp_lt_u64_e64 s0, 0xffff, v[0:1]
	s_or_b32 s0, vcc_lo, s0
	s_delay_alu instid0(SALU_CYCLE_1) | instskip(NEXT) | instid1(SALU_CYCLE_1)
	s_and_b32 s0, exec_lo, s0
	s_or_b32 s2, s0, s2
	s_waitcnt vmcnt(0)
	v_lshrrev_b32_e32 v6, 16, v5
	v_lshrrev_b32_e32 v7, 8, v5
	;; [unrolled: 1-line block ×3, first 2 shown]
	v_add_nc_u16 v5, v2, v5
	s_delay_alu instid0(VALU_DEP_4) | instskip(NEXT) | instid1(VALU_DEP_4)
	v_add_nc_u16 v6, v2, v6
	v_add_nc_u16 v7, v2, v7
	s_delay_alu instid0(VALU_DEP_4) | instskip(NEXT) | instid1(VALU_DEP_4)
	v_add_nc_u16 v8, v2, v8
	v_and_b32_e32 v5, 0xff, v5
	s_delay_alu instid0(VALU_DEP_4) | instskip(NEXT) | instid1(VALU_DEP_4)
	v_and_b32_e32 v6, 0xff, v6
	v_and_b32_e32 v7, 0xff, v7
	s_delay_alu instid0(VALU_DEP_2) | instskip(NEXT) | instid1(VALU_DEP_2)
	v_lshlrev_b32_e32 v6, 16, v6
	v_lshlrev_b32_e32 v7, 8, v7
	s_delay_alu instid0(VALU_DEP_2) | instskip(NEXT) | instid1(VALU_DEP_1)
	v_lshl_or_b32 v6, v8, 24, v6
	v_or3_b32 v5, v6, v7, v5
	global_store_b32 v[3:4], v5, off
	s_and_not1_b32 exec_lo, exec_lo, s2
	s_cbranch_execnz .LBB13_24
.LBB13_25:
	s_set_inst_prefetch_distance 0x2
	s_nop 0
	s_sendmsg sendmsg(MSG_DEALLOC_VGPRS)
	s_endpgm
	.section	.rodata,"a",@progbits
	.p2align	6, 0x0
	.amdhsa_kernel _ZN2at6native12_GLOBAL__N_125multi_tensor_apply_kernelINS1_28TensorListScalarListMetadataIaLi2EEENS1_25BinaryOpScalarListFunctorIaLi2ELi1ELi1EEEJSt4plusIaEEEEvT_T0_DpT1_
		.amdhsa_group_segment_fixed_size 0
		.amdhsa_private_segment_fixed_size 0
		.amdhsa_kernarg_size 3464
		.amdhsa_user_sgpr_count 15
		.amdhsa_user_sgpr_dispatch_ptr 0
		.amdhsa_user_sgpr_queue_ptr 0
		.amdhsa_user_sgpr_kernarg_segment_ptr 1
		.amdhsa_user_sgpr_dispatch_id 0
		.amdhsa_user_sgpr_private_segment_size 0
		.amdhsa_wavefront_size32 1
		.amdhsa_uses_dynamic_stack 0
		.amdhsa_enable_private_segment 0
		.amdhsa_system_sgpr_workgroup_id_x 1
		.amdhsa_system_sgpr_workgroup_id_y 0
		.amdhsa_system_sgpr_workgroup_id_z 0
		.amdhsa_system_sgpr_workgroup_info 0
		.amdhsa_system_vgpr_workitem_id 0
		.amdhsa_next_free_vgpr 30
		.amdhsa_next_free_sgpr 22
		.amdhsa_reserve_vcc 1
		.amdhsa_float_round_mode_32 0
		.amdhsa_float_round_mode_16_64 0
		.amdhsa_float_denorm_mode_32 3
		.amdhsa_float_denorm_mode_16_64 3
		.amdhsa_dx10_clamp 1
		.amdhsa_ieee_mode 1
		.amdhsa_fp16_overflow 0
		.amdhsa_workgroup_processor_mode 1
		.amdhsa_memory_ordered 1
		.amdhsa_forward_progress 0
		.amdhsa_shared_vgpr_count 0
		.amdhsa_exception_fp_ieee_invalid_op 0
		.amdhsa_exception_fp_denorm_src 0
		.amdhsa_exception_fp_ieee_div_zero 0
		.amdhsa_exception_fp_ieee_overflow 0
		.amdhsa_exception_fp_ieee_underflow 0
		.amdhsa_exception_fp_ieee_inexact 0
		.amdhsa_exception_int_div_zero 0
	.end_amdhsa_kernel
	.section	.text._ZN2at6native12_GLOBAL__N_125multi_tensor_apply_kernelINS1_28TensorListScalarListMetadataIaLi2EEENS1_25BinaryOpScalarListFunctorIaLi2ELi1ELi1EEEJSt4plusIaEEEEvT_T0_DpT1_,"axG",@progbits,_ZN2at6native12_GLOBAL__N_125multi_tensor_apply_kernelINS1_28TensorListScalarListMetadataIaLi2EEENS1_25BinaryOpScalarListFunctorIaLi2ELi1ELi1EEEJSt4plusIaEEEEvT_T0_DpT1_,comdat
.Lfunc_end13:
	.size	_ZN2at6native12_GLOBAL__N_125multi_tensor_apply_kernelINS1_28TensorListScalarListMetadataIaLi2EEENS1_25BinaryOpScalarListFunctorIaLi2ELi1ELi1EEEJSt4plusIaEEEEvT_T0_DpT1_, .Lfunc_end13-_ZN2at6native12_GLOBAL__N_125multi_tensor_apply_kernelINS1_28TensorListScalarListMetadataIaLi2EEENS1_25BinaryOpScalarListFunctorIaLi2ELi1ELi1EEEJSt4plusIaEEEEvT_T0_DpT1_
                                        ; -- End function
	.section	.AMDGPU.csdata,"",@progbits
; Kernel info:
; codeLenInByte = 1400
; NumSgprs: 24
; NumVgprs: 30
; ScratchSize: 0
; MemoryBound: 0
; FloatMode: 240
; IeeeMode: 1
; LDSByteSize: 0 bytes/workgroup (compile time only)
; SGPRBlocks: 2
; VGPRBlocks: 3
; NumSGPRsForWavesPerEU: 24
; NumVGPRsForWavesPerEU: 30
; Occupancy: 16
; WaveLimiterHint : 0
; COMPUTE_PGM_RSRC2:SCRATCH_EN: 0
; COMPUTE_PGM_RSRC2:USER_SGPR: 15
; COMPUTE_PGM_RSRC2:TRAP_HANDLER: 0
; COMPUTE_PGM_RSRC2:TGID_X_EN: 1
; COMPUTE_PGM_RSRC2:TGID_Y_EN: 0
; COMPUTE_PGM_RSRC2:TGID_Z_EN: 0
; COMPUTE_PGM_RSRC2:TIDIG_COMP_CNT: 0
	.section	.text._ZN2at6native12_GLOBAL__N_125multi_tensor_apply_kernelINS1_28TensorListScalarListMetadataIiLi2EEENS1_25BinaryOpScalarListFunctorIiLi2ELi1ELi1EEEJSt4plusIiEEEEvT_T0_DpT1_,"axG",@progbits,_ZN2at6native12_GLOBAL__N_125multi_tensor_apply_kernelINS1_28TensorListScalarListMetadataIiLi2EEENS1_25BinaryOpScalarListFunctorIiLi2ELi1ELi1EEEJSt4plusIiEEEEvT_T0_DpT1_,comdat
	.globl	_ZN2at6native12_GLOBAL__N_125multi_tensor_apply_kernelINS1_28TensorListScalarListMetadataIiLi2EEENS1_25BinaryOpScalarListFunctorIiLi2ELi1ELi1EEEJSt4plusIiEEEEvT_T0_DpT1_ ; -- Begin function _ZN2at6native12_GLOBAL__N_125multi_tensor_apply_kernelINS1_28TensorListScalarListMetadataIiLi2EEENS1_25BinaryOpScalarListFunctorIiLi2ELi1ELi1EEEJSt4plusIiEEEEvT_T0_DpT1_
	.p2align	8
	.type	_ZN2at6native12_GLOBAL__N_125multi_tensor_apply_kernelINS1_28TensorListScalarListMetadataIiLi2EEENS1_25BinaryOpScalarListFunctorIiLi2ELi1ELi1EEEJSt4plusIiEEEEvT_T0_DpT1_,@function
_ZN2at6native12_GLOBAL__N_125multi_tensor_apply_kernelINS1_28TensorListScalarListMetadataIiLi2EEENS1_25BinaryOpScalarListFunctorIiLi2ELi1ELi1EEEJSt4plusIiEEEEvT_T0_DpT1_: ; @_ZN2at6native12_GLOBAL__N_125multi_tensor_apply_kernelINS1_28TensorListScalarListMetadataIiLi2EEENS1_25BinaryOpScalarListFunctorIiLi2ELi1ELi1EEEJSt4plusIiEEEEvT_T0_DpT1_
; %bb.0:
	v_mov_b32_e32 v1, s15
	s_add_u32 s2, s0, s15
	s_mul_hi_u32 s3, s15, 3
	s_mul_i32 s15, s15, 3
	s_addc_u32 s4, s1, 0
	global_load_u8 v1, v1, s[0:1] offset:1792
	s_add_u32 s2, s2, s15
	s_addc_u32 s3, s4, s3
	s_mov_b32 s13, 0
	s_load_b32 s6, s[2:3], 0x840
	s_waitcnt lgkmcnt(0)
	s_ashr_i32 s7, s6, 31
	s_waitcnt vmcnt(0)
	v_readfirstlane_b32 s2, v1
	v_lshlrev_b32_e32 v1, 2, v1
	s_delay_alu instid0(VALU_DEP_2)
	s_lshl_b32 s8, s2, 3
	s_clause 0x2
	s_load_b64 s[10:11], s[0:1], s8 offset:0x400
	s_load_b64 s[4:5], s[0:1], s8 offset:0x0
	;; [unrolled: 1-line block ×3, first 2 shown]
	s_add_u32 s8, s0, s8
	s_addc_u32 s9, s1, 0
	v_sub_co_u32 v1, s8, s8, v1
	s_delay_alu instid0(VALU_DEP_1) | instskip(NEXT) | instid1(VALU_DEP_2)
	v_sub_co_ci_u32_e64 v2, null, s9, 0, s8
	v_readfirstlane_b32 s8, v1
	s_delay_alu instid0(VALU_DEP_2)
	v_readfirstlane_b32 s9, v2
	s_load_b32 s14, s[8:9], 0x600
	s_lshl_b64 s[8:9], s[6:7], 18
	s_waitcnt lgkmcnt(0)
	s_add_u32 s15, s4, s8
	s_addc_u32 s16, s5, s9
	s_and_b32 s12, s15, 15
	s_add_u32 s17, s2, s8
	s_addc_u32 s18, s3, s9
	s_and_b32 s19, s10, 3
	s_and_b32 s20, s17, 15
	s_or_b32 s12, s12, s19
	s_lshl_b64 s[6:7], s[6:7], 16
	s_or_b32 s12, s20, s12
	s_sub_u32 s6, s10, s6
	s_subb_u32 s7, s11, s7
	s_cmp_eq_u64 s[12:13], 0
	s_mov_b32 s10, -1
	s_cbranch_scc1 .LBB14_21
; %bb.1:
	v_cmp_lt_i64_e64 s10, s[6:7], 1
	s_delay_alu instid0(VALU_DEP_1)
	s_and_b32 vcc_lo, exec_lo, s10
	s_cbranch_vccnz .LBB14_20
; %bb.2:
	s_load_b32 s10, s[0:1], 0xd54
	v_dual_mov_b32 v10, 0 :: v_dual_lshlrev_b32 v9, 2, v0
	v_cmp_gt_u64_e64 s11, 0x10000, s[6:7]
	s_delay_alu instid0(VALU_DEP_2) | instskip(NEXT) | instid1(VALU_DEP_1)
	v_add_co_u32 v1, s12, s4, v9
	v_add_co_ci_u32_e64 v2, null, s5, 0, s12
	v_add_co_u32 v3, s12, s2, v9
	s_delay_alu instid0(VALU_DEP_1)
	v_add_co_ci_u32_e64 v4, null, s3, 0, s12
	s_waitcnt lgkmcnt(0)
	s_and_b32 s12, s10, 0xffff
	s_and_b32 s10, s11, exec_lo
	v_mad_u64_u32 v[7:8], null, s12, 12, v[9:10]
	s_cselect_b32 s11, s7, 0
	s_cselect_b32 s10, s6, 0x10000
	s_mul_i32 s19, s12, 3
	s_lshl_b32 s20, s12, 3
	s_lshl_b32 s13, s12, 1
	v_add_co_u32 v14, s20, s20, v9
	v_add_co_u32 v9, s19, s19, v0
	s_delay_alu instid0(VALU_DEP_1)
	v_add_co_ci_u32_e64 v10, null, 0, 0, s19
	v_add_co_u32 v13, s19, v0, s12
	v_add_co_u32 v5, vcc_lo, s4, v7
	v_add_co_ci_u32_e32 v6, vcc_lo, s5, v8, vcc_lo
	v_add_co_u32 v7, vcc_lo, s2, v7
	v_add_co_ci_u32_e64 v15, null, 0, 0, s20
	v_lshlrev_b32_e32 v21, 2, v13
	v_add_co_ci_u32_e32 v8, vcc_lo, s3, v8, vcc_lo
	v_add_co_u32 v11, vcc_lo, s4, v14
	s_delay_alu instid0(VALU_DEP_4)
	v_add_co_ci_u32_e32 v12, vcc_lo, s5, v15, vcc_lo
	v_add_co_u32 v14, vcc_lo, s2, v14
	v_add_co_u32 v17, s13, s13, v0
	v_add_co_u32 v19, s4, s4, v21
	;; [unrolled: 1-line block ×3, first 2 shown]
	v_add_co_ci_u32_e32 v15, vcc_lo, s3, v15, vcc_lo
	v_add_co_ci_u32_e64 v16, null, 0, 0, s19
	v_add_co_ci_u32_e64 v18, null, 0, 0, s13
	;; [unrolled: 1-line block ×4, first 2 shown]
	s_lshl_b32 s19, s12, 2
	s_lshl_b32 s20, s12, 4
	s_mov_b64 s[12:13], 0
	s_branch .LBB14_4
.LBB14_3:                               ;   in Loop: Header=BB14_4 Depth=1
	s_or_b32 exec_lo, exec_lo, s2
	v_add_co_u32 v1, vcc_lo, v1, s20
	v_add_co_ci_u32_e32 v2, vcc_lo, 0, v2, vcc_lo
	v_add_co_u32 v3, vcc_lo, v3, s20
	v_add_co_ci_u32_e32 v4, vcc_lo, 0, v4, vcc_lo
	;; [unrolled: 2-line block ×5, first 2 shown]
	s_add_u32 s12, s12, s19
	v_add_co_u32 v14, vcc_lo, v14, s20
	s_addc_u32 s13, s13, 0
	v_add_co_ci_u32_e32 v15, vcc_lo, 0, v15, vcc_lo
	v_cmp_lt_i64_e64 s2, s[12:13], s[6:7]
	v_cmp_gt_u64_e64 s3, 0x10000, s[12:13]
	v_add_co_u32 v19, vcc_lo, v19, s20
	v_add_co_ci_u32_e32 v20, vcc_lo, 0, v20, vcc_lo
	v_add_co_u32 v21, vcc_lo, v21, s20
	v_add_co_ci_u32_e32 v22, vcc_lo, 0, v22, vcc_lo
	s_and_b32 s2, s2, s3
	s_delay_alu instid0(SALU_CYCLE_1)
	s_and_b32 vcc_lo, exec_lo, s2
	s_cbranch_vccz .LBB14_20
.LBB14_4:                               ; =>This Inner Loop Header: Depth=1
	s_waitcnt vmcnt(0)
	v_add_co_u32 v23, s2, v0, s12
	s_delay_alu instid0(VALU_DEP_1) | instskip(NEXT) | instid1(VALU_DEP_1)
	v_add_co_ci_u32_e64 v24, null, 0, s13, s2
	v_cmp_gt_u64_e32 vcc_lo, s[10:11], v[23:24]
	v_mov_b32_e32 v23, 0
	s_and_saveexec_b32 s3, vcc_lo
	s_cbranch_execz .LBB14_6
; %bb.5:                                ;   in Loop: Header=BB14_4 Depth=1
	v_add_co_u32 v23, s2, v1, s8
	s_delay_alu instid0(VALU_DEP_1)
	v_add_co_ci_u32_e64 v24, s2, s9, v2, s2
	global_load_b32 v23, v[23:24], off
.LBB14_6:                               ;   in Loop: Header=BB14_4 Depth=1
	s_or_b32 exec_lo, exec_lo, s3
	v_add_co_u32 v24, s2, v13, s12
	s_delay_alu instid0(VALU_DEP_1) | instskip(NEXT) | instid1(VALU_DEP_1)
	v_add_co_ci_u32_e64 v25, s2, s13, v16, s2
	v_cmp_gt_u64_e64 s2, s[10:11], v[24:25]
	v_mov_b32_e32 v25, 0
	s_delay_alu instid0(VALU_DEP_2)
	s_and_saveexec_b32 s4, s2
	s_cbranch_execz .LBB14_8
; %bb.7:                                ;   in Loop: Header=BB14_4 Depth=1
	v_add_co_u32 v24, s3, v19, s8
	s_delay_alu instid0(VALU_DEP_1)
	v_add_co_ci_u32_e64 v25, s3, s9, v20, s3
	global_load_b32 v25, v[24:25], off
.LBB14_8:                               ;   in Loop: Header=BB14_4 Depth=1
	s_or_b32 exec_lo, exec_lo, s4
	v_add_co_u32 v26, s3, v17, s12
	s_delay_alu instid0(VALU_DEP_1) | instskip(SKIP_1) | instid1(VALU_DEP_2)
	v_add_co_ci_u32_e64 v27, s3, s13, v18, s3
	v_mov_b32_e32 v24, 0
	v_cmp_gt_u64_e64 s3, s[10:11], v[26:27]
	v_mov_b32_e32 v26, 0
	s_delay_alu instid0(VALU_DEP_2)
	s_and_saveexec_b32 s5, s3
	s_cbranch_execz .LBB14_10
; %bb.9:                                ;   in Loop: Header=BB14_4 Depth=1
	v_add_co_u32 v26, s4, v11, s8
	s_delay_alu instid0(VALU_DEP_1)
	v_add_co_ci_u32_e64 v27, s4, s9, v12, s4
	global_load_b32 v26, v[26:27], off
.LBB14_10:                              ;   in Loop: Header=BB14_4 Depth=1
	s_or_b32 exec_lo, exec_lo, s5
	v_add_co_u32 v27, s4, v9, s12
	s_delay_alu instid0(VALU_DEP_1) | instskip(NEXT) | instid1(VALU_DEP_1)
	v_add_co_ci_u32_e64 v28, s4, s13, v10, s4
	v_cmp_gt_u64_e64 s4, s[10:11], v[27:28]
	s_delay_alu instid0(VALU_DEP_1)
	s_and_saveexec_b32 s21, s4
	s_cbranch_execnz .LBB14_15
; %bb.11:                               ;   in Loop: Header=BB14_4 Depth=1
	s_or_b32 exec_lo, exec_lo, s21
	s_and_saveexec_b32 s5, vcc_lo
	s_cbranch_execnz .LBB14_16
.LBB14_12:                              ;   in Loop: Header=BB14_4 Depth=1
	s_or_b32 exec_lo, exec_lo, s5
	s_and_saveexec_b32 s5, s2
	s_cbranch_execnz .LBB14_17
.LBB14_13:                              ;   in Loop: Header=BB14_4 Depth=1
	s_or_b32 exec_lo, exec_lo, s5
	s_and_saveexec_b32 s2, s3
	s_cbranch_execnz .LBB14_18
.LBB14_14:                              ;   in Loop: Header=BB14_4 Depth=1
	s_or_b32 exec_lo, exec_lo, s2
	s_and_saveexec_b32 s2, s4
	s_cbranch_execz .LBB14_3
	s_branch .LBB14_19
.LBB14_15:                              ;   in Loop: Header=BB14_4 Depth=1
	v_add_co_u32 v27, s5, v5, s8
	s_delay_alu instid0(VALU_DEP_1)
	v_add_co_ci_u32_e64 v28, s5, s9, v6, s5
	global_load_b32 v24, v[27:28], off
	s_or_b32 exec_lo, exec_lo, s21
	s_and_saveexec_b32 s5, vcc_lo
	s_cbranch_execz .LBB14_12
.LBB14_16:                              ;   in Loop: Header=BB14_4 Depth=1
	v_add_co_u32 v27, vcc_lo, v3, s8
	s_waitcnt vmcnt(0)
	v_add_nc_u32_e32 v23, s14, v23
	v_add_co_ci_u32_e32 v28, vcc_lo, s9, v4, vcc_lo
	global_store_b32 v[27:28], v23, off
	s_or_b32 exec_lo, exec_lo, s5
	s_and_saveexec_b32 s5, s2
	s_cbranch_execz .LBB14_13
.LBB14_17:                              ;   in Loop: Header=BB14_4 Depth=1
	v_add_co_u32 v27, vcc_lo, v21, s8
	s_waitcnt vmcnt(0)
	v_add_nc_u32_e32 v23, s14, v25
	v_add_co_ci_u32_e32 v28, vcc_lo, s9, v22, vcc_lo
	global_store_b32 v[27:28], v23, off
	s_or_b32 exec_lo, exec_lo, s5
	s_and_saveexec_b32 s2, s3
	s_cbranch_execz .LBB14_14
.LBB14_18:                              ;   in Loop: Header=BB14_4 Depth=1
	s_waitcnt vmcnt(0)
	v_add_co_u32 v25, vcc_lo, v14, s8
	v_add_nc_u32_e32 v23, s14, v26
	v_add_co_ci_u32_e32 v26, vcc_lo, s9, v15, vcc_lo
	global_store_b32 v[25:26], v23, off
	s_or_b32 exec_lo, exec_lo, s2
	s_and_saveexec_b32 s2, s4
	s_cbranch_execz .LBB14_3
.LBB14_19:                              ;   in Loop: Header=BB14_4 Depth=1
	s_waitcnt vmcnt(0)
	v_add_co_u32 v23, vcc_lo, v7, s8
	v_add_nc_u32_e32 v25, s14, v24
	v_add_co_ci_u32_e32 v24, vcc_lo, s9, v8, vcc_lo
	global_store_b32 v[23:24], v25, off
	s_branch .LBB14_3
.LBB14_20:
	s_mov_b32 s10, 0
.LBB14_21:
	s_delay_alu instid0(SALU_CYCLE_1)
	s_and_not1_b32 vcc_lo, exec_lo, s10
	s_cbranch_vccnz .LBB14_25
; %bb.22:
	v_dual_mov_b32 v2, 0 :: v_dual_lshlrev_b32 v1, 2, v0
	s_mov_b32 s2, 0
	s_mov_b32 s3, exec_lo
	s_delay_alu instid0(VALU_DEP_1)
	v_cmpx_gt_i64_e64 s[6:7], v[1:2]
	s_cbranch_execz .LBB14_25
; %bb.23:
	s_load_b32 s0, s[0:1], 0xd54
	s_waitcnt lgkmcnt(0)
	s_and_b32 s0, s0, 0xffff
	s_delay_alu instid0(SALU_CYCLE_1)
	v_add_lshl_u32 v1, v0, s0, 2
	v_lshlrev_b32_e32 v0, 4, v0
	s_lshl_b32 s3, s0, 2
	s_lshl_b32 s4, s0, 4
	s_set_inst_prefetch_distance 0x1
	.p2align	6
.LBB14_24:                              ; =>This Inner Loop Header: Depth=1
	s_delay_alu instid0(VALU_DEP_1) | instskip(NEXT) | instid1(VALU_DEP_1)
	v_add_co_u32 v3, s0, s15, v0
	v_add_co_ci_u32_e64 v4, null, s16, 0, s0
	v_cmp_le_i64_e32 vcc_lo, s[6:7], v[1:2]
	v_cmp_lt_u64_e64 s0, 0xffff, v[1:2]
	v_add_co_u32 v7, s1, s17, v0
	global_load_b128 v[3:6], v[3:4], off
	v_add_co_ci_u32_e64 v8, null, s18, 0, s1
	s_or_b32 s0, vcc_lo, s0
	s_add_u32 s15, s15, s4
	v_add_co_u32 v1, s1, v1, s3
	s_addc_u32 s16, s16, 0
	s_add_u32 s17, s17, s4
	v_add_co_ci_u32_e64 v2, s1, 0, v2, s1
	s_addc_u32 s18, s18, 0
	s_and_b32 s0, exec_lo, s0
	s_delay_alu instid0(SALU_CYCLE_1)
	s_or_b32 s2, s0, s2
	s_waitcnt vmcnt(0)
	v_add_nc_u32_e32 v3, s14, v3
	v_add_nc_u32_e32 v4, s14, v4
	;; [unrolled: 1-line block ×4, first 2 shown]
	global_store_b128 v[7:8], v[3:6], off
	s_and_not1_b32 exec_lo, exec_lo, s2
	s_cbranch_execnz .LBB14_24
.LBB14_25:
	s_set_inst_prefetch_distance 0x2
	s_nop 0
	s_sendmsg sendmsg(MSG_DEALLOC_VGPRS)
	s_endpgm
	.section	.rodata,"a",@progbits
	.p2align	6, 0x0
	.amdhsa_kernel _ZN2at6native12_GLOBAL__N_125multi_tensor_apply_kernelINS1_28TensorListScalarListMetadataIiLi2EEENS1_25BinaryOpScalarListFunctorIiLi2ELi1ELi1EEEJSt4plusIiEEEEvT_T0_DpT1_
		.amdhsa_group_segment_fixed_size 0
		.amdhsa_private_segment_fixed_size 0
		.amdhsa_kernarg_size 3656
		.amdhsa_user_sgpr_count 15
		.amdhsa_user_sgpr_dispatch_ptr 0
		.amdhsa_user_sgpr_queue_ptr 0
		.amdhsa_user_sgpr_kernarg_segment_ptr 1
		.amdhsa_user_sgpr_dispatch_id 0
		.amdhsa_user_sgpr_private_segment_size 0
		.amdhsa_wavefront_size32 1
		.amdhsa_uses_dynamic_stack 0
		.amdhsa_enable_private_segment 0
		.amdhsa_system_sgpr_workgroup_id_x 1
		.amdhsa_system_sgpr_workgroup_id_y 0
		.amdhsa_system_sgpr_workgroup_id_z 0
		.amdhsa_system_sgpr_workgroup_info 0
		.amdhsa_system_vgpr_workitem_id 0
		.amdhsa_next_free_vgpr 29
		.amdhsa_next_free_sgpr 22
		.amdhsa_reserve_vcc 1
		.amdhsa_float_round_mode_32 0
		.amdhsa_float_round_mode_16_64 0
		.amdhsa_float_denorm_mode_32 3
		.amdhsa_float_denorm_mode_16_64 3
		.amdhsa_dx10_clamp 1
		.amdhsa_ieee_mode 1
		.amdhsa_fp16_overflow 0
		.amdhsa_workgroup_processor_mode 1
		.amdhsa_memory_ordered 1
		.amdhsa_forward_progress 0
		.amdhsa_shared_vgpr_count 0
		.amdhsa_exception_fp_ieee_invalid_op 0
		.amdhsa_exception_fp_denorm_src 0
		.amdhsa_exception_fp_ieee_div_zero 0
		.amdhsa_exception_fp_ieee_overflow 0
		.amdhsa_exception_fp_ieee_underflow 0
		.amdhsa_exception_fp_ieee_inexact 0
		.amdhsa_exception_int_div_zero 0
	.end_amdhsa_kernel
	.section	.text._ZN2at6native12_GLOBAL__N_125multi_tensor_apply_kernelINS1_28TensorListScalarListMetadataIiLi2EEENS1_25BinaryOpScalarListFunctorIiLi2ELi1ELi1EEEJSt4plusIiEEEEvT_T0_DpT1_,"axG",@progbits,_ZN2at6native12_GLOBAL__N_125multi_tensor_apply_kernelINS1_28TensorListScalarListMetadataIiLi2EEENS1_25BinaryOpScalarListFunctorIiLi2ELi1ELi1EEEJSt4plusIiEEEEvT_T0_DpT1_,comdat
.Lfunc_end14:
	.size	_ZN2at6native12_GLOBAL__N_125multi_tensor_apply_kernelINS1_28TensorListScalarListMetadataIiLi2EEENS1_25BinaryOpScalarListFunctorIiLi2ELi1ELi1EEEJSt4plusIiEEEEvT_T0_DpT1_, .Lfunc_end14-_ZN2at6native12_GLOBAL__N_125multi_tensor_apply_kernelINS1_28TensorListScalarListMetadataIiLi2EEENS1_25BinaryOpScalarListFunctorIiLi2ELi1ELi1EEEJSt4plusIiEEEEvT_T0_DpT1_
                                        ; -- End function
	.section	.AMDGPU.csdata,"",@progbits
; Kernel info:
; codeLenInByte = 1440
; NumSgprs: 24
; NumVgprs: 29
; ScratchSize: 0
; MemoryBound: 0
; FloatMode: 240
; IeeeMode: 1
; LDSByteSize: 0 bytes/workgroup (compile time only)
; SGPRBlocks: 2
; VGPRBlocks: 3
; NumSGPRsForWavesPerEU: 24
; NumVGPRsForWavesPerEU: 29
; Occupancy: 16
; WaveLimiterHint : 0
; COMPUTE_PGM_RSRC2:SCRATCH_EN: 0
; COMPUTE_PGM_RSRC2:USER_SGPR: 15
; COMPUTE_PGM_RSRC2:TRAP_HANDLER: 0
; COMPUTE_PGM_RSRC2:TGID_X_EN: 1
; COMPUTE_PGM_RSRC2:TGID_Y_EN: 0
; COMPUTE_PGM_RSRC2:TGID_Z_EN: 0
; COMPUTE_PGM_RSRC2:TIDIG_COMP_CNT: 0
	.section	.text._ZN2at6native12_GLOBAL__N_125multi_tensor_apply_kernelINS1_28TensorListScalarListMetadataIlLi2EEENS1_25BinaryOpScalarListFunctorIlLi2ELi1ELi1EEEJSt4plusIlEEEEvT_T0_DpT1_,"axG",@progbits,_ZN2at6native12_GLOBAL__N_125multi_tensor_apply_kernelINS1_28TensorListScalarListMetadataIlLi2EEENS1_25BinaryOpScalarListFunctorIlLi2ELi1ELi1EEEJSt4plusIlEEEEvT_T0_DpT1_,comdat
	.globl	_ZN2at6native12_GLOBAL__N_125multi_tensor_apply_kernelINS1_28TensorListScalarListMetadataIlLi2EEENS1_25BinaryOpScalarListFunctorIlLi2ELi1ELi1EEEJSt4plusIlEEEEvT_T0_DpT1_ ; -- Begin function _ZN2at6native12_GLOBAL__N_125multi_tensor_apply_kernelINS1_28TensorListScalarListMetadataIlLi2EEENS1_25BinaryOpScalarListFunctorIlLi2ELi1ELi1EEEJSt4plusIlEEEEvT_T0_DpT1_
	.p2align	8
	.type	_ZN2at6native12_GLOBAL__N_125multi_tensor_apply_kernelINS1_28TensorListScalarListMetadataIlLi2EEENS1_25BinaryOpScalarListFunctorIlLi2ELi1ELi1EEEJSt4plusIlEEEEvT_T0_DpT1_,@function
_ZN2at6native12_GLOBAL__N_125multi_tensor_apply_kernelINS1_28TensorListScalarListMetadataIlLi2EEENS1_25BinaryOpScalarListFunctorIlLi2ELi1ELi1EEEJSt4plusIlEEEEvT_T0_DpT1_: ; @_ZN2at6native12_GLOBAL__N_125multi_tensor_apply_kernelINS1_28TensorListScalarListMetadataIlLi2EEENS1_25BinaryOpScalarListFunctorIlLi2ELi1ELi1EEEJSt4plusIlEEEEvT_T0_DpT1_
; %bb.0:
	v_mov_b32_e32 v1, s15
	s_add_u32 s2, s0, s15
	s_mul_hi_u32 s3, s15, 3
	s_mul_i32 s15, s15, 3
	s_addc_u32 s4, s1, 0
	global_load_u8 v1, v1, s[0:1] offset:2048
	s_add_u32 s2, s2, s15
	s_addc_u32 s3, s4, s3
	s_mov_b32 s15, 0
	s_load_b32 s8, s[2:3], 0x940
	s_mov_b32 s21, s15
	s_mov_b32 s23, s15
	s_waitcnt vmcnt(0)
	v_readfirstlane_b32 s2, v1
	s_delay_alu instid0(VALU_DEP_1)
	s_lshl_b32 s9, s2, 3
	s_clause 0x3
	s_load_b64 s[2:3], s[0:1], s9 offset:0x0
	s_load_b64 s[6:7], s[0:1], s9 offset:0x600
	;; [unrolled: 1-line block ×4, first 2 shown]
	s_waitcnt lgkmcnt(0)
	s_ashr_i32 s9, s8, 31
	s_delay_alu instid0(SALU_CYCLE_1) | instskip(NEXT) | instid1(SALU_CYCLE_1)
	s_lshl_b64 s[10:11], s[8:9], 19
	s_add_u32 s16, s2, s10
	s_addc_u32 s17, s3, s11
	s_and_b32 s14, s16, 31
	s_add_u32 s18, s4, s10
	s_addc_u32 s19, s5, s11
	s_and_b32 s20, s12, 3
	s_and_b32 s22, s18, 31
	s_or_b64 s[14:15], s[14:15], s[20:21]
	s_lshl_b64 s[8:9], s[8:9], 16
	s_or_b64 s[14:15], s[22:23], s[14:15]
	s_sub_u32 s8, s12, s8
	s_subb_u32 s9, s13, s9
	s_cmp_eq_u64 s[14:15], 0
	s_mov_b32 s12, -1
	s_cbranch_scc1 .LBB15_21
; %bb.1:
	v_cmp_lt_i64_e64 s12, s[8:9], 1
	s_delay_alu instid0(VALU_DEP_1)
	s_and_b32 vcc_lo, exec_lo, s12
	s_cbranch_vccnz .LBB15_20
; %bb.2:
	s_load_b32 s12, s[0:1], 0xe54
	v_dual_mov_b32 v2, 0 :: v_dual_lshlrev_b32 v1, 3, v0
	v_cmp_gt_u64_e64 s13, 0x10000, s[8:9]
	s_delay_alu instid0(VALU_DEP_2) | instskip(NEXT) | instid1(VALU_DEP_1)
	v_add_co_u32 v9, s14, s2, v1
	v_add_co_ci_u32_e64 v10, null, s3, 0, s14
	v_add_co_u32 v11, s14, s4, v1
	s_delay_alu instid0(VALU_DEP_1)
	v_add_co_ci_u32_e64 v12, null, s5, 0, s14
	s_waitcnt lgkmcnt(0)
	s_and_b32 s14, s12, 0xffff
	s_and_b32 s12, s13, exec_lo
	v_mad_u64_u32 v[3:4], null, s14, 24, v[1:2]
	s_cselect_b32 s13, s9, 0
	s_cselect_b32 s12, s8, 0x10000
	s_lshl_b32 s21, s14, 4
	s_mul_i32 s20, s14, 3
	v_add_co_u32 v1, s21, s21, v1
	s_delay_alu instid0(VALU_DEP_2) | instskip(NEXT) | instid1(VALU_DEP_3)
	v_add_co_u32 v13, vcc_lo, s2, v3
	v_add_co_ci_u32_e32 v14, vcc_lo, s3, v4, vcc_lo
	v_add_co_u32 v17, s20, s20, v0
	v_add_co_u32 v15, vcc_lo, s4, v3
	v_add_co_ci_u32_e64 v2, null, 0, 0, s21
	v_add_co_ci_u32_e64 v18, null, 0, 0, s20
	v_add_co_u32 v21, s20, v0, s14
	v_add_co_ci_u32_e32 v16, vcc_lo, s5, v4, vcc_lo
	v_add_co_u32 v19, vcc_lo, s2, v1
	v_add_co_ci_u32_e32 v20, vcc_lo, s3, v2, vcc_lo
	v_add_co_u32 v22, vcc_lo, s4, v1
	v_lshlrev_b32_e32 v1, 3, v21
	s_lshl_b32 s15, s14, 1
	v_add_co_ci_u32_e32 v23, vcc_lo, s5, v2, vcc_lo
	v_add_co_u32 v25, s15, s15, v0
	s_delay_alu instid0(VALU_DEP_3) | instskip(NEXT) | instid1(VALU_DEP_1)
	v_add_co_u32 v27, s2, s2, v1
	v_add_co_ci_u32_e64 v28, null, s3, 0, s2
	v_add_co_u32 v29, s2, s4, v1
	v_add_co_ci_u32_e64 v24, null, 0, 0, s20
	v_add_co_ci_u32_e64 v26, null, 0, 0, s15
	v_add_co_ci_u32_e64 v30, null, s5, 0, s2
	s_lshl_b32 s20, s14, 2
	s_lshl_b32 s21, s14, 5
	s_mov_b64 s[14:15], 0
	s_branch .LBB15_4
.LBB15_3:                               ;   in Loop: Header=BB15_4 Depth=1
	s_or_b32 exec_lo, exec_lo, s2
	v_add_co_u32 v9, vcc_lo, v9, s21
	v_add_co_ci_u32_e32 v10, vcc_lo, 0, v10, vcc_lo
	v_add_co_u32 v11, vcc_lo, v11, s21
	v_add_co_ci_u32_e32 v12, vcc_lo, 0, v12, vcc_lo
	v_add_co_u32 v13, vcc_lo, v13, s21
	v_add_co_ci_u32_e32 v14, vcc_lo, 0, v14, vcc_lo
	v_add_co_u32 v15, vcc_lo, v15, s21
	v_add_co_ci_u32_e32 v16, vcc_lo, 0, v16, vcc_lo
	v_add_co_u32 v19, vcc_lo, v19, s21
	v_add_co_ci_u32_e32 v20, vcc_lo, 0, v20, vcc_lo
	s_add_u32 s14, s14, s20
	v_add_co_u32 v22, vcc_lo, v22, s21
	s_addc_u32 s15, s15, 0
	v_add_co_ci_u32_e32 v23, vcc_lo, 0, v23, vcc_lo
	v_cmp_lt_i64_e64 s2, s[14:15], s[8:9]
	v_cmp_gt_u64_e64 s3, 0x10000, s[14:15]
	v_add_co_u32 v27, vcc_lo, v27, s21
	v_add_co_ci_u32_e32 v28, vcc_lo, 0, v28, vcc_lo
	v_add_co_u32 v29, vcc_lo, v29, s21
	v_add_co_ci_u32_e32 v30, vcc_lo, 0, v30, vcc_lo
	s_and_b32 s2, s2, s3
	s_delay_alu instid0(SALU_CYCLE_1)
	s_and_b32 vcc_lo, exec_lo, s2
	s_cbranch_vccz .LBB15_20
.LBB15_4:                               ; =>This Inner Loop Header: Depth=1
	s_waitcnt vmcnt(0)
	v_add_co_u32 v3, s2, v0, s14
	s_delay_alu instid0(VALU_DEP_1) | instskip(SKIP_2) | instid1(VALU_DEP_3)
	v_add_co_ci_u32_e64 v4, null, 0, s15, s2
	v_mov_b32_e32 v1, 0
	v_mov_b32_e32 v2, 0
	v_cmp_gt_u64_e32 vcc_lo, s[12:13], v[3:4]
	s_delay_alu instid0(VALU_DEP_2)
	v_dual_mov_b32 v6, v2 :: v_dual_mov_b32 v5, v1
	s_and_saveexec_b32 s3, vcc_lo
	s_cbranch_execz .LBB15_6
; %bb.5:                                ;   in Loop: Header=BB15_4 Depth=1
	v_add_co_u32 v3, s2, v9, s10
	s_delay_alu instid0(VALU_DEP_1)
	v_add_co_ci_u32_e64 v4, s2, s11, v10, s2
	global_load_b64 v[5:6], v[3:4], off
.LBB15_6:                               ;   in Loop: Header=BB15_4 Depth=1
	s_or_b32 exec_lo, exec_lo, s3
	v_add_co_u32 v3, s2, v21, s14
	s_delay_alu instid0(VALU_DEP_1) | instskip(NEXT) | instid1(VALU_DEP_1)
	v_add_co_ci_u32_e64 v4, s2, s15, v24, s2
	v_cmp_gt_u64_e64 s2, s[12:13], v[3:4]
	s_delay_alu instid0(VALU_DEP_1)
	s_and_saveexec_b32 s4, s2
	s_cbranch_execz .LBB15_8
; %bb.7:                                ;   in Loop: Header=BB15_4 Depth=1
	v_add_co_u32 v1, s3, v27, s10
	s_delay_alu instid0(VALU_DEP_1)
	v_add_co_ci_u32_e64 v2, s3, s11, v28, s3
	global_load_b64 v[1:2], v[1:2], off
.LBB15_8:                               ;   in Loop: Header=BB15_4 Depth=1
	s_or_b32 exec_lo, exec_lo, s4
	v_add_co_u32 v7, s3, v25, s14
	s_delay_alu instid0(VALU_DEP_1) | instskip(SKIP_2) | instid1(VALU_DEP_3)
	v_add_co_ci_u32_e64 v8, s3, s15, v26, s3
	v_mov_b32_e32 v3, 0
	v_mov_b32_e32 v4, 0
	v_cmp_gt_u64_e64 s3, s[12:13], v[7:8]
	s_delay_alu instid0(VALU_DEP_2) | instskip(NEXT) | instid1(VALU_DEP_2)
	v_dual_mov_b32 v8, v4 :: v_dual_mov_b32 v7, v3
	s_and_saveexec_b32 s5, s3
	s_cbranch_execz .LBB15_10
; %bb.9:                                ;   in Loop: Header=BB15_4 Depth=1
	v_add_co_u32 v7, s4, v19, s10
	s_delay_alu instid0(VALU_DEP_1)
	v_add_co_ci_u32_e64 v8, s4, s11, v20, s4
	global_load_b64 v[7:8], v[7:8], off
.LBB15_10:                              ;   in Loop: Header=BB15_4 Depth=1
	s_or_b32 exec_lo, exec_lo, s5
	v_add_co_u32 v31, s4, v17, s14
	s_delay_alu instid0(VALU_DEP_1) | instskip(NEXT) | instid1(VALU_DEP_1)
	v_add_co_ci_u32_e64 v32, s4, s15, v18, s4
	v_cmp_gt_u64_e64 s4, s[12:13], v[31:32]
	s_delay_alu instid0(VALU_DEP_1)
	s_and_saveexec_b32 s22, s4
	s_cbranch_execnz .LBB15_15
; %bb.11:                               ;   in Loop: Header=BB15_4 Depth=1
	s_or_b32 exec_lo, exec_lo, s22
	s_and_saveexec_b32 s5, vcc_lo
	s_cbranch_execnz .LBB15_16
.LBB15_12:                              ;   in Loop: Header=BB15_4 Depth=1
	s_or_b32 exec_lo, exec_lo, s5
	s_and_saveexec_b32 s5, s2
	s_cbranch_execnz .LBB15_17
.LBB15_13:                              ;   in Loop: Header=BB15_4 Depth=1
	s_or_b32 exec_lo, exec_lo, s5
	s_and_saveexec_b32 s2, s3
	s_cbranch_execnz .LBB15_18
.LBB15_14:                              ;   in Loop: Header=BB15_4 Depth=1
	s_or_b32 exec_lo, exec_lo, s2
	s_and_saveexec_b32 s2, s4
	s_cbranch_execz .LBB15_3
	s_branch .LBB15_19
.LBB15_15:                              ;   in Loop: Header=BB15_4 Depth=1
	v_add_co_u32 v3, s5, v13, s10
	s_delay_alu instid0(VALU_DEP_1)
	v_add_co_ci_u32_e64 v4, s5, s11, v14, s5
	global_load_b64 v[3:4], v[3:4], off
	s_or_b32 exec_lo, exec_lo, s22
	s_and_saveexec_b32 s5, vcc_lo
	s_cbranch_execz .LBB15_12
.LBB15_16:                              ;   in Loop: Header=BB15_4 Depth=1
	s_waitcnt vmcnt(0)
	v_add_co_u32 v5, vcc_lo, v5, s6
	v_add_co_ci_u32_e32 v6, vcc_lo, s7, v6, vcc_lo
	v_add_co_u32 v31, vcc_lo, v11, s10
	v_add_co_ci_u32_e32 v32, vcc_lo, s11, v12, vcc_lo
	global_store_b64 v[31:32], v[5:6], off
	s_or_b32 exec_lo, exec_lo, s5
	s_and_saveexec_b32 s5, s2
	s_cbranch_execz .LBB15_13
.LBB15_17:                              ;   in Loop: Header=BB15_4 Depth=1
	s_waitcnt vmcnt(0)
	v_add_co_u32 v1, vcc_lo, v1, s6
	v_add_co_ci_u32_e32 v2, vcc_lo, s7, v2, vcc_lo
	v_add_co_u32 v5, vcc_lo, v29, s10
	v_add_co_ci_u32_e32 v6, vcc_lo, s11, v30, vcc_lo
	global_store_b64 v[5:6], v[1:2], off
	s_or_b32 exec_lo, exec_lo, s5
	s_and_saveexec_b32 s2, s3
	s_cbranch_execz .LBB15_14
.LBB15_18:                              ;   in Loop: Header=BB15_4 Depth=1
	s_waitcnt vmcnt(0)
	v_add_co_u32 v1, vcc_lo, v7, s6
	v_add_co_ci_u32_e32 v2, vcc_lo, s7, v8, vcc_lo
	v_add_co_u32 v5, vcc_lo, v22, s10
	v_add_co_ci_u32_e32 v6, vcc_lo, s11, v23, vcc_lo
	global_store_b64 v[5:6], v[1:2], off
	s_or_b32 exec_lo, exec_lo, s2
	s_and_saveexec_b32 s2, s4
	s_cbranch_execz .LBB15_3
.LBB15_19:                              ;   in Loop: Header=BB15_4 Depth=1
	s_waitcnt vmcnt(0)
	v_add_co_u32 v1, vcc_lo, v3, s6
	v_add_co_ci_u32_e32 v2, vcc_lo, s7, v4, vcc_lo
	v_add_co_u32 v3, vcc_lo, v15, s10
	v_add_co_ci_u32_e32 v4, vcc_lo, s11, v16, vcc_lo
	global_store_b64 v[3:4], v[1:2], off
	s_branch .LBB15_3
.LBB15_20:
	s_mov_b32 s12, 0
.LBB15_21:
	s_delay_alu instid0(SALU_CYCLE_1)
	s_and_not1_b32 vcc_lo, exec_lo, s12
	s_cbranch_vccnz .LBB15_25
; %bb.22:
	s_waitcnt vmcnt(0)
	v_dual_mov_b32 v2, 0 :: v_dual_lshlrev_b32 v1, 2, v0
	s_mov_b32 s2, 0
	s_mov_b32 s3, exec_lo
	s_delay_alu instid0(VALU_DEP_1)
	v_cmpx_gt_i64_e64 s[8:9], v[1:2]
	s_cbranch_execz .LBB15_25
; %bb.23:
	s_load_b32 s0, s[0:1], 0xe54
	s_waitcnt lgkmcnt(0)
	s_and_b32 s0, s0, 0xffff
	s_delay_alu instid0(SALU_CYCLE_1)
	v_add_lshl_u32 v1, v0, s0, 2
	v_lshlrev_b32_e32 v0, 5, v0
	s_lshl_b32 s3, s0, 2
	s_lshl_b32 s4, s0, 5
	s_set_inst_prefetch_distance 0x1
	.p2align	6
.LBB15_24:                              ; =>This Inner Loop Header: Depth=1
	s_delay_alu instid0(VALU_DEP_1) | instskip(NEXT) | instid1(VALU_DEP_1)
	v_add_co_u32 v7, s0, s16, v0
	v_add_co_ci_u32_e64 v8, null, s17, 0, s0
	v_cmp_le_i64_e32 vcc_lo, s[8:9], v[1:2]
	v_cmp_lt_u64_e64 s0, 0xffff, v[1:2]
	v_add_co_u32 v11, s1, s18, v0
	s_clause 0x1
	global_load_b128 v[3:6], v[7:8], off
	global_load_b128 v[7:10], v[7:8], off offset:16
	v_add_co_ci_u32_e64 v12, null, s19, 0, s1
	s_or_b32 s0, vcc_lo, s0
	s_add_u32 s16, s16, s4
	v_add_co_u32 v1, s1, v1, s3
	s_addc_u32 s17, s17, 0
	s_add_u32 s18, s18, s4
	v_add_co_ci_u32_e64 v2, s1, 0, v2, s1
	s_addc_u32 s19, s19, 0
	s_and_b32 s0, exec_lo, s0
	s_delay_alu instid0(SALU_CYCLE_1)
	s_or_b32 s2, s0, s2
	s_waitcnt vmcnt(1)
	v_add_co_u32 v3, vcc_lo, v3, s6
	v_add_co_ci_u32_e32 v4, vcc_lo, s7, v4, vcc_lo
	v_add_co_u32 v5, vcc_lo, v5, s6
	v_add_co_ci_u32_e32 v6, vcc_lo, s7, v6, vcc_lo
	s_waitcnt vmcnt(0)
	v_add_co_u32 v7, vcc_lo, v7, s6
	v_add_co_ci_u32_e32 v8, vcc_lo, s7, v8, vcc_lo
	v_add_co_u32 v9, vcc_lo, v9, s6
	v_add_co_ci_u32_e32 v10, vcc_lo, s7, v10, vcc_lo
	s_clause 0x1
	global_store_b128 v[11:12], v[3:6], off
	global_store_b128 v[11:12], v[7:10], off offset:16
	s_and_not1_b32 exec_lo, exec_lo, s2
	s_cbranch_execnz .LBB15_24
.LBB15_25:
	s_set_inst_prefetch_distance 0x2
	s_nop 0
	s_sendmsg sendmsg(MSG_DEALLOC_VGPRS)
	s_endpgm
	.section	.rodata,"a",@progbits
	.p2align	6, 0x0
	.amdhsa_kernel _ZN2at6native12_GLOBAL__N_125multi_tensor_apply_kernelINS1_28TensorListScalarListMetadataIlLi2EEENS1_25BinaryOpScalarListFunctorIlLi2ELi1ELi1EEEJSt4plusIlEEEEvT_T0_DpT1_
		.amdhsa_group_segment_fixed_size 0
		.amdhsa_private_segment_fixed_size 0
		.amdhsa_kernarg_size 3912
		.amdhsa_user_sgpr_count 15
		.amdhsa_user_sgpr_dispatch_ptr 0
		.amdhsa_user_sgpr_queue_ptr 0
		.amdhsa_user_sgpr_kernarg_segment_ptr 1
		.amdhsa_user_sgpr_dispatch_id 0
		.amdhsa_user_sgpr_private_segment_size 0
		.amdhsa_wavefront_size32 1
		.amdhsa_uses_dynamic_stack 0
		.amdhsa_enable_private_segment 0
		.amdhsa_system_sgpr_workgroup_id_x 1
		.amdhsa_system_sgpr_workgroup_id_y 0
		.amdhsa_system_sgpr_workgroup_id_z 0
		.amdhsa_system_sgpr_workgroup_info 0
		.amdhsa_system_vgpr_workitem_id 0
		.amdhsa_next_free_vgpr 33
		.amdhsa_next_free_sgpr 24
		.amdhsa_reserve_vcc 1
		.amdhsa_float_round_mode_32 0
		.amdhsa_float_round_mode_16_64 0
		.amdhsa_float_denorm_mode_32 3
		.amdhsa_float_denorm_mode_16_64 3
		.amdhsa_dx10_clamp 1
		.amdhsa_ieee_mode 1
		.amdhsa_fp16_overflow 0
		.amdhsa_workgroup_processor_mode 1
		.amdhsa_memory_ordered 1
		.amdhsa_forward_progress 0
		.amdhsa_shared_vgpr_count 0
		.amdhsa_exception_fp_ieee_invalid_op 0
		.amdhsa_exception_fp_denorm_src 0
		.amdhsa_exception_fp_ieee_div_zero 0
		.amdhsa_exception_fp_ieee_overflow 0
		.amdhsa_exception_fp_ieee_underflow 0
		.amdhsa_exception_fp_ieee_inexact 0
		.amdhsa_exception_int_div_zero 0
	.end_amdhsa_kernel
	.section	.text._ZN2at6native12_GLOBAL__N_125multi_tensor_apply_kernelINS1_28TensorListScalarListMetadataIlLi2EEENS1_25BinaryOpScalarListFunctorIlLi2ELi1ELi1EEEJSt4plusIlEEEEvT_T0_DpT1_,"axG",@progbits,_ZN2at6native12_GLOBAL__N_125multi_tensor_apply_kernelINS1_28TensorListScalarListMetadataIlLi2EEENS1_25BinaryOpScalarListFunctorIlLi2ELi1ELi1EEEJSt4plusIlEEEEvT_T0_DpT1_,comdat
.Lfunc_end15:
	.size	_ZN2at6native12_GLOBAL__N_125multi_tensor_apply_kernelINS1_28TensorListScalarListMetadataIlLi2EEENS1_25BinaryOpScalarListFunctorIlLi2ELi1ELi1EEEJSt4plusIlEEEEvT_T0_DpT1_, .Lfunc_end15-_ZN2at6native12_GLOBAL__N_125multi_tensor_apply_kernelINS1_28TensorListScalarListMetadataIlLi2EEENS1_25BinaryOpScalarListFunctorIlLi2ELi1ELi1EEEJSt4plusIlEEEEvT_T0_DpT1_
                                        ; -- End function
	.section	.AMDGPU.csdata,"",@progbits
; Kernel info:
; codeLenInByte = 1520
; NumSgprs: 26
; NumVgprs: 33
; ScratchSize: 0
; MemoryBound: 0
; FloatMode: 240
; IeeeMode: 1
; LDSByteSize: 0 bytes/workgroup (compile time only)
; SGPRBlocks: 3
; VGPRBlocks: 4
; NumSGPRsForWavesPerEU: 26
; NumVGPRsForWavesPerEU: 33
; Occupancy: 16
; WaveLimiterHint : 1
; COMPUTE_PGM_RSRC2:SCRATCH_EN: 0
; COMPUTE_PGM_RSRC2:USER_SGPR: 15
; COMPUTE_PGM_RSRC2:TRAP_HANDLER: 0
; COMPUTE_PGM_RSRC2:TGID_X_EN: 1
; COMPUTE_PGM_RSRC2:TGID_Y_EN: 0
; COMPUTE_PGM_RSRC2:TGID_Z_EN: 0
; COMPUTE_PGM_RSRC2:TIDIG_COMP_CNT: 0
	.section	.text._ZN2at6native12_GLOBAL__N_125multi_tensor_apply_kernelINS1_28TensorListScalarListMetadataIsLi2EEENS1_25BinaryOpScalarListFunctorIsLi2ELi1ELi1EEEJSt4plusIsEEEEvT_T0_DpT1_,"axG",@progbits,_ZN2at6native12_GLOBAL__N_125multi_tensor_apply_kernelINS1_28TensorListScalarListMetadataIsLi2EEENS1_25BinaryOpScalarListFunctorIsLi2ELi1ELi1EEEJSt4plusIsEEEEvT_T0_DpT1_,comdat
	.globl	_ZN2at6native12_GLOBAL__N_125multi_tensor_apply_kernelINS1_28TensorListScalarListMetadataIsLi2EEENS1_25BinaryOpScalarListFunctorIsLi2ELi1ELi1EEEJSt4plusIsEEEEvT_T0_DpT1_ ; -- Begin function _ZN2at6native12_GLOBAL__N_125multi_tensor_apply_kernelINS1_28TensorListScalarListMetadataIsLi2EEENS1_25BinaryOpScalarListFunctorIsLi2ELi1ELi1EEEJSt4plusIsEEEEvT_T0_DpT1_
	.p2align	8
	.type	_ZN2at6native12_GLOBAL__N_125multi_tensor_apply_kernelINS1_28TensorListScalarListMetadataIsLi2EEENS1_25BinaryOpScalarListFunctorIsLi2ELi1ELi1EEEJSt4plusIsEEEEvT_T0_DpT1_,@function
_ZN2at6native12_GLOBAL__N_125multi_tensor_apply_kernelINS1_28TensorListScalarListMetadataIsLi2EEENS1_25BinaryOpScalarListFunctorIsLi2ELi1ELi1EEEJSt4plusIsEEEEvT_T0_DpT1_: ; @_ZN2at6native12_GLOBAL__N_125multi_tensor_apply_kernelINS1_28TensorListScalarListMetadataIsLi2EEENS1_25BinaryOpScalarListFunctorIsLi2ELi1ELi1EEEJSt4plusIsEEEEvT_T0_DpT1_
; %bb.0:
	v_mov_b32_e32 v1, s15
	s_add_u32 s2, s0, s15
	s_mul_hi_u32 s3, s15, 3
	s_mul_i32 s15, s15, 3
	s_addc_u32 s4, s1, 0
	global_load_u8 v1, v1, s[0:1] offset:1664
	s_add_u32 s2, s2, s15
	s_addc_u32 s3, s4, s3
	s_mov_b32 s15, 0
	s_load_b32 s2, s[2:3], 0x7c0
	s_waitcnt vmcnt(0)
	v_readfirstlane_b32 s3, v1
	v_mul_lo_u32 v2, v1, -6
	v_mul_hi_i32 v3, v1, -6
	s_delay_alu instid0(VALU_DEP_3) | instskip(SKIP_4) | instid1(VALU_DEP_2)
	s_lshl_b32 s8, s3, 3
	s_waitcnt lgkmcnt(0)
	s_ashr_i32 s3, s2, 31
	s_add_u32 s6, s0, s8
	s_addc_u32 s7, s1, 0
	v_add_co_u32 v1, vcc_lo, s6, v2
	s_delay_alu instid0(VALU_DEP_2)
	v_add_co_ci_u32_e32 v2, vcc_lo, s7, v3, vcc_lo
	s_load_b64 s[4:5], s[0:1], s8 offset:0x400
	s_lshl_b64 s[12:13], s[2:3], 17
	s_lshl_b64 s[2:3], s[2:3], 16
	global_load_u16 v3, v[1:2], off offset:1536
	s_clause 0x1
	s_load_b64 s[6:7], s[0:1], s8 offset:0x0
	s_load_b64 s[8:9], s[0:1], s8 offset:0x200
	s_waitcnt lgkmcnt(0)
	s_and_b32 s11, s4, 3
	s_and_b32 s10, s6, 7
	;; [unrolled: 1-line block ×3, first 2 shown]
	s_or_b32 s10, s10, s11
	s_delay_alu instid0(SALU_CYCLE_1)
	s_or_b32 s14, s14, s10
	s_sub_u32 s10, s4, s2
	s_subb_u32 s11, s5, s3
	s_cmp_eq_u64 s[14:15], 0
	s_mov_b32 s2, -1
	s_cbranch_scc1 .LBB16_21
; %bb.1:
	v_cmp_lt_i64_e64 s2, s[10:11], 1
	s_delay_alu instid0(VALU_DEP_1)
	s_and_b32 vcc_lo, exec_lo, s2
	s_cbranch_vccnz .LBB16_20
; %bb.2:
	s_load_b32 s2, s[0:1], 0xcd4
	v_dual_mov_b32 v11, 0 :: v_dual_lshlrev_b32 v10, 1, v0
	v_cmp_gt_u64_e64 s3, 0x10000, s[10:11]
	s_mov_b64 s[16:17], 0
	s_delay_alu instid0(VALU_DEP_2) | instskip(NEXT) | instid1(VALU_DEP_1)
	v_add_co_u32 v1, s4, s6, v10
	v_add_co_ci_u32_e64 v2, null, s7, 0, s4
	v_add_co_u32 v4, s4, s8, v10
	s_delay_alu instid0(VALU_DEP_1)
	v_add_co_ci_u32_e64 v5, null, s9, 0, s4
	s_waitcnt lgkmcnt(0)
	s_and_b32 s2, s2, 0xffff
	s_and_b32 s3, s3, exec_lo
	v_mad_u64_u32 v[8:9], null, s2, 6, v[10:11]
	s_cselect_b32 s15, s11, 0
	s_cselect_b32 s14, s10, 0x10000
	s_mul_i32 s4, s2, 3
	s_lshl_b32 s18, s2, 2
	s_lshl_b32 s3, s2, 1
	v_add_co_u32 v15, s5, s18, v10
	v_add_co_u32 v10, s4, s4, v0
	s_delay_alu instid0(VALU_DEP_1) | instskip(SKIP_3) | instid1(VALU_DEP_3)
	v_add_co_ci_u32_e64 v11, null, 0, 0, s4
	v_add_co_u32 v14, s4, v0, s2
	v_add_co_u32 v6, vcc_lo, s6, v8
	v_add_co_ci_u32_e32 v7, vcc_lo, s7, v9, vcc_lo
	v_lshlrev_b32_e32 v22, 1, v14
	v_add_co_u32 v8, vcc_lo, s8, v8
	v_add_co_ci_u32_e64 v16, null, 0, 0, s5
	v_add_co_ci_u32_e32 v9, vcc_lo, s9, v9, vcc_lo
	v_add_co_u32 v18, s3, s3, v0
	v_add_co_u32 v12, vcc_lo, s6, v15
	v_add_co_ci_u32_e64 v19, null, 0, 0, s3
	v_add_co_u32 v20, s3, s6, v22
	v_add_co_ci_u32_e32 v13, vcc_lo, s7, v16, vcc_lo
	v_add_co_u32 v15, vcc_lo, s8, v15
	v_add_co_ci_u32_e64 v21, null, s7, 0, s3
	v_add_co_u32 v22, s3, s8, v22
	v_add_co_ci_u32_e32 v16, vcc_lo, s9, v16, vcc_lo
	v_add_co_ci_u32_e64 v17, null, 0, 0, s4
	v_add_co_ci_u32_e64 v23, null, s9, 0, s3
	s_lshl_b32 s19, s2, 3
	s_branch .LBB16_4
.LBB16_3:                               ;   in Loop: Header=BB16_4 Depth=1
	s_or_b32 exec_lo, exec_lo, s2
	v_add_co_u32 v1, vcc_lo, v1, s19
	v_add_co_ci_u32_e32 v2, vcc_lo, 0, v2, vcc_lo
	v_add_co_u32 v4, vcc_lo, v4, s19
	v_add_co_ci_u32_e32 v5, vcc_lo, 0, v5, vcc_lo
	;; [unrolled: 2-line block ×5, first 2 shown]
	s_add_u32 s16, s16, s18
	v_add_co_u32 v15, vcc_lo, v15, s19
	s_addc_u32 s17, s17, 0
	v_add_co_ci_u32_e32 v16, vcc_lo, 0, v16, vcc_lo
	v_cmp_lt_i64_e64 s2, s[16:17], s[10:11]
	v_cmp_gt_u64_e64 s3, 0x10000, s[16:17]
	v_add_co_u32 v20, vcc_lo, v20, s19
	v_add_co_ci_u32_e32 v21, vcc_lo, 0, v21, vcc_lo
	v_add_co_u32 v22, vcc_lo, v22, s19
	v_add_co_ci_u32_e32 v23, vcc_lo, 0, v23, vcc_lo
	s_and_b32 s2, s2, s3
	s_delay_alu instid0(SALU_CYCLE_1)
	s_and_b32 vcc_lo, exec_lo, s2
	s_cbranch_vccz .LBB16_20
.LBB16_4:                               ; =>This Inner Loop Header: Depth=1
	s_waitcnt vmcnt(0)
	v_add_co_u32 v24, s2, v0, s16
	s_delay_alu instid0(VALU_DEP_1) | instskip(NEXT) | instid1(VALU_DEP_1)
	v_add_co_ci_u32_e64 v25, null, 0, s17, s2
	v_cmp_gt_u64_e32 vcc_lo, s[14:15], v[24:25]
	v_mov_b32_e32 v24, 0
	s_and_saveexec_b32 s3, vcc_lo
	s_cbranch_execz .LBB16_6
; %bb.5:                                ;   in Loop: Header=BB16_4 Depth=1
	v_add_co_u32 v24, s2, v1, s12
	s_delay_alu instid0(VALU_DEP_1)
	v_add_co_ci_u32_e64 v25, s2, s13, v2, s2
	global_load_u16 v24, v[24:25], off
.LBB16_6:                               ;   in Loop: Header=BB16_4 Depth=1
	s_or_b32 exec_lo, exec_lo, s3
	v_add_co_u32 v25, s2, v14, s16
	s_delay_alu instid0(VALU_DEP_1) | instskip(NEXT) | instid1(VALU_DEP_1)
	v_add_co_ci_u32_e64 v26, s2, s17, v17, s2
	v_cmp_gt_u64_e64 s2, s[14:15], v[25:26]
	v_mov_b32_e32 v26, 0
	s_delay_alu instid0(VALU_DEP_2)
	s_and_saveexec_b32 s4, s2
	s_cbranch_execz .LBB16_8
; %bb.7:                                ;   in Loop: Header=BB16_4 Depth=1
	v_add_co_u32 v25, s3, v20, s12
	s_delay_alu instid0(VALU_DEP_1)
	v_add_co_ci_u32_e64 v26, s3, s13, v21, s3
	global_load_u16 v26, v[25:26], off
.LBB16_8:                               ;   in Loop: Header=BB16_4 Depth=1
	s_or_b32 exec_lo, exec_lo, s4
	v_add_co_u32 v27, s3, v18, s16
	s_delay_alu instid0(VALU_DEP_1) | instskip(SKIP_1) | instid1(VALU_DEP_2)
	v_add_co_ci_u32_e64 v28, s3, s17, v19, s3
	v_mov_b32_e32 v25, 0
	v_cmp_gt_u64_e64 s3, s[14:15], v[27:28]
	v_mov_b32_e32 v27, 0
	s_delay_alu instid0(VALU_DEP_2)
	s_and_saveexec_b32 s5, s3
	s_cbranch_execz .LBB16_10
; %bb.9:                                ;   in Loop: Header=BB16_4 Depth=1
	v_add_co_u32 v27, s4, v12, s12
	s_delay_alu instid0(VALU_DEP_1)
	v_add_co_ci_u32_e64 v28, s4, s13, v13, s4
	global_load_u16 v27, v[27:28], off
.LBB16_10:                              ;   in Loop: Header=BB16_4 Depth=1
	s_or_b32 exec_lo, exec_lo, s5
	v_add_co_u32 v28, s4, v10, s16
	s_delay_alu instid0(VALU_DEP_1) | instskip(NEXT) | instid1(VALU_DEP_1)
	v_add_co_ci_u32_e64 v29, s4, s17, v11, s4
	v_cmp_gt_u64_e64 s4, s[14:15], v[28:29]
	s_delay_alu instid0(VALU_DEP_1)
	s_and_saveexec_b32 s20, s4
	s_cbranch_execnz .LBB16_15
; %bb.11:                               ;   in Loop: Header=BB16_4 Depth=1
	s_or_b32 exec_lo, exec_lo, s20
	s_and_saveexec_b32 s5, vcc_lo
	s_cbranch_execnz .LBB16_16
.LBB16_12:                              ;   in Loop: Header=BB16_4 Depth=1
	s_or_b32 exec_lo, exec_lo, s5
	s_and_saveexec_b32 s5, s2
	s_cbranch_execnz .LBB16_17
.LBB16_13:                              ;   in Loop: Header=BB16_4 Depth=1
	s_or_b32 exec_lo, exec_lo, s5
	s_and_saveexec_b32 s2, s3
	s_cbranch_execnz .LBB16_18
.LBB16_14:                              ;   in Loop: Header=BB16_4 Depth=1
	s_or_b32 exec_lo, exec_lo, s2
	s_and_saveexec_b32 s2, s4
	s_cbranch_execz .LBB16_3
	s_branch .LBB16_19
.LBB16_15:                              ;   in Loop: Header=BB16_4 Depth=1
	v_add_co_u32 v28, s5, v6, s12
	s_delay_alu instid0(VALU_DEP_1)
	v_add_co_ci_u32_e64 v29, s5, s13, v7, s5
	global_load_u16 v25, v[28:29], off
	s_or_b32 exec_lo, exec_lo, s20
	s_and_saveexec_b32 s5, vcc_lo
	s_cbranch_execz .LBB16_12
.LBB16_16:                              ;   in Loop: Header=BB16_4 Depth=1
	v_add_co_u32 v28, vcc_lo, v4, s12
	s_waitcnt vmcnt(0)
	v_add_nc_u16 v24, v24, v3
	v_add_co_ci_u32_e32 v29, vcc_lo, s13, v5, vcc_lo
	global_store_b16 v[28:29], v24, off
	s_or_b32 exec_lo, exec_lo, s5
	s_and_saveexec_b32 s5, s2
	s_cbranch_execz .LBB16_13
.LBB16_17:                              ;   in Loop: Header=BB16_4 Depth=1
	v_add_co_u32 v28, vcc_lo, v22, s12
	s_waitcnt vmcnt(0)
	v_add_nc_u16 v24, v26, v3
	v_add_co_ci_u32_e32 v29, vcc_lo, s13, v23, vcc_lo
	global_store_b16 v[28:29], v24, off
	s_or_b32 exec_lo, exec_lo, s5
	s_and_saveexec_b32 s2, s3
	s_cbranch_execz .LBB16_14
.LBB16_18:                              ;   in Loop: Header=BB16_4 Depth=1
	s_waitcnt vmcnt(0)
	v_add_co_u32 v26, vcc_lo, v15, s12
	v_add_nc_u16 v24, v27, v3
	v_add_co_ci_u32_e32 v27, vcc_lo, s13, v16, vcc_lo
	global_store_b16 v[26:27], v24, off
	s_or_b32 exec_lo, exec_lo, s2
	s_and_saveexec_b32 s2, s4
	s_cbranch_execz .LBB16_3
.LBB16_19:                              ;   in Loop: Header=BB16_4 Depth=1
	s_waitcnt vmcnt(0)
	v_add_co_u32 v24, vcc_lo, v8, s12
	v_add_nc_u16 v26, v25, v3
	v_add_co_ci_u32_e32 v25, vcc_lo, s13, v9, vcc_lo
	global_store_b16 v[24:25], v26, off
	s_branch .LBB16_3
.LBB16_20:
	s_mov_b32 s2, 0
.LBB16_21:
	s_delay_alu instid0(SALU_CYCLE_1)
	s_and_not1_b32 vcc_lo, exec_lo, s2
	s_cbranch_vccnz .LBB16_25
; %bb.22:
	v_dual_mov_b32 v2, 0 :: v_dual_lshlrev_b32 v1, 2, v0
	s_mov_b32 s2, 0
	s_mov_b32 s3, exec_lo
	s_delay_alu instid0(VALU_DEP_1)
	v_cmpx_gt_i64_e64 s[10:11], v[1:2]
	s_cbranch_execz .LBB16_25
; %bb.23:
	s_load_b32 s0, s[0:1], 0xcd4
	v_lshlrev_b32_e32 v1, 3, v0
	s_delay_alu instid0(VALU_DEP_1) | instskip(NEXT) | instid1(VALU_DEP_1)
	v_add_co_u32 v4, s1, s12, v1
	v_add_co_ci_u32_e64 v5, null, s13, 0, s1
	s_waitcnt lgkmcnt(0)
	s_and_b32 s0, s0, 0xffff
	s_delay_alu instid0(SALU_CYCLE_1)
	v_add_lshl_u32 v1, v0, s0, 2
	s_lshl_b32 s3, s0, 3
	s_lshl_b32 s4, s0, 2
	s_set_inst_prefetch_distance 0x1
	.p2align	6
.LBB16_24:                              ; =>This Inner Loop Header: Depth=1
	v_add_co_u32 v6, vcc_lo, s6, v4
	v_add_co_ci_u32_e32 v7, vcc_lo, s7, v5, vcc_lo
	v_add_co_u32 v8, vcc_lo, s8, v4
	v_add_co_ci_u32_e32 v9, vcc_lo, s9, v5, vcc_lo
	global_load_b64 v[6:7], v[6:7], off
	v_cmp_le_i64_e32 vcc_lo, s[10:11], v[1:2]
	v_cmp_lt_u64_e64 s0, 0xffff, v[1:2]
	v_add_co_u32 v4, s1, v4, s3
	s_delay_alu instid0(VALU_DEP_1) | instskip(SKIP_1) | instid1(VALU_DEP_4)
	v_add_co_ci_u32_e64 v5, s1, 0, v5, s1
	v_add_co_u32 v1, s1, v1, s4
	s_or_b32 s0, vcc_lo, s0
	v_add_co_ci_u32_e64 v2, s1, 0, v2, s1
	s_and_b32 s0, exec_lo, s0
	s_delay_alu instid0(SALU_CYCLE_1)
	s_or_b32 s2, s0, s2
	s_waitcnt vmcnt(0)
	v_lshrrev_b32_e32 v0, 16, v6
	v_lshrrev_b32_e32 v10, 16, v7
	v_add_nc_u16 v6, v3, v6
	v_add_nc_u16 v7, v3, v7
	s_delay_alu instid0(VALU_DEP_4) | instskip(NEXT) | instid1(VALU_DEP_4)
	v_add_nc_u16 v0, v3, v0
	v_add_nc_u16 v10, v3, v10
	s_delay_alu instid0(VALU_DEP_4) | instskip(NEXT) | instid1(VALU_DEP_4)
	v_and_b32_e32 v6, 0xffff, v6
	v_and_b32_e32 v7, 0xffff, v7
	s_delay_alu instid0(VALU_DEP_4) | instskip(NEXT) | instid1(VALU_DEP_4)
	v_lshlrev_b32_e32 v0, 16, v0
	v_lshlrev_b32_e32 v10, 16, v10
	s_delay_alu instid0(VALU_DEP_2) | instskip(NEXT) | instid1(VALU_DEP_2)
	v_or_b32_e32 v6, v0, v6
	v_or_b32_e32 v7, v10, v7
	global_store_b64 v[8:9], v[6:7], off
	s_and_not1_b32 exec_lo, exec_lo, s2
	s_cbranch_execnz .LBB16_24
.LBB16_25:
	s_set_inst_prefetch_distance 0x2
	s_nop 0
	s_sendmsg sendmsg(MSG_DEALLOC_VGPRS)
	s_endpgm
	.section	.rodata,"a",@progbits
	.p2align	6, 0x0
	.amdhsa_kernel _ZN2at6native12_GLOBAL__N_125multi_tensor_apply_kernelINS1_28TensorListScalarListMetadataIsLi2EEENS1_25BinaryOpScalarListFunctorIsLi2ELi1ELi1EEEJSt4plusIsEEEEvT_T0_DpT1_
		.amdhsa_group_segment_fixed_size 0
		.amdhsa_private_segment_fixed_size 0
		.amdhsa_kernarg_size 3528
		.amdhsa_user_sgpr_count 15
		.amdhsa_user_sgpr_dispatch_ptr 0
		.amdhsa_user_sgpr_queue_ptr 0
		.amdhsa_user_sgpr_kernarg_segment_ptr 1
		.amdhsa_user_sgpr_dispatch_id 0
		.amdhsa_user_sgpr_private_segment_size 0
		.amdhsa_wavefront_size32 1
		.amdhsa_uses_dynamic_stack 0
		.amdhsa_enable_private_segment 0
		.amdhsa_system_sgpr_workgroup_id_x 1
		.amdhsa_system_sgpr_workgroup_id_y 0
		.amdhsa_system_sgpr_workgroup_id_z 0
		.amdhsa_system_sgpr_workgroup_info 0
		.amdhsa_system_vgpr_workitem_id 0
		.amdhsa_next_free_vgpr 30
		.amdhsa_next_free_sgpr 21
		.amdhsa_reserve_vcc 1
		.amdhsa_float_round_mode_32 0
		.amdhsa_float_round_mode_16_64 0
		.amdhsa_float_denorm_mode_32 3
		.amdhsa_float_denorm_mode_16_64 3
		.amdhsa_dx10_clamp 1
		.amdhsa_ieee_mode 1
		.amdhsa_fp16_overflow 0
		.amdhsa_workgroup_processor_mode 1
		.amdhsa_memory_ordered 1
		.amdhsa_forward_progress 0
		.amdhsa_shared_vgpr_count 0
		.amdhsa_exception_fp_ieee_invalid_op 0
		.amdhsa_exception_fp_denorm_src 0
		.amdhsa_exception_fp_ieee_div_zero 0
		.amdhsa_exception_fp_ieee_overflow 0
		.amdhsa_exception_fp_ieee_underflow 0
		.amdhsa_exception_fp_ieee_inexact 0
		.amdhsa_exception_int_div_zero 0
	.end_amdhsa_kernel
	.section	.text._ZN2at6native12_GLOBAL__N_125multi_tensor_apply_kernelINS1_28TensorListScalarListMetadataIsLi2EEENS1_25BinaryOpScalarListFunctorIsLi2ELi1ELi1EEEJSt4plusIsEEEEvT_T0_DpT1_,"axG",@progbits,_ZN2at6native12_GLOBAL__N_125multi_tensor_apply_kernelINS1_28TensorListScalarListMetadataIsLi2EEENS1_25BinaryOpScalarListFunctorIsLi2ELi1ELi1EEEJSt4plusIsEEEEvT_T0_DpT1_,comdat
.Lfunc_end16:
	.size	_ZN2at6native12_GLOBAL__N_125multi_tensor_apply_kernelINS1_28TensorListScalarListMetadataIsLi2EEENS1_25BinaryOpScalarListFunctorIsLi2ELi1ELi1EEEJSt4plusIsEEEEvT_T0_DpT1_, .Lfunc_end16-_ZN2at6native12_GLOBAL__N_125multi_tensor_apply_kernelINS1_28TensorListScalarListMetadataIsLi2EEENS1_25BinaryOpScalarListFunctorIsLi2ELi1ELi1EEEJSt4plusIsEEEEvT_T0_DpT1_
                                        ; -- End function
	.section	.AMDGPU.csdata,"",@progbits
; Kernel info:
; codeLenInByte = 1516
; NumSgprs: 23
; NumVgprs: 30
; ScratchSize: 0
; MemoryBound: 0
; FloatMode: 240
; IeeeMode: 1
; LDSByteSize: 0 bytes/workgroup (compile time only)
; SGPRBlocks: 2
; VGPRBlocks: 3
; NumSGPRsForWavesPerEU: 23
; NumVGPRsForWavesPerEU: 30
; Occupancy: 16
; WaveLimiterHint : 0
; COMPUTE_PGM_RSRC2:SCRATCH_EN: 0
; COMPUTE_PGM_RSRC2:USER_SGPR: 15
; COMPUTE_PGM_RSRC2:TRAP_HANDLER: 0
; COMPUTE_PGM_RSRC2:TGID_X_EN: 1
; COMPUTE_PGM_RSRC2:TGID_Y_EN: 0
; COMPUTE_PGM_RSRC2:TGID_Z_EN: 0
; COMPUTE_PGM_RSRC2:TIDIG_COMP_CNT: 0
	.section	.text._ZN2at6native12_GLOBAL__N_125multi_tensor_apply_kernelINS1_28TensorListScalarListMetadataIdLi2EEENS1_25BinaryOpScalarListFunctorIdLi2ELi1ELi1EEEJSt4plusIdEEEEvT_T0_DpT1_,"axG",@progbits,_ZN2at6native12_GLOBAL__N_125multi_tensor_apply_kernelINS1_28TensorListScalarListMetadataIdLi2EEENS1_25BinaryOpScalarListFunctorIdLi2ELi1ELi1EEEJSt4plusIdEEEEvT_T0_DpT1_,comdat
	.globl	_ZN2at6native12_GLOBAL__N_125multi_tensor_apply_kernelINS1_28TensorListScalarListMetadataIdLi2EEENS1_25BinaryOpScalarListFunctorIdLi2ELi1ELi1EEEJSt4plusIdEEEEvT_T0_DpT1_ ; -- Begin function _ZN2at6native12_GLOBAL__N_125multi_tensor_apply_kernelINS1_28TensorListScalarListMetadataIdLi2EEENS1_25BinaryOpScalarListFunctorIdLi2ELi1ELi1EEEJSt4plusIdEEEEvT_T0_DpT1_
	.p2align	8
	.type	_ZN2at6native12_GLOBAL__N_125multi_tensor_apply_kernelINS1_28TensorListScalarListMetadataIdLi2EEENS1_25BinaryOpScalarListFunctorIdLi2ELi1ELi1EEEJSt4plusIdEEEEvT_T0_DpT1_,@function
_ZN2at6native12_GLOBAL__N_125multi_tensor_apply_kernelINS1_28TensorListScalarListMetadataIdLi2EEENS1_25BinaryOpScalarListFunctorIdLi2ELi1ELi1EEEJSt4plusIdEEEEvT_T0_DpT1_: ; @_ZN2at6native12_GLOBAL__N_125multi_tensor_apply_kernelINS1_28TensorListScalarListMetadataIdLi2EEENS1_25BinaryOpScalarListFunctorIdLi2ELi1ELi1EEEJSt4plusIdEEEEvT_T0_DpT1_
; %bb.0:
	v_mov_b32_e32 v1, s15
	s_add_u32 s2, s0, s15
	s_mul_hi_u32 s3, s15, 3
	s_mul_i32 s15, s15, 3
	s_addc_u32 s4, s1, 0
	global_load_u8 v1, v1, s[0:1] offset:2048
	s_add_u32 s2, s2, s15
	s_addc_u32 s3, s4, s3
	s_mov_b32 s15, 0
	s_load_b32 s8, s[2:3], 0x940
	s_mov_b32 s21, s15
	s_mov_b32 s23, s15
	s_waitcnt vmcnt(0)
	v_readfirstlane_b32 s2, v1
	s_delay_alu instid0(VALU_DEP_1)
	s_lshl_b32 s9, s2, 3
	s_clause 0x3
	s_load_b64 s[2:3], s[0:1], s9 offset:0x0
	s_load_b64 s[6:7], s[0:1], s9 offset:0x600
	s_load_b64 s[4:5], s[0:1], s9 offset:0x200
	s_load_b64 s[12:13], s[0:1], s9 offset:0x400
	s_waitcnt lgkmcnt(0)
	s_ashr_i32 s9, s8, 31
	s_delay_alu instid0(SALU_CYCLE_1) | instskip(NEXT) | instid1(SALU_CYCLE_1)
	s_lshl_b64 s[10:11], s[8:9], 19
	s_add_u32 s16, s2, s10
	s_addc_u32 s17, s3, s11
	s_and_b32 s14, s16, 31
	s_add_u32 s18, s4, s10
	s_addc_u32 s19, s5, s11
	s_and_b32 s20, s12, 3
	s_and_b32 s22, s18, 31
	s_or_b64 s[14:15], s[14:15], s[20:21]
	s_lshl_b64 s[8:9], s[8:9], 16
	s_or_b64 s[14:15], s[22:23], s[14:15]
	s_sub_u32 s8, s12, s8
	s_subb_u32 s9, s13, s9
	s_cmp_eq_u64 s[14:15], 0
	s_mov_b32 s12, -1
	s_cbranch_scc1 .LBB17_21
; %bb.1:
	v_cmp_lt_i64_e64 s12, s[8:9], 1
	s_delay_alu instid0(VALU_DEP_1)
	s_and_b32 vcc_lo, exec_lo, s12
	s_cbranch_vccnz .LBB17_20
; %bb.2:
	s_load_b32 s12, s[0:1], 0xe54
	v_dual_mov_b32 v2, 0 :: v_dual_lshlrev_b32 v1, 3, v0
	v_cmp_gt_u64_e64 s13, 0x10000, s[8:9]
	s_delay_alu instid0(VALU_DEP_2) | instskip(NEXT) | instid1(VALU_DEP_1)
	v_add_co_u32 v9, s14, s2, v1
	v_add_co_ci_u32_e64 v10, null, s3, 0, s14
	v_add_co_u32 v11, s14, s4, v1
	s_delay_alu instid0(VALU_DEP_1)
	v_add_co_ci_u32_e64 v12, null, s5, 0, s14
	s_waitcnt lgkmcnt(0)
	s_and_b32 s14, s12, 0xffff
	s_and_b32 s12, s13, exec_lo
	v_mad_u64_u32 v[3:4], null, s14, 24, v[1:2]
	s_cselect_b32 s13, s9, 0
	s_cselect_b32 s12, s8, 0x10000
	s_lshl_b32 s21, s14, 4
	s_mul_i32 s20, s14, 3
	v_add_co_u32 v1, s21, s21, v1
	s_delay_alu instid0(VALU_DEP_2) | instskip(NEXT) | instid1(VALU_DEP_3)
	v_add_co_u32 v13, vcc_lo, s2, v3
	v_add_co_ci_u32_e32 v14, vcc_lo, s3, v4, vcc_lo
	v_add_co_u32 v17, s20, s20, v0
	v_add_co_u32 v15, vcc_lo, s4, v3
	v_add_co_ci_u32_e64 v2, null, 0, 0, s21
	v_add_co_ci_u32_e64 v18, null, 0, 0, s20
	v_add_co_u32 v21, s20, v0, s14
	v_add_co_ci_u32_e32 v16, vcc_lo, s5, v4, vcc_lo
	v_add_co_u32 v19, vcc_lo, s2, v1
	v_add_co_ci_u32_e32 v20, vcc_lo, s3, v2, vcc_lo
	v_add_co_u32 v22, vcc_lo, s4, v1
	v_lshlrev_b32_e32 v1, 3, v21
	s_lshl_b32 s15, s14, 1
	v_add_co_ci_u32_e32 v23, vcc_lo, s5, v2, vcc_lo
	v_add_co_u32 v25, s15, s15, v0
	s_delay_alu instid0(VALU_DEP_3) | instskip(NEXT) | instid1(VALU_DEP_1)
	v_add_co_u32 v27, s2, s2, v1
	v_add_co_ci_u32_e64 v28, null, s3, 0, s2
	v_add_co_u32 v29, s2, s4, v1
	v_add_co_ci_u32_e64 v24, null, 0, 0, s20
	v_add_co_ci_u32_e64 v26, null, 0, 0, s15
	;; [unrolled: 1-line block ×3, first 2 shown]
	s_lshl_b32 s20, s14, 2
	s_lshl_b32 s21, s14, 5
	s_mov_b64 s[14:15], 0
	s_branch .LBB17_4
.LBB17_3:                               ;   in Loop: Header=BB17_4 Depth=1
	s_or_b32 exec_lo, exec_lo, s2
	v_add_co_u32 v9, vcc_lo, v9, s21
	v_add_co_ci_u32_e32 v10, vcc_lo, 0, v10, vcc_lo
	v_add_co_u32 v11, vcc_lo, v11, s21
	v_add_co_ci_u32_e32 v12, vcc_lo, 0, v12, vcc_lo
	;; [unrolled: 2-line block ×5, first 2 shown]
	s_add_u32 s14, s14, s20
	v_add_co_u32 v22, vcc_lo, v22, s21
	s_addc_u32 s15, s15, 0
	v_add_co_ci_u32_e32 v23, vcc_lo, 0, v23, vcc_lo
	v_cmp_lt_i64_e64 s2, s[14:15], s[8:9]
	v_cmp_gt_u64_e64 s3, 0x10000, s[14:15]
	v_add_co_u32 v27, vcc_lo, v27, s21
	v_add_co_ci_u32_e32 v28, vcc_lo, 0, v28, vcc_lo
	v_add_co_u32 v29, vcc_lo, v29, s21
	v_add_co_ci_u32_e32 v30, vcc_lo, 0, v30, vcc_lo
	s_and_b32 s2, s2, s3
	s_delay_alu instid0(SALU_CYCLE_1)
	s_and_b32 vcc_lo, exec_lo, s2
	s_cbranch_vccz .LBB17_20
.LBB17_4:                               ; =>This Inner Loop Header: Depth=1
	s_waitcnt vmcnt(0)
	v_add_co_u32 v3, s2, v0, s14
	s_delay_alu instid0(VALU_DEP_1) | instskip(SKIP_2) | instid1(VALU_DEP_3)
	v_add_co_ci_u32_e64 v4, null, 0, s15, s2
	v_mov_b32_e32 v1, 0
	v_mov_b32_e32 v2, 0
	v_cmp_gt_u64_e32 vcc_lo, s[12:13], v[3:4]
	s_delay_alu instid0(VALU_DEP_2)
	v_dual_mov_b32 v4, v2 :: v_dual_mov_b32 v3, v1
	s_and_saveexec_b32 s3, vcc_lo
	s_cbranch_execz .LBB17_6
; %bb.5:                                ;   in Loop: Header=BB17_4 Depth=1
	v_add_co_u32 v3, s2, v9, s10
	s_delay_alu instid0(VALU_DEP_1)
	v_add_co_ci_u32_e64 v4, s2, s11, v10, s2
	global_load_b64 v[3:4], v[3:4], off
.LBB17_6:                               ;   in Loop: Header=BB17_4 Depth=1
	s_or_b32 exec_lo, exec_lo, s3
	v_add_co_u32 v5, s2, v21, s14
	s_delay_alu instid0(VALU_DEP_1) | instskip(NEXT) | instid1(VALU_DEP_1)
	v_add_co_ci_u32_e64 v6, s2, s15, v24, s2
	v_cmp_gt_u64_e64 s2, s[12:13], v[5:6]
	s_delay_alu instid0(VALU_DEP_1)
	s_and_saveexec_b32 s4, s2
	s_cbranch_execz .LBB17_8
; %bb.7:                                ;   in Loop: Header=BB17_4 Depth=1
	v_add_co_u32 v1, s3, v27, s10
	s_delay_alu instid0(VALU_DEP_1)
	v_add_co_ci_u32_e64 v2, s3, s11, v28, s3
	global_load_b64 v[1:2], v[1:2], off
.LBB17_8:                               ;   in Loop: Header=BB17_4 Depth=1
	s_or_b32 exec_lo, exec_lo, s4
	v_add_co_u32 v7, s3, v25, s14
	s_delay_alu instid0(VALU_DEP_1) | instskip(SKIP_2) | instid1(VALU_DEP_3)
	v_add_co_ci_u32_e64 v8, s3, s15, v26, s3
	v_mov_b32_e32 v5, 0
	v_mov_b32_e32 v6, 0
	v_cmp_gt_u64_e64 s3, s[12:13], v[7:8]
	s_delay_alu instid0(VALU_DEP_2) | instskip(NEXT) | instid1(VALU_DEP_2)
	v_dual_mov_b32 v8, v6 :: v_dual_mov_b32 v7, v5
	s_and_saveexec_b32 s5, s3
	s_cbranch_execz .LBB17_10
; %bb.9:                                ;   in Loop: Header=BB17_4 Depth=1
	v_add_co_u32 v7, s4, v19, s10
	s_delay_alu instid0(VALU_DEP_1)
	v_add_co_ci_u32_e64 v8, s4, s11, v20, s4
	global_load_b64 v[7:8], v[7:8], off
.LBB17_10:                              ;   in Loop: Header=BB17_4 Depth=1
	s_or_b32 exec_lo, exec_lo, s5
	v_add_co_u32 v31, s4, v17, s14
	s_delay_alu instid0(VALU_DEP_1) | instskip(NEXT) | instid1(VALU_DEP_1)
	v_add_co_ci_u32_e64 v32, s4, s15, v18, s4
	v_cmp_gt_u64_e64 s4, s[12:13], v[31:32]
	s_delay_alu instid0(VALU_DEP_1)
	s_and_saveexec_b32 s22, s4
	s_cbranch_execnz .LBB17_15
; %bb.11:                               ;   in Loop: Header=BB17_4 Depth=1
	s_or_b32 exec_lo, exec_lo, s22
	s_and_saveexec_b32 s5, vcc_lo
	s_cbranch_execnz .LBB17_16
.LBB17_12:                              ;   in Loop: Header=BB17_4 Depth=1
	s_or_b32 exec_lo, exec_lo, s5
	s_and_saveexec_b32 s5, s2
	s_cbranch_execnz .LBB17_17
.LBB17_13:                              ;   in Loop: Header=BB17_4 Depth=1
	s_or_b32 exec_lo, exec_lo, s5
	s_and_saveexec_b32 s2, s3
	s_cbranch_execnz .LBB17_18
.LBB17_14:                              ;   in Loop: Header=BB17_4 Depth=1
	s_or_b32 exec_lo, exec_lo, s2
	s_and_saveexec_b32 s2, s4
	s_cbranch_execz .LBB17_3
	s_branch .LBB17_19
.LBB17_15:                              ;   in Loop: Header=BB17_4 Depth=1
	v_add_co_u32 v5, s5, v13, s10
	s_delay_alu instid0(VALU_DEP_1)
	v_add_co_ci_u32_e64 v6, s5, s11, v14, s5
	global_load_b64 v[5:6], v[5:6], off
	s_or_b32 exec_lo, exec_lo, s22
	s_and_saveexec_b32 s5, vcc_lo
	s_cbranch_execz .LBB17_12
.LBB17_16:                              ;   in Loop: Header=BB17_4 Depth=1
	s_waitcnt vmcnt(0)
	v_add_f64 v[3:4], s[6:7], v[3:4]
	v_add_co_u32 v31, vcc_lo, v11, s10
	v_add_co_ci_u32_e32 v32, vcc_lo, s11, v12, vcc_lo
	global_store_b64 v[31:32], v[3:4], off
	s_or_b32 exec_lo, exec_lo, s5
	s_and_saveexec_b32 s5, s2
	s_cbranch_execz .LBB17_13
.LBB17_17:                              ;   in Loop: Header=BB17_4 Depth=1
	s_waitcnt vmcnt(0)
	v_add_f64 v[1:2], s[6:7], v[1:2]
	v_add_co_u32 v3, vcc_lo, v29, s10
	v_add_co_ci_u32_e32 v4, vcc_lo, s11, v30, vcc_lo
	global_store_b64 v[3:4], v[1:2], off
	s_or_b32 exec_lo, exec_lo, s5
	s_and_saveexec_b32 s2, s3
	s_cbranch_execz .LBB17_14
.LBB17_18:                              ;   in Loop: Header=BB17_4 Depth=1
	s_waitcnt vmcnt(0)
	v_add_f64 v[1:2], s[6:7], v[7:8]
	v_add_co_u32 v3, vcc_lo, v22, s10
	v_add_co_ci_u32_e32 v4, vcc_lo, s11, v23, vcc_lo
	global_store_b64 v[3:4], v[1:2], off
	s_or_b32 exec_lo, exec_lo, s2
	s_and_saveexec_b32 s2, s4
	s_cbranch_execz .LBB17_3
.LBB17_19:                              ;   in Loop: Header=BB17_4 Depth=1
	s_waitcnt vmcnt(0)
	v_add_f64 v[1:2], s[6:7], v[5:6]
	v_add_co_u32 v3, vcc_lo, v15, s10
	v_add_co_ci_u32_e32 v4, vcc_lo, s11, v16, vcc_lo
	global_store_b64 v[3:4], v[1:2], off
	s_branch .LBB17_3
.LBB17_20:
	s_mov_b32 s12, 0
.LBB17_21:
	s_delay_alu instid0(SALU_CYCLE_1)
	s_and_not1_b32 vcc_lo, exec_lo, s12
	s_cbranch_vccnz .LBB17_25
; %bb.22:
	s_waitcnt vmcnt(0)
	v_dual_mov_b32 v2, 0 :: v_dual_lshlrev_b32 v1, 2, v0
	s_mov_b32 s2, 0
	s_mov_b32 s3, exec_lo
	s_delay_alu instid0(VALU_DEP_1)
	v_cmpx_gt_i64_e64 s[8:9], v[1:2]
	s_cbranch_execz .LBB17_25
; %bb.23:
	s_load_b32 s0, s[0:1], 0xe54
	s_waitcnt lgkmcnt(0)
	s_and_b32 s0, s0, 0xffff
	s_delay_alu instid0(SALU_CYCLE_1)
	v_add_lshl_u32 v1, v0, s0, 2
	v_lshlrev_b32_e32 v0, 5, v0
	s_lshl_b32 s3, s0, 2
	s_lshl_b32 s4, s0, 5
	s_set_inst_prefetch_distance 0x1
	.p2align	6
.LBB17_24:                              ; =>This Inner Loop Header: Depth=1
	s_delay_alu instid0(VALU_DEP_1) | instskip(NEXT) | instid1(VALU_DEP_1)
	v_add_co_u32 v7, s0, s16, v0
	v_add_co_ci_u32_e64 v8, null, s17, 0, s0
	v_cmp_le_i64_e32 vcc_lo, s[8:9], v[1:2]
	v_cmp_lt_u64_e64 s0, 0xffff, v[1:2]
	v_add_co_u32 v11, s1, s18, v0
	s_clause 0x1
	global_load_b128 v[3:6], v[7:8], off
	global_load_b128 v[7:10], v[7:8], off offset:16
	v_add_co_ci_u32_e64 v12, null, s19, 0, s1
	s_or_b32 s0, vcc_lo, s0
	s_add_u32 s16, s16, s4
	v_add_co_u32 v1, s1, v1, s3
	s_addc_u32 s17, s17, 0
	s_add_u32 s18, s18, s4
	v_add_co_ci_u32_e64 v2, s1, 0, v2, s1
	s_addc_u32 s19, s19, 0
	s_and_b32 s0, exec_lo, s0
	s_delay_alu instid0(SALU_CYCLE_1)
	s_or_b32 s2, s0, s2
	s_waitcnt vmcnt(1)
	v_add_f64 v[3:4], s[6:7], v[3:4]
	v_add_f64 v[5:6], s[6:7], v[5:6]
	s_waitcnt vmcnt(0)
	v_add_f64 v[7:8], s[6:7], v[7:8]
	v_add_f64 v[9:10], s[6:7], v[9:10]
	s_clause 0x1
	global_store_b128 v[11:12], v[3:6], off
	global_store_b128 v[11:12], v[7:10], off offset:16
	s_and_not1_b32 exec_lo, exec_lo, s2
	s_cbranch_execnz .LBB17_24
.LBB17_25:
	s_set_inst_prefetch_distance 0x2
	s_nop 0
	s_sendmsg sendmsg(MSG_DEALLOC_VGPRS)
	s_endpgm
	.section	.rodata,"a",@progbits
	.p2align	6, 0x0
	.amdhsa_kernel _ZN2at6native12_GLOBAL__N_125multi_tensor_apply_kernelINS1_28TensorListScalarListMetadataIdLi2EEENS1_25BinaryOpScalarListFunctorIdLi2ELi1ELi1EEEJSt4plusIdEEEEvT_T0_DpT1_
		.amdhsa_group_segment_fixed_size 0
		.amdhsa_private_segment_fixed_size 0
		.amdhsa_kernarg_size 3912
		.amdhsa_user_sgpr_count 15
		.amdhsa_user_sgpr_dispatch_ptr 0
		.amdhsa_user_sgpr_queue_ptr 0
		.amdhsa_user_sgpr_kernarg_segment_ptr 1
		.amdhsa_user_sgpr_dispatch_id 0
		.amdhsa_user_sgpr_private_segment_size 0
		.amdhsa_wavefront_size32 1
		.amdhsa_uses_dynamic_stack 0
		.amdhsa_enable_private_segment 0
		.amdhsa_system_sgpr_workgroup_id_x 1
		.amdhsa_system_sgpr_workgroup_id_y 0
		.amdhsa_system_sgpr_workgroup_id_z 0
		.amdhsa_system_sgpr_workgroup_info 0
		.amdhsa_system_vgpr_workitem_id 0
		.amdhsa_next_free_vgpr 33
		.amdhsa_next_free_sgpr 24
		.amdhsa_reserve_vcc 1
		.amdhsa_float_round_mode_32 0
		.amdhsa_float_round_mode_16_64 0
		.amdhsa_float_denorm_mode_32 3
		.amdhsa_float_denorm_mode_16_64 3
		.amdhsa_dx10_clamp 1
		.amdhsa_ieee_mode 1
		.amdhsa_fp16_overflow 0
		.amdhsa_workgroup_processor_mode 1
		.amdhsa_memory_ordered 1
		.amdhsa_forward_progress 0
		.amdhsa_shared_vgpr_count 0
		.amdhsa_exception_fp_ieee_invalid_op 0
		.amdhsa_exception_fp_denorm_src 0
		.amdhsa_exception_fp_ieee_div_zero 0
		.amdhsa_exception_fp_ieee_overflow 0
		.amdhsa_exception_fp_ieee_underflow 0
		.amdhsa_exception_fp_ieee_inexact 0
		.amdhsa_exception_int_div_zero 0
	.end_amdhsa_kernel
	.section	.text._ZN2at6native12_GLOBAL__N_125multi_tensor_apply_kernelINS1_28TensorListScalarListMetadataIdLi2EEENS1_25BinaryOpScalarListFunctorIdLi2ELi1ELi1EEEJSt4plusIdEEEEvT_T0_DpT1_,"axG",@progbits,_ZN2at6native12_GLOBAL__N_125multi_tensor_apply_kernelINS1_28TensorListScalarListMetadataIdLi2EEENS1_25BinaryOpScalarListFunctorIdLi2ELi1ELi1EEEJSt4plusIdEEEEvT_T0_DpT1_,comdat
.Lfunc_end17:
	.size	_ZN2at6native12_GLOBAL__N_125multi_tensor_apply_kernelINS1_28TensorListScalarListMetadataIdLi2EEENS1_25BinaryOpScalarListFunctorIdLi2ELi1ELi1EEEJSt4plusIdEEEEvT_T0_DpT1_, .Lfunc_end17-_ZN2at6native12_GLOBAL__N_125multi_tensor_apply_kernelINS1_28TensorListScalarListMetadataIdLi2EEENS1_25BinaryOpScalarListFunctorIdLi2ELi1ELi1EEEJSt4plusIdEEEEvT_T0_DpT1_
                                        ; -- End function
	.section	.AMDGPU.csdata,"",@progbits
; Kernel info:
; codeLenInByte = 1488
; NumSgprs: 26
; NumVgprs: 33
; ScratchSize: 0
; MemoryBound: 0
; FloatMode: 240
; IeeeMode: 1
; LDSByteSize: 0 bytes/workgroup (compile time only)
; SGPRBlocks: 3
; VGPRBlocks: 4
; NumSGPRsForWavesPerEU: 26
; NumVGPRsForWavesPerEU: 33
; Occupancy: 16
; WaveLimiterHint : 1
; COMPUTE_PGM_RSRC2:SCRATCH_EN: 0
; COMPUTE_PGM_RSRC2:USER_SGPR: 15
; COMPUTE_PGM_RSRC2:TRAP_HANDLER: 0
; COMPUTE_PGM_RSRC2:TGID_X_EN: 1
; COMPUTE_PGM_RSRC2:TGID_Y_EN: 0
; COMPUTE_PGM_RSRC2:TGID_Z_EN: 0
; COMPUTE_PGM_RSRC2:TIDIG_COMP_CNT: 0
	.section	.text._ZN2at6native12_GLOBAL__N_125multi_tensor_apply_kernelINS1_28TensorListScalarListMetadataIfLi2EEENS1_25BinaryOpScalarListFunctorIfLi2ELi1ELi1EEEJSt4plusIfEEEEvT_T0_DpT1_,"axG",@progbits,_ZN2at6native12_GLOBAL__N_125multi_tensor_apply_kernelINS1_28TensorListScalarListMetadataIfLi2EEENS1_25BinaryOpScalarListFunctorIfLi2ELi1ELi1EEEJSt4plusIfEEEEvT_T0_DpT1_,comdat
	.globl	_ZN2at6native12_GLOBAL__N_125multi_tensor_apply_kernelINS1_28TensorListScalarListMetadataIfLi2EEENS1_25BinaryOpScalarListFunctorIfLi2ELi1ELi1EEEJSt4plusIfEEEEvT_T0_DpT1_ ; -- Begin function _ZN2at6native12_GLOBAL__N_125multi_tensor_apply_kernelINS1_28TensorListScalarListMetadataIfLi2EEENS1_25BinaryOpScalarListFunctorIfLi2ELi1ELi1EEEJSt4plusIfEEEEvT_T0_DpT1_
	.p2align	8
	.type	_ZN2at6native12_GLOBAL__N_125multi_tensor_apply_kernelINS1_28TensorListScalarListMetadataIfLi2EEENS1_25BinaryOpScalarListFunctorIfLi2ELi1ELi1EEEJSt4plusIfEEEEvT_T0_DpT1_,@function
_ZN2at6native12_GLOBAL__N_125multi_tensor_apply_kernelINS1_28TensorListScalarListMetadataIfLi2EEENS1_25BinaryOpScalarListFunctorIfLi2ELi1ELi1EEEJSt4plusIfEEEEvT_T0_DpT1_: ; @_ZN2at6native12_GLOBAL__N_125multi_tensor_apply_kernelINS1_28TensorListScalarListMetadataIfLi2EEENS1_25BinaryOpScalarListFunctorIfLi2ELi1ELi1EEEJSt4plusIfEEEEvT_T0_DpT1_
; %bb.0:
	v_mov_b32_e32 v1, s15
	s_add_u32 s2, s0, s15
	s_mul_hi_u32 s3, s15, 3
	s_mul_i32 s15, s15, 3
	s_addc_u32 s4, s1, 0
	global_load_u8 v1, v1, s[0:1] offset:1792
	s_add_u32 s2, s2, s15
	s_addc_u32 s3, s4, s3
	s_mov_b32 s13, 0
	s_load_b32 s6, s[2:3], 0x840
	s_waitcnt lgkmcnt(0)
	s_ashr_i32 s7, s6, 31
	s_waitcnt vmcnt(0)
	v_readfirstlane_b32 s2, v1
	v_lshlrev_b32_e32 v1, 2, v1
	s_delay_alu instid0(VALU_DEP_2)
	s_lshl_b32 s8, s2, 3
	s_clause 0x2
	s_load_b64 s[10:11], s[0:1], s8 offset:0x400
	s_load_b64 s[4:5], s[0:1], s8 offset:0x0
	;; [unrolled: 1-line block ×3, first 2 shown]
	s_add_u32 s8, s0, s8
	s_addc_u32 s9, s1, 0
	v_sub_co_u32 v1, s8, s8, v1
	s_delay_alu instid0(VALU_DEP_1) | instskip(NEXT) | instid1(VALU_DEP_2)
	v_sub_co_ci_u32_e64 v2, null, s9, 0, s8
	v_readfirstlane_b32 s8, v1
	s_delay_alu instid0(VALU_DEP_2)
	v_readfirstlane_b32 s9, v2
	s_load_b32 s14, s[8:9], 0x600
	s_lshl_b64 s[8:9], s[6:7], 18
	s_waitcnt lgkmcnt(0)
	s_add_u32 s15, s4, s8
	s_addc_u32 s16, s5, s9
	s_and_b32 s12, s15, 15
	s_add_u32 s17, s2, s8
	s_addc_u32 s18, s3, s9
	s_and_b32 s19, s10, 3
	s_and_b32 s20, s17, 15
	s_or_b32 s12, s12, s19
	s_lshl_b64 s[6:7], s[6:7], 16
	s_or_b32 s12, s20, s12
	s_sub_u32 s6, s10, s6
	s_subb_u32 s7, s11, s7
	s_cmp_eq_u64 s[12:13], 0
	s_mov_b32 s10, -1
	s_cbranch_scc1 .LBB18_21
; %bb.1:
	v_cmp_lt_i64_e64 s10, s[6:7], 1
	s_delay_alu instid0(VALU_DEP_1)
	s_and_b32 vcc_lo, exec_lo, s10
	s_cbranch_vccnz .LBB18_20
; %bb.2:
	s_load_b32 s10, s[0:1], 0xd54
	v_dual_mov_b32 v10, 0 :: v_dual_lshlrev_b32 v9, 2, v0
	v_cmp_gt_u64_e64 s11, 0x10000, s[6:7]
	s_delay_alu instid0(VALU_DEP_2) | instskip(NEXT) | instid1(VALU_DEP_1)
	v_add_co_u32 v1, s12, s4, v9
	v_add_co_ci_u32_e64 v2, null, s5, 0, s12
	v_add_co_u32 v3, s12, s2, v9
	s_delay_alu instid0(VALU_DEP_1)
	v_add_co_ci_u32_e64 v4, null, s3, 0, s12
	s_waitcnt lgkmcnt(0)
	s_and_b32 s12, s10, 0xffff
	s_and_b32 s10, s11, exec_lo
	v_mad_u64_u32 v[7:8], null, s12, 12, v[9:10]
	s_cselect_b32 s11, s7, 0
	s_cselect_b32 s10, s6, 0x10000
	s_mul_i32 s19, s12, 3
	s_lshl_b32 s20, s12, 3
	s_lshl_b32 s13, s12, 1
	v_add_co_u32 v14, s20, s20, v9
	v_add_co_u32 v9, s19, s19, v0
	s_delay_alu instid0(VALU_DEP_1)
	v_add_co_ci_u32_e64 v10, null, 0, 0, s19
	v_add_co_u32 v13, s19, v0, s12
	v_add_co_u32 v5, vcc_lo, s4, v7
	v_add_co_ci_u32_e32 v6, vcc_lo, s5, v8, vcc_lo
	v_add_co_u32 v7, vcc_lo, s2, v7
	v_add_co_ci_u32_e64 v15, null, 0, 0, s20
	v_lshlrev_b32_e32 v21, 2, v13
	v_add_co_ci_u32_e32 v8, vcc_lo, s3, v8, vcc_lo
	v_add_co_u32 v11, vcc_lo, s4, v14
	s_delay_alu instid0(VALU_DEP_4)
	v_add_co_ci_u32_e32 v12, vcc_lo, s5, v15, vcc_lo
	v_add_co_u32 v14, vcc_lo, s2, v14
	v_add_co_u32 v17, s13, s13, v0
	v_add_co_u32 v19, s4, s4, v21
	;; [unrolled: 1-line block ×3, first 2 shown]
	v_add_co_ci_u32_e32 v15, vcc_lo, s3, v15, vcc_lo
	v_add_co_ci_u32_e64 v16, null, 0, 0, s19
	v_add_co_ci_u32_e64 v18, null, 0, 0, s13
	;; [unrolled: 1-line block ×4, first 2 shown]
	s_lshl_b32 s19, s12, 2
	s_lshl_b32 s20, s12, 4
	s_mov_b64 s[12:13], 0
	s_branch .LBB18_4
.LBB18_3:                               ;   in Loop: Header=BB18_4 Depth=1
	s_or_b32 exec_lo, exec_lo, s2
	v_add_co_u32 v1, vcc_lo, v1, s20
	v_add_co_ci_u32_e32 v2, vcc_lo, 0, v2, vcc_lo
	v_add_co_u32 v3, vcc_lo, v3, s20
	v_add_co_ci_u32_e32 v4, vcc_lo, 0, v4, vcc_lo
	;; [unrolled: 2-line block ×5, first 2 shown]
	s_add_u32 s12, s12, s19
	v_add_co_u32 v14, vcc_lo, v14, s20
	s_addc_u32 s13, s13, 0
	v_add_co_ci_u32_e32 v15, vcc_lo, 0, v15, vcc_lo
	v_cmp_lt_i64_e64 s2, s[12:13], s[6:7]
	v_cmp_gt_u64_e64 s3, 0x10000, s[12:13]
	v_add_co_u32 v19, vcc_lo, v19, s20
	v_add_co_ci_u32_e32 v20, vcc_lo, 0, v20, vcc_lo
	v_add_co_u32 v21, vcc_lo, v21, s20
	v_add_co_ci_u32_e32 v22, vcc_lo, 0, v22, vcc_lo
	s_and_b32 s2, s2, s3
	s_delay_alu instid0(SALU_CYCLE_1)
	s_and_b32 vcc_lo, exec_lo, s2
	s_cbranch_vccz .LBB18_20
.LBB18_4:                               ; =>This Inner Loop Header: Depth=1
	s_waitcnt vmcnt(0)
	v_add_co_u32 v23, s2, v0, s12
	s_delay_alu instid0(VALU_DEP_1) | instskip(NEXT) | instid1(VALU_DEP_1)
	v_add_co_ci_u32_e64 v24, null, 0, s13, s2
	v_cmp_gt_u64_e32 vcc_lo, s[10:11], v[23:24]
	v_mov_b32_e32 v23, 0
	s_and_saveexec_b32 s3, vcc_lo
	s_cbranch_execz .LBB18_6
; %bb.5:                                ;   in Loop: Header=BB18_4 Depth=1
	v_add_co_u32 v23, s2, v1, s8
	s_delay_alu instid0(VALU_DEP_1)
	v_add_co_ci_u32_e64 v24, s2, s9, v2, s2
	global_load_b32 v23, v[23:24], off
.LBB18_6:                               ;   in Loop: Header=BB18_4 Depth=1
	s_or_b32 exec_lo, exec_lo, s3
	v_add_co_u32 v24, s2, v13, s12
	s_delay_alu instid0(VALU_DEP_1) | instskip(NEXT) | instid1(VALU_DEP_1)
	v_add_co_ci_u32_e64 v25, s2, s13, v16, s2
	v_cmp_gt_u64_e64 s2, s[10:11], v[24:25]
	v_mov_b32_e32 v25, 0
	s_delay_alu instid0(VALU_DEP_2)
	s_and_saveexec_b32 s4, s2
	s_cbranch_execz .LBB18_8
; %bb.7:                                ;   in Loop: Header=BB18_4 Depth=1
	v_add_co_u32 v24, s3, v19, s8
	s_delay_alu instid0(VALU_DEP_1)
	v_add_co_ci_u32_e64 v25, s3, s9, v20, s3
	global_load_b32 v25, v[24:25], off
.LBB18_8:                               ;   in Loop: Header=BB18_4 Depth=1
	s_or_b32 exec_lo, exec_lo, s4
	v_add_co_u32 v26, s3, v17, s12
	s_delay_alu instid0(VALU_DEP_1) | instskip(SKIP_1) | instid1(VALU_DEP_2)
	v_add_co_ci_u32_e64 v27, s3, s13, v18, s3
	v_mov_b32_e32 v24, 0
	v_cmp_gt_u64_e64 s3, s[10:11], v[26:27]
	v_mov_b32_e32 v26, 0
	s_delay_alu instid0(VALU_DEP_2)
	s_and_saveexec_b32 s5, s3
	s_cbranch_execz .LBB18_10
; %bb.9:                                ;   in Loop: Header=BB18_4 Depth=1
	v_add_co_u32 v26, s4, v11, s8
	s_delay_alu instid0(VALU_DEP_1)
	v_add_co_ci_u32_e64 v27, s4, s9, v12, s4
	global_load_b32 v26, v[26:27], off
.LBB18_10:                              ;   in Loop: Header=BB18_4 Depth=1
	s_or_b32 exec_lo, exec_lo, s5
	v_add_co_u32 v27, s4, v9, s12
	s_delay_alu instid0(VALU_DEP_1) | instskip(NEXT) | instid1(VALU_DEP_1)
	v_add_co_ci_u32_e64 v28, s4, s13, v10, s4
	v_cmp_gt_u64_e64 s4, s[10:11], v[27:28]
	s_delay_alu instid0(VALU_DEP_1)
	s_and_saveexec_b32 s21, s4
	s_cbranch_execnz .LBB18_15
; %bb.11:                               ;   in Loop: Header=BB18_4 Depth=1
	s_or_b32 exec_lo, exec_lo, s21
	s_and_saveexec_b32 s5, vcc_lo
	s_cbranch_execnz .LBB18_16
.LBB18_12:                              ;   in Loop: Header=BB18_4 Depth=1
	s_or_b32 exec_lo, exec_lo, s5
	s_and_saveexec_b32 s5, s2
	s_cbranch_execnz .LBB18_17
.LBB18_13:                              ;   in Loop: Header=BB18_4 Depth=1
	s_or_b32 exec_lo, exec_lo, s5
	s_and_saveexec_b32 s2, s3
	s_cbranch_execnz .LBB18_18
.LBB18_14:                              ;   in Loop: Header=BB18_4 Depth=1
	s_or_b32 exec_lo, exec_lo, s2
	s_and_saveexec_b32 s2, s4
	s_cbranch_execz .LBB18_3
	s_branch .LBB18_19
.LBB18_15:                              ;   in Loop: Header=BB18_4 Depth=1
	v_add_co_u32 v27, s5, v5, s8
	s_delay_alu instid0(VALU_DEP_1)
	v_add_co_ci_u32_e64 v28, s5, s9, v6, s5
	global_load_b32 v24, v[27:28], off
	s_or_b32 exec_lo, exec_lo, s21
	s_and_saveexec_b32 s5, vcc_lo
	s_cbranch_execz .LBB18_12
.LBB18_16:                              ;   in Loop: Header=BB18_4 Depth=1
	v_add_co_u32 v27, vcc_lo, v3, s8
	s_waitcnt vmcnt(0)
	v_add_f32_e32 v23, s14, v23
	v_add_co_ci_u32_e32 v28, vcc_lo, s9, v4, vcc_lo
	global_store_b32 v[27:28], v23, off
	s_or_b32 exec_lo, exec_lo, s5
	s_and_saveexec_b32 s5, s2
	s_cbranch_execz .LBB18_13
.LBB18_17:                              ;   in Loop: Header=BB18_4 Depth=1
	v_add_co_u32 v27, vcc_lo, v21, s8
	s_waitcnt vmcnt(0)
	v_add_f32_e32 v23, s14, v25
	v_add_co_ci_u32_e32 v28, vcc_lo, s9, v22, vcc_lo
	global_store_b32 v[27:28], v23, off
	s_or_b32 exec_lo, exec_lo, s5
	s_and_saveexec_b32 s2, s3
	s_cbranch_execz .LBB18_14
.LBB18_18:                              ;   in Loop: Header=BB18_4 Depth=1
	s_waitcnt vmcnt(0)
	v_add_co_u32 v25, vcc_lo, v14, s8
	v_add_f32_e32 v23, s14, v26
	v_add_co_ci_u32_e32 v26, vcc_lo, s9, v15, vcc_lo
	global_store_b32 v[25:26], v23, off
	s_or_b32 exec_lo, exec_lo, s2
	s_and_saveexec_b32 s2, s4
	s_cbranch_execz .LBB18_3
.LBB18_19:                              ;   in Loop: Header=BB18_4 Depth=1
	s_waitcnt vmcnt(0)
	v_add_co_u32 v23, vcc_lo, v7, s8
	v_add_f32_e32 v25, s14, v24
	v_add_co_ci_u32_e32 v24, vcc_lo, s9, v8, vcc_lo
	global_store_b32 v[23:24], v25, off
	s_branch .LBB18_3
.LBB18_20:
	s_mov_b32 s10, 0
.LBB18_21:
	s_delay_alu instid0(SALU_CYCLE_1)
	s_and_not1_b32 vcc_lo, exec_lo, s10
	s_cbranch_vccnz .LBB18_25
; %bb.22:
	v_dual_mov_b32 v2, 0 :: v_dual_lshlrev_b32 v1, 2, v0
	s_mov_b32 s2, 0
	s_mov_b32 s3, exec_lo
	s_delay_alu instid0(VALU_DEP_1)
	v_cmpx_gt_i64_e64 s[6:7], v[1:2]
	s_cbranch_execz .LBB18_25
; %bb.23:
	s_load_b32 s0, s[0:1], 0xd54
	s_waitcnt lgkmcnt(0)
	s_and_b32 s0, s0, 0xffff
	s_delay_alu instid0(SALU_CYCLE_1)
	v_add_lshl_u32 v1, v0, s0, 2
	v_lshlrev_b32_e32 v0, 4, v0
	s_lshl_b32 s3, s0, 2
	s_lshl_b32 s4, s0, 4
	s_set_inst_prefetch_distance 0x1
	.p2align	6
.LBB18_24:                              ; =>This Inner Loop Header: Depth=1
	s_delay_alu instid0(VALU_DEP_1) | instskip(NEXT) | instid1(VALU_DEP_1)
	v_add_co_u32 v3, s0, s15, v0
	v_add_co_ci_u32_e64 v4, null, s16, 0, s0
	v_cmp_le_i64_e32 vcc_lo, s[6:7], v[1:2]
	v_cmp_lt_u64_e64 s0, 0xffff, v[1:2]
	v_add_co_u32 v7, s1, s17, v0
	global_load_b128 v[3:6], v[3:4], off
	v_add_co_ci_u32_e64 v8, null, s18, 0, s1
	s_or_b32 s0, vcc_lo, s0
	s_add_u32 s15, s15, s4
	v_add_co_u32 v1, s1, v1, s3
	s_addc_u32 s16, s16, 0
	s_add_u32 s17, s17, s4
	v_add_co_ci_u32_e64 v2, s1, 0, v2, s1
	s_addc_u32 s18, s18, 0
	s_and_b32 s0, exec_lo, s0
	s_delay_alu instid0(SALU_CYCLE_1)
	s_or_b32 s2, s0, s2
	s_waitcnt vmcnt(0)
	v_dual_add_f32 v3, s14, v3 :: v_dual_add_f32 v4, s14, v4
	v_dual_add_f32 v5, s14, v5 :: v_dual_add_f32 v6, s14, v6
	global_store_b128 v[7:8], v[3:6], off
	s_and_not1_b32 exec_lo, exec_lo, s2
	s_cbranch_execnz .LBB18_24
.LBB18_25:
	s_set_inst_prefetch_distance 0x2
	s_nop 0
	s_sendmsg sendmsg(MSG_DEALLOC_VGPRS)
	s_endpgm
	.section	.rodata,"a",@progbits
	.p2align	6, 0x0
	.amdhsa_kernel _ZN2at6native12_GLOBAL__N_125multi_tensor_apply_kernelINS1_28TensorListScalarListMetadataIfLi2EEENS1_25BinaryOpScalarListFunctorIfLi2ELi1ELi1EEEJSt4plusIfEEEEvT_T0_DpT1_
		.amdhsa_group_segment_fixed_size 0
		.amdhsa_private_segment_fixed_size 0
		.amdhsa_kernarg_size 3656
		.amdhsa_user_sgpr_count 15
		.amdhsa_user_sgpr_dispatch_ptr 0
		.amdhsa_user_sgpr_queue_ptr 0
		.amdhsa_user_sgpr_kernarg_segment_ptr 1
		.amdhsa_user_sgpr_dispatch_id 0
		.amdhsa_user_sgpr_private_segment_size 0
		.amdhsa_wavefront_size32 1
		.amdhsa_uses_dynamic_stack 0
		.amdhsa_enable_private_segment 0
		.amdhsa_system_sgpr_workgroup_id_x 1
		.amdhsa_system_sgpr_workgroup_id_y 0
		.amdhsa_system_sgpr_workgroup_id_z 0
		.amdhsa_system_sgpr_workgroup_info 0
		.amdhsa_system_vgpr_workitem_id 0
		.amdhsa_next_free_vgpr 29
		.amdhsa_next_free_sgpr 22
		.amdhsa_reserve_vcc 1
		.amdhsa_float_round_mode_32 0
		.amdhsa_float_round_mode_16_64 0
		.amdhsa_float_denorm_mode_32 3
		.amdhsa_float_denorm_mode_16_64 3
		.amdhsa_dx10_clamp 1
		.amdhsa_ieee_mode 1
		.amdhsa_fp16_overflow 0
		.amdhsa_workgroup_processor_mode 1
		.amdhsa_memory_ordered 1
		.amdhsa_forward_progress 0
		.amdhsa_shared_vgpr_count 0
		.amdhsa_exception_fp_ieee_invalid_op 0
		.amdhsa_exception_fp_denorm_src 0
		.amdhsa_exception_fp_ieee_div_zero 0
		.amdhsa_exception_fp_ieee_overflow 0
		.amdhsa_exception_fp_ieee_underflow 0
		.amdhsa_exception_fp_ieee_inexact 0
		.amdhsa_exception_int_div_zero 0
	.end_amdhsa_kernel
	.section	.text._ZN2at6native12_GLOBAL__N_125multi_tensor_apply_kernelINS1_28TensorListScalarListMetadataIfLi2EEENS1_25BinaryOpScalarListFunctorIfLi2ELi1ELi1EEEJSt4plusIfEEEEvT_T0_DpT1_,"axG",@progbits,_ZN2at6native12_GLOBAL__N_125multi_tensor_apply_kernelINS1_28TensorListScalarListMetadataIfLi2EEENS1_25BinaryOpScalarListFunctorIfLi2ELi1ELi1EEEJSt4plusIfEEEEvT_T0_DpT1_,comdat
.Lfunc_end18:
	.size	_ZN2at6native12_GLOBAL__N_125multi_tensor_apply_kernelINS1_28TensorListScalarListMetadataIfLi2EEENS1_25BinaryOpScalarListFunctorIfLi2ELi1ELi1EEEJSt4plusIfEEEEvT_T0_DpT1_, .Lfunc_end18-_ZN2at6native12_GLOBAL__N_125multi_tensor_apply_kernelINS1_28TensorListScalarListMetadataIfLi2EEENS1_25BinaryOpScalarListFunctorIfLi2ELi1ELi1EEEJSt4plusIfEEEEvT_T0_DpT1_
                                        ; -- End function
	.section	.AMDGPU.csdata,"",@progbits
; Kernel info:
; codeLenInByte = 1440
; NumSgprs: 24
; NumVgprs: 29
; ScratchSize: 0
; MemoryBound: 0
; FloatMode: 240
; IeeeMode: 1
; LDSByteSize: 0 bytes/workgroup (compile time only)
; SGPRBlocks: 2
; VGPRBlocks: 3
; NumSGPRsForWavesPerEU: 24
; NumVGPRsForWavesPerEU: 29
; Occupancy: 16
; WaveLimiterHint : 0
; COMPUTE_PGM_RSRC2:SCRATCH_EN: 0
; COMPUTE_PGM_RSRC2:USER_SGPR: 15
; COMPUTE_PGM_RSRC2:TRAP_HANDLER: 0
; COMPUTE_PGM_RSRC2:TGID_X_EN: 1
; COMPUTE_PGM_RSRC2:TGID_Y_EN: 0
; COMPUTE_PGM_RSRC2:TGID_Z_EN: 0
; COMPUTE_PGM_RSRC2:TIDIG_COMP_CNT: 0
	.section	.text._ZN2at6native12_GLOBAL__N_125multi_tensor_apply_kernelINS1_28TensorListScalarListMetadataIN3c107complexIdEELi2EEENS1_25BinaryOpScalarListFunctorIS6_Li2ELi1ELi1EEEJSt4plusIS6_EEEEvT_T0_DpT1_,"axG",@progbits,_ZN2at6native12_GLOBAL__N_125multi_tensor_apply_kernelINS1_28TensorListScalarListMetadataIN3c107complexIdEELi2EEENS1_25BinaryOpScalarListFunctorIS6_Li2ELi1ELi1EEEJSt4plusIS6_EEEEvT_T0_DpT1_,comdat
	.globl	_ZN2at6native12_GLOBAL__N_125multi_tensor_apply_kernelINS1_28TensorListScalarListMetadataIN3c107complexIdEELi2EEENS1_25BinaryOpScalarListFunctorIS6_Li2ELi1ELi1EEEJSt4plusIS6_EEEEvT_T0_DpT1_ ; -- Begin function _ZN2at6native12_GLOBAL__N_125multi_tensor_apply_kernelINS1_28TensorListScalarListMetadataIN3c107complexIdEELi2EEENS1_25BinaryOpScalarListFunctorIS6_Li2ELi1ELi1EEEJSt4plusIS6_EEEEvT_T0_DpT1_
	.p2align	8
	.type	_ZN2at6native12_GLOBAL__N_125multi_tensor_apply_kernelINS1_28TensorListScalarListMetadataIN3c107complexIdEELi2EEENS1_25BinaryOpScalarListFunctorIS6_Li2ELi1ELi1EEEJSt4plusIS6_EEEEvT_T0_DpT1_,@function
_ZN2at6native12_GLOBAL__N_125multi_tensor_apply_kernelINS1_28TensorListScalarListMetadataIN3c107complexIdEELi2EEENS1_25BinaryOpScalarListFunctorIS6_Li2ELi1ELi1EEEJSt4plusIS6_EEEEvT_T0_DpT1_: ; @_ZN2at6native12_GLOBAL__N_125multi_tensor_apply_kernelINS1_28TensorListScalarListMetadataIN3c107complexIdEELi2EEENS1_25BinaryOpScalarListFunctorIS6_Li2ELi1ELi1EEEJSt4plusIS6_EEEEvT_T0_DpT1_
; %bb.0:
	v_mov_b32_e32 v1, s15
	s_add_u32 s2, s0, s15
	s_mul_hi_u32 s3, s15, 3
	s_mul_i32 s15, s15, 3
	s_addc_u32 s4, s1, 0
	global_load_u8 v1, v1, s[0:1] offset:2400
	s_add_u32 s2, s2, s15
	s_addc_u32 s3, s4, s3
	s_mov_b32 s17, 0
	s_load_b32 s6, s[2:3], 0xaa0
	s_waitcnt lgkmcnt(0)
	s_ashr_i32 s7, s6, 31
	s_waitcnt vmcnt(0)
	v_readfirstlane_b32 s2, v1
	s_delay_alu instid0(VALU_DEP_1)
	s_lshl_b32 s10, s2, 3
	s_clause 0x2
	s_load_b64 s[2:3], s[0:1], s10 offset:0x0
	s_load_b64 s[4:5], s[0:1], s10 offset:0x1e0
	s_load_b64 s[14:15], s[0:1], s10 offset:0x3c0
	s_add_u32 s8, s0, s10
	s_addc_u32 s9, s1, 0
	s_lshl_b64 s[12:13], s[6:7], 20
	s_load_b128 s[8:11], s[8:9], s10 offset:0x5a0
	s_waitcnt lgkmcnt(0)
	s_add_u32 s20, s2, s12
	s_addc_u32 s21, s3, s13
	s_add_u32 s22, s4, s12
	s_addc_u32 s23, s5, s13
	s_and_b32 s16, s20, 63
	s_and_b32 s18, s14, 3
	;; [unrolled: 1-line block ×3, first 2 shown]
	s_or_b32 s16, s16, s18
	s_lshl_b64 s[6:7], s[6:7], 16
	s_or_b32 s16, s19, s16
	s_sub_u32 s6, s14, s6
	s_subb_u32 s7, s15, s7
	s_cmp_eq_u64 s[16:17], 0
	s_mov_b32 s14, -1
	s_cbranch_scc1 .LBB19_21
; %bb.1:
	v_cmp_lt_i64_e64 s14, s[6:7], 1
	s_delay_alu instid0(VALU_DEP_1)
	s_and_b32 vcc_lo, exec_lo, s14
	s_cbranch_vccnz .LBB19_20
; %bb.2:
	s_load_b32 s14, s[0:1], 0xfb4
	v_mov_b32_e32 v1, 0
	v_lshl_or_b32 v2, v0, 4, 8
	v_cmp_gt_u64_e64 s16, 0x10000, s[6:7]
	s_mov_b32 s15, 0
	s_delay_alu instid0(VALU_DEP_3) | instskip(NEXT) | instid1(VALU_DEP_3)
	v_mov_b32_e32 v3, v1
	v_add_co_u32 v19, s17, s2, v2
	s_delay_alu instid0(VALU_DEP_1) | instskip(SKIP_1) | instid1(VALU_DEP_1)
	v_add_co_ci_u32_e64 v20, null, s3, 0, s17
	v_add_co_u32 v21, s17, s4, v2
	v_add_co_ci_u32_e64 v22, null, s5, 0, s17
	v_dual_mov_b32 v18, v1 :: v_dual_mov_b32 v17, v0
	s_waitcnt lgkmcnt(0)
	s_and_b32 s24, s14, 0xffff
	s_and_b32 s14, s16, exec_lo
	v_add_lshl_u32 v6, v0, s24, 4
	v_mad_u64_u32 v[4:5], null, s24, 48, v[2:3]
	s_cselect_b32 s17, s7, 0
	s_cselect_b32 s16, s6, 0x10000
	s_delay_alu instid0(VALU_DEP_2) | instskip(NEXT) | instid1(VALU_DEP_1)
	v_add_co_u32 v23, s14, s4, v6
	v_add_co_ci_u32_e64 v24, null, s5, 0, s14
	v_add_co_u32 v27, s14, s2, v6
	s_delay_alu instid0(VALU_DEP_1)
	v_add_co_ci_u32_e64 v28, null, s3, 0, s14
	s_lshl_b32 s14, s24, 5
	v_add_co_u32 v25, vcc_lo, s2, v4
	v_add_co_u32 v2, s14, v2, s14
	v_add_co_ci_u32_e32 v26, vcc_lo, s3, v5, vcc_lo
	v_add_co_ci_u32_e64 v3, null, 0, 0, s14
	v_add_co_u32 v29, vcc_lo, s4, v4
	v_add_co_ci_u32_e32 v30, vcc_lo, s5, v5, vcc_lo
	v_add_co_u32 v31, vcc_lo, s2, v2
	s_delay_alu instid0(VALU_DEP_4)
	v_add_co_ci_u32_e32 v32, vcc_lo, s3, v3, vcc_lo
	v_add_co_u32 v33, vcc_lo, s4, v2
	v_add_co_ci_u32_e32 v34, vcc_lo, s5, v3, vcc_lo
	s_lshl_b32 s14, s24, 2
	s_lshl_b32 s25, s24, 1
	s_mul_i32 s26, s24, 3
	s_lshl_b32 s27, s24, 6
	s_mov_b64 s[18:19], s[14:15]
	s_branch .LBB19_4
.LBB19_3:                               ;   in Loop: Header=BB19_4 Depth=1
	s_or_b32 exec_lo, exec_lo, s2
	v_add_co_u32 v17, vcc_lo, v17, s14
	v_add_co_ci_u32_e32 v18, vcc_lo, 0, v18, vcc_lo
	v_add_co_u32 v19, vcc_lo, v19, s27
	v_add_co_ci_u32_e32 v20, vcc_lo, 0, v20, vcc_lo
	;; [unrolled: 2-line block ×7, first 2 shown]
	v_cmp_lt_i64_e64 s2, s[18:19], s[6:7]
	v_cmp_gt_u64_e64 s3, 0x10000, s[18:19]
	v_add_co_u32 v31, vcc_lo, v31, s27
	v_add_co_ci_u32_e32 v32, vcc_lo, 0, v32, vcc_lo
	v_add_co_u32 v33, vcc_lo, v33, s27
	v_add_co_ci_u32_e32 v34, vcc_lo, 0, v34, vcc_lo
	s_and_b32 s2, s2, s3
	s_add_u32 s18, s18, s14
	s_addc_u32 s19, s19, 0
	s_and_b32 vcc_lo, exec_lo, s2
	s_cbranch_vccz .LBB19_20
.LBB19_4:                               ; =>This Inner Loop Header: Depth=1
	s_waitcnt vmcnt(0)
	v_mov_b32_e32 v3, 0
	v_mov_b32_e32 v4, 0
	v_cmp_gt_u64_e32 vcc_lo, s[16:17], v[17:18]
	s_delay_alu instid0(VALU_DEP_2)
	v_dual_mov_b32 v12, v4 :: v_dual_mov_b32 v11, v3
	v_dual_mov_b32 v10, v4 :: v_dual_mov_b32 v9, v3
	s_and_saveexec_b32 s3, vcc_lo
	s_cbranch_execz .LBB19_6
; %bb.5:                                ;   in Loop: Header=BB19_4 Depth=1
	v_add_co_u32 v1, s2, v19, s12
	s_delay_alu instid0(VALU_DEP_1)
	v_add_co_ci_u32_e64 v2, s2, s13, v20, s2
	global_load_b128 v[9:12], v[1:2], off offset:-8
.LBB19_6:                               ;   in Loop: Header=BB19_4 Depth=1
	s_or_b32 exec_lo, exec_lo, s3
	v_add_co_u32 v1, s2, s24, v17
	s_delay_alu instid0(VALU_DEP_1) | instskip(NEXT) | instid1(VALU_DEP_1)
	v_add_co_ci_u32_e64 v2, s2, 0, v18, s2
	v_cmp_gt_u64_e64 s2, s[16:17], v[1:2]
	v_dual_mov_b32 v1, v3 :: v_dual_mov_b32 v2, v4
	s_delay_alu instid0(VALU_DEP_2)
	s_and_saveexec_b32 s4, s2
	s_cbranch_execz .LBB19_8
; %bb.7:                                ;   in Loop: Header=BB19_4 Depth=1
	v_add_co_u32 v1, s3, v27, s12
	s_delay_alu instid0(VALU_DEP_1)
	v_add_co_ci_u32_e64 v2, s3, s13, v28, s3
	global_load_b128 v[1:4], v[1:2], off
.LBB19_8:                               ;   in Loop: Header=BB19_4 Depth=1
	s_or_b32 exec_lo, exec_lo, s4
	v_add_co_u32 v5, s3, s25, v17
	s_delay_alu instid0(VALU_DEP_1) | instskip(SKIP_2) | instid1(VALU_DEP_3)
	v_add_co_ci_u32_e64 v6, s3, 0, v18, s3
	v_mov_b32_e32 v7, 0
	v_mov_b32_e32 v8, 0
	v_cmp_gt_u64_e64 s3, s[16:17], v[5:6]
	s_delay_alu instid0(VALU_DEP_2) | instskip(SKIP_1) | instid1(VALU_DEP_3)
	v_dual_mov_b32 v16, v8 :: v_dual_mov_b32 v15, v7
	v_dual_mov_b32 v14, v8 :: v_dual_mov_b32 v13, v7
	s_and_saveexec_b32 s5, s3
	s_cbranch_execz .LBB19_10
; %bb.9:                                ;   in Loop: Header=BB19_4 Depth=1
	v_add_co_u32 v5, s4, v31, s12
	s_delay_alu instid0(VALU_DEP_1)
	v_add_co_ci_u32_e64 v6, s4, s13, v32, s4
	global_load_b128 v[13:16], v[5:6], off offset:-8
.LBB19_10:                              ;   in Loop: Header=BB19_4 Depth=1
	s_or_b32 exec_lo, exec_lo, s5
	v_add_co_u32 v5, s4, s26, v17
	s_delay_alu instid0(VALU_DEP_1) | instskip(NEXT) | instid1(VALU_DEP_1)
	v_add_co_ci_u32_e64 v6, s4, 0, v18, s4
	v_cmp_gt_u64_e64 s4, s[16:17], v[5:6]
	v_dual_mov_b32 v5, v7 :: v_dual_mov_b32 v6, v8
	s_delay_alu instid0(VALU_DEP_2)
	s_and_saveexec_b32 s15, s4
	s_cbranch_execnz .LBB19_15
; %bb.11:                               ;   in Loop: Header=BB19_4 Depth=1
	s_or_b32 exec_lo, exec_lo, s15
	s_and_saveexec_b32 s5, vcc_lo
	s_cbranch_execnz .LBB19_16
.LBB19_12:                              ;   in Loop: Header=BB19_4 Depth=1
	s_or_b32 exec_lo, exec_lo, s5
	s_and_saveexec_b32 s5, s2
	s_cbranch_execnz .LBB19_17
.LBB19_13:                              ;   in Loop: Header=BB19_4 Depth=1
	s_or_b32 exec_lo, exec_lo, s5
	s_and_saveexec_b32 s2, s3
	s_cbranch_execnz .LBB19_18
.LBB19_14:                              ;   in Loop: Header=BB19_4 Depth=1
	s_or_b32 exec_lo, exec_lo, s2
	s_and_saveexec_b32 s2, s4
	s_cbranch_execz .LBB19_3
	s_branch .LBB19_19
.LBB19_15:                              ;   in Loop: Header=BB19_4 Depth=1
	v_add_co_u32 v5, s5, v25, s12
	s_delay_alu instid0(VALU_DEP_1)
	v_add_co_ci_u32_e64 v6, s5, s13, v26, s5
	global_load_b128 v[5:8], v[5:6], off offset:-8
	s_or_b32 exec_lo, exec_lo, s15
	s_and_saveexec_b32 s5, vcc_lo
	s_cbranch_execz .LBB19_12
.LBB19_16:                              ;   in Loop: Header=BB19_4 Depth=1
	s_waitcnt vmcnt(0)
	v_add_f64 v[11:12], s[10:11], v[11:12]
	v_add_f64 v[9:10], s[8:9], v[9:10]
	v_add_co_u32 v35, vcc_lo, v21, s12
	v_add_co_ci_u32_e32 v36, vcc_lo, s13, v22, vcc_lo
	global_store_b128 v[35:36], v[9:12], off offset:-8
	s_or_b32 exec_lo, exec_lo, s5
	s_and_saveexec_b32 s5, s2
	s_cbranch_execz .LBB19_13
.LBB19_17:                              ;   in Loop: Header=BB19_4 Depth=1
	s_waitcnt vmcnt(0)
	v_add_f64 v[1:2], s[8:9], v[1:2]
	v_add_f64 v[3:4], s[10:11], v[3:4]
	v_add_co_u32 v9, vcc_lo, v23, s12
	v_add_co_ci_u32_e32 v10, vcc_lo, s13, v24, vcc_lo
	global_store_b128 v[9:10], v[1:4], off
	s_or_b32 exec_lo, exec_lo, s5
	s_and_saveexec_b32 s2, s3
	s_cbranch_execz .LBB19_14
.LBB19_18:                              ;   in Loop: Header=BB19_4 Depth=1
	s_waitcnt vmcnt(0)
	v_add_f64 v[1:2], s[8:9], v[13:14]
	v_add_f64 v[3:4], s[10:11], v[15:16]
	v_add_co_u32 v9, vcc_lo, v33, s12
	v_add_co_ci_u32_e32 v10, vcc_lo, s13, v34, vcc_lo
	global_store_b128 v[9:10], v[1:4], off offset:-8
	s_or_b32 exec_lo, exec_lo, s2
	s_and_saveexec_b32 s2, s4
	s_cbranch_execz .LBB19_3
.LBB19_19:                              ;   in Loop: Header=BB19_4 Depth=1
	s_waitcnt vmcnt(0)
	v_add_f64 v[1:2], s[8:9], v[5:6]
	v_add_f64 v[3:4], s[10:11], v[7:8]
	v_add_co_u32 v5, vcc_lo, v29, s12
	v_add_co_ci_u32_e32 v6, vcc_lo, s13, v30, vcc_lo
	global_store_b128 v[5:6], v[1:4], off offset:-8
	s_branch .LBB19_3
.LBB19_20:
	s_mov_b32 s14, 0
.LBB19_21:
	s_delay_alu instid0(SALU_CYCLE_1)
	s_and_not1_b32 vcc_lo, exec_lo, s14
	s_cbranch_vccnz .LBB19_25
; %bb.22:
	s_waitcnt vmcnt(0)
	v_dual_mov_b32 v2, 0 :: v_dual_lshlrev_b32 v1, 2, v0
	s_mov_b32 s2, 0
	s_mov_b32 s3, exec_lo
	s_delay_alu instid0(VALU_DEP_1)
	v_cmpx_gt_i64_e64 s[6:7], v[1:2]
	s_cbranch_execz .LBB19_25
; %bb.23:
	s_load_b32 s0, s[0:1], 0xfb4
	s_waitcnt lgkmcnt(0)
	s_and_b32 s0, s0, 0xffff
	s_delay_alu instid0(SALU_CYCLE_1)
	v_add_lshl_u32 v1, v0, s0, 2
	v_lshlrev_b32_e32 v0, 6, v0
	s_lshl_b32 s3, s0, 2
	s_lshl_b32 s4, s0, 6
.LBB19_24:                              ; =>This Inner Loop Header: Depth=1
	s_delay_alu instid0(VALU_DEP_1) | instskip(NEXT) | instid1(VALU_DEP_1)
	v_add_co_u32 v15, s0, s20, v0
	v_add_co_ci_u32_e64 v16, null, s21, 0, s0
	v_cmp_le_i64_e32 vcc_lo, s[6:7], v[1:2]
	v_cmp_lt_u64_e64 s0, 0xffff, v[1:2]
	v_add_co_u32 v19, s1, s22, v0
	s_clause 0x3
	global_load_b128 v[3:6], v[15:16], off
	global_load_b128 v[7:10], v[15:16], off offset:16
	global_load_b128 v[11:14], v[15:16], off offset:32
	;; [unrolled: 1-line block ×3, first 2 shown]
	v_add_co_ci_u32_e64 v20, null, s23, 0, s1
	s_or_b32 s0, vcc_lo, s0
	s_add_u32 s20, s20, s4
	v_add_co_u32 v1, s1, v1, s3
	s_addc_u32 s21, s21, 0
	s_add_u32 s22, s22, s4
	v_add_co_ci_u32_e64 v2, s1, 0, v2, s1
	s_addc_u32 s23, s23, 0
	s_and_b32 s0, exec_lo, s0
	s_delay_alu instid0(SALU_CYCLE_1)
	s_or_b32 s2, s0, s2
	s_waitcnt vmcnt(3)
	v_add_f64 v[3:4], s[8:9], v[3:4]
	v_add_f64 v[5:6], s[10:11], v[5:6]
	s_waitcnt vmcnt(2)
	v_add_f64 v[7:8], s[8:9], v[7:8]
	v_add_f64 v[9:10], s[10:11], v[9:10]
	;; [unrolled: 3-line block ×4, first 2 shown]
	s_clause 0x3
	global_store_b128 v[19:20], v[3:6], off
	global_store_b128 v[19:20], v[7:10], off offset:16
	global_store_b128 v[19:20], v[11:14], off offset:32
	;; [unrolled: 1-line block ×3, first 2 shown]
	s_and_not1_b32 exec_lo, exec_lo, s2
	s_cbranch_execnz .LBB19_24
.LBB19_25:
	s_nop 0
	s_sendmsg sendmsg(MSG_DEALLOC_VGPRS)
	s_endpgm
	.section	.rodata,"a",@progbits
	.p2align	6, 0x0
	.amdhsa_kernel _ZN2at6native12_GLOBAL__N_125multi_tensor_apply_kernelINS1_28TensorListScalarListMetadataIN3c107complexIdEELi2EEENS1_25BinaryOpScalarListFunctorIS6_Li2ELi1ELi1EEEJSt4plusIS6_EEEEvT_T0_DpT1_
		.amdhsa_group_segment_fixed_size 0
		.amdhsa_private_segment_fixed_size 0
		.amdhsa_kernarg_size 4264
		.amdhsa_user_sgpr_count 15
		.amdhsa_user_sgpr_dispatch_ptr 0
		.amdhsa_user_sgpr_queue_ptr 0
		.amdhsa_user_sgpr_kernarg_segment_ptr 1
		.amdhsa_user_sgpr_dispatch_id 0
		.amdhsa_user_sgpr_private_segment_size 0
		.amdhsa_wavefront_size32 1
		.amdhsa_uses_dynamic_stack 0
		.amdhsa_enable_private_segment 0
		.amdhsa_system_sgpr_workgroup_id_x 1
		.amdhsa_system_sgpr_workgroup_id_y 0
		.amdhsa_system_sgpr_workgroup_id_z 0
		.amdhsa_system_sgpr_workgroup_info 0
		.amdhsa_system_vgpr_workitem_id 0
		.amdhsa_next_free_vgpr 37
		.amdhsa_next_free_sgpr 28
		.amdhsa_reserve_vcc 1
		.amdhsa_float_round_mode_32 0
		.amdhsa_float_round_mode_16_64 0
		.amdhsa_float_denorm_mode_32 3
		.amdhsa_float_denorm_mode_16_64 3
		.amdhsa_dx10_clamp 1
		.amdhsa_ieee_mode 1
		.amdhsa_fp16_overflow 0
		.amdhsa_workgroup_processor_mode 1
		.amdhsa_memory_ordered 1
		.amdhsa_forward_progress 0
		.amdhsa_shared_vgpr_count 0
		.amdhsa_exception_fp_ieee_invalid_op 0
		.amdhsa_exception_fp_denorm_src 0
		.amdhsa_exception_fp_ieee_div_zero 0
		.amdhsa_exception_fp_ieee_overflow 0
		.amdhsa_exception_fp_ieee_underflow 0
		.amdhsa_exception_fp_ieee_inexact 0
		.amdhsa_exception_int_div_zero 0
	.end_amdhsa_kernel
	.section	.text._ZN2at6native12_GLOBAL__N_125multi_tensor_apply_kernelINS1_28TensorListScalarListMetadataIN3c107complexIdEELi2EEENS1_25BinaryOpScalarListFunctorIS6_Li2ELi1ELi1EEEJSt4plusIS6_EEEEvT_T0_DpT1_,"axG",@progbits,_ZN2at6native12_GLOBAL__N_125multi_tensor_apply_kernelINS1_28TensorListScalarListMetadataIN3c107complexIdEELi2EEENS1_25BinaryOpScalarListFunctorIS6_Li2ELi1ELi1EEEJSt4plusIS6_EEEEvT_T0_DpT1_,comdat
.Lfunc_end19:
	.size	_ZN2at6native12_GLOBAL__N_125multi_tensor_apply_kernelINS1_28TensorListScalarListMetadataIN3c107complexIdEELi2EEENS1_25BinaryOpScalarListFunctorIS6_Li2ELi1ELi1EEEJSt4plusIS6_EEEEvT_T0_DpT1_, .Lfunc_end19-_ZN2at6native12_GLOBAL__N_125multi_tensor_apply_kernelINS1_28TensorListScalarListMetadataIN3c107complexIdEELi2EEENS1_25BinaryOpScalarListFunctorIS6_Li2ELi1ELi1EEEJSt4plusIS6_EEEEvT_T0_DpT1_
                                        ; -- End function
	.section	.AMDGPU.csdata,"",@progbits
; Kernel info:
; codeLenInByte = 1584
; NumSgprs: 30
; NumVgprs: 37
; ScratchSize: 0
; MemoryBound: 1
; FloatMode: 240
; IeeeMode: 1
; LDSByteSize: 0 bytes/workgroup (compile time only)
; SGPRBlocks: 3
; VGPRBlocks: 4
; NumSGPRsForWavesPerEU: 30
; NumVGPRsForWavesPerEU: 37
; Occupancy: 16
; WaveLimiterHint : 0
; COMPUTE_PGM_RSRC2:SCRATCH_EN: 0
; COMPUTE_PGM_RSRC2:USER_SGPR: 15
; COMPUTE_PGM_RSRC2:TRAP_HANDLER: 0
; COMPUTE_PGM_RSRC2:TGID_X_EN: 1
; COMPUTE_PGM_RSRC2:TGID_Y_EN: 0
; COMPUTE_PGM_RSRC2:TGID_Z_EN: 0
; COMPUTE_PGM_RSRC2:TIDIG_COMP_CNT: 0
	.section	.text._ZN2at6native12_GLOBAL__N_125multi_tensor_apply_kernelINS1_28TensorListScalarListMetadataIN3c107complexIfEELi2EEENS1_25BinaryOpScalarListFunctorIS6_Li2ELi1ELi1EEEJSt4plusIS6_EEEEvT_T0_DpT1_,"axG",@progbits,_ZN2at6native12_GLOBAL__N_125multi_tensor_apply_kernelINS1_28TensorListScalarListMetadataIN3c107complexIfEELi2EEENS1_25BinaryOpScalarListFunctorIS6_Li2ELi1ELi1EEEJSt4plusIS6_EEEEvT_T0_DpT1_,comdat
	.globl	_ZN2at6native12_GLOBAL__N_125multi_tensor_apply_kernelINS1_28TensorListScalarListMetadataIN3c107complexIfEELi2EEENS1_25BinaryOpScalarListFunctorIS6_Li2ELi1ELi1EEEJSt4plusIS6_EEEEvT_T0_DpT1_ ; -- Begin function _ZN2at6native12_GLOBAL__N_125multi_tensor_apply_kernelINS1_28TensorListScalarListMetadataIN3c107complexIfEELi2EEENS1_25BinaryOpScalarListFunctorIS6_Li2ELi1ELi1EEEJSt4plusIS6_EEEEvT_T0_DpT1_
	.p2align	8
	.type	_ZN2at6native12_GLOBAL__N_125multi_tensor_apply_kernelINS1_28TensorListScalarListMetadataIN3c107complexIfEELi2EEENS1_25BinaryOpScalarListFunctorIS6_Li2ELi1ELi1EEEJSt4plusIS6_EEEEvT_T0_DpT1_,@function
_ZN2at6native12_GLOBAL__N_125multi_tensor_apply_kernelINS1_28TensorListScalarListMetadataIN3c107complexIfEELi2EEENS1_25BinaryOpScalarListFunctorIS6_Li2ELi1ELi1EEEJSt4plusIS6_EEEEvT_T0_DpT1_: ; @_ZN2at6native12_GLOBAL__N_125multi_tensor_apply_kernelINS1_28TensorListScalarListMetadataIN3c107complexIfEELi2EEENS1_25BinaryOpScalarListFunctorIS6_Li2ELi1ELi1EEEJSt4plusIS6_EEEEvT_T0_DpT1_
; %bb.0:
	v_mov_b32_e32 v1, s15
	s_load_b64 s[8:9], s[0:1], 0x4
	s_mul_i32 s0, s15, 3
	s_mul_hi_u32 s1, s15, 3
	v_bfe_u32 v3, v0, 10, 10
	global_load_u8 v1, v1, s[2:3] offset:2048
	s_waitcnt lgkmcnt(0)
	s_lshr_b32 s10, s8, 16
	s_add_u32 s4, s2, s15
	s_addc_u32 s5, s3, 0
	s_add_u32 s0, s4, s0
	s_addc_u32 s1, s5, s1
	s_mul_i32 s10, s10, s9
	s_load_b32 s8, s[0:1], 0x940
	s_mov_b32 s15, 0
	s_delay_alu instid0(SALU_CYCLE_1)
	s_mov_b32 s17, s15
	s_mov_b32 s23, s15
	s_waitcnt vmcnt(0)
	v_readfirstlane_b32 s0, v1
	v_and_b32_e32 v1, 0x3ff, v0
	v_bfe_u32 v0, v0, 20, 10
	s_delay_alu instid0(VALU_DEP_3) | instskip(NEXT) | instid1(VALU_DEP_2)
	s_lshl_b32 s11, s0, 3
	v_mul_lo_u32 v2, s10, v1
	s_clause 0x3
	s_load_b64 s[0:1], s[2:3], s11 offset:0x0
	s_load_b64 s[6:7], s[2:3], s11 offset:0x600
	;; [unrolled: 1-line block ×4, first 2 shown]
	s_delay_alu instid0(VALU_DEP_1) | instskip(SKIP_2) | instid1(SALU_CYCLE_1)
	v_mad_u32_u24 v2, v3, s9, v2
	s_waitcnt lgkmcnt(0)
	s_ashr_i32 s9, s8, 31
	s_lshl_b64 s[10:11], s[8:9], 19
	s_delay_alu instid0(VALU_DEP_1)
	v_add_lshl_u32 v0, v2, v0, 3
	s_add_u32 s18, s0, s10
	s_addc_u32 s19, s1, s11
	s_add_u32 s20, s4, s10
	s_addc_u32 s21, s5, s11
	s_and_b32 s16, s18, 31
	s_and_b32 s22, s12, 3
	;; [unrolled: 1-line block ×3, first 2 shown]
	s_or_b64 s[16:17], s[16:17], s[22:23]
	s_lshl_b64 s[8:9], s[8:9], 16
	s_or_b64 s[14:15], s[14:15], s[16:17]
	s_sub_u32 s8, s12, s8
	s_subb_u32 s9, s13, s9
	s_cmp_eq_u64 s[14:15], 0
	s_mov_b32 s12, -1
	s_cbranch_scc1 .LBB20_19
; %bb.1:
	v_cmp_lt_i64_e64 s12, s[8:9], 1
	s_delay_alu instid0(VALU_DEP_1)
	s_and_b32 vcc_lo, exec_lo, s12
	s_cbranch_vccnz .LBB20_18
; %bb.2:
	s_load_b32 s12, s[2:3], 0xe54
	v_dual_mov_b32 v2, 0 :: v_dual_lshlrev_b32 v3, 3, v1
	s_mov_b64 s[14:15], src_shared_base
	v_cmp_gt_u64_e64 s14, 0x10000, s[8:9]
	v_mov_b32_e32 v13, s15
	s_delay_alu instid0(VALU_DEP_3) | instskip(SKIP_2) | instid1(VALU_DEP_2)
	v_or_b32_e32 v7, 4, v3
	v_mov_b32_e32 v4, v2
	s_mov_b32 s13, 0
	v_add_co_u32 v14, s15, s0, v7
	s_delay_alu instid0(VALU_DEP_1)
	v_add_co_ci_u32_e64 v15, null, s1, 0, s15
	s_waitcnt lgkmcnt(0)
	s_and_b32 s22, s12, 0xffff
	v_add_co_u32 v16, s12, s4, v7
	v_mad_u64_u32 v[5:6], null, s22, 24, v[3:4]
	v_add_co_ci_u32_e64 v17, null, s5, 0, s12
	s_and_b32 s12, s14, exec_lo
	s_cselect_b32 s15, s9, 0
	s_cselect_b32 s14, s8, 0x10000
	s_lshl_b32 s12, s22, 4
	s_delay_alu instid0(VALU_DEP_2)
	v_add_co_u32 v18, vcc_lo, s0, v5
	v_add_co_u32 v4, s12, v7, s12
	v_add_co_ci_u32_e32 v19, vcc_lo, s1, v6, vcc_lo
	v_add_co_u32 v20, vcc_lo, s4, v5
	v_add_co_ci_u32_e64 v5, null, 0, 0, s12
	v_add_co_ci_u32_e32 v21, vcc_lo, s5, v6, vcc_lo
	v_add_lshl_u32 v3, v1, s22, 3
	v_add_co_u32 v24, vcc_lo, s0, v4
	s_delay_alu instid0(VALU_DEP_4) | instskip(SKIP_1) | instid1(VALU_DEP_4)
	v_add_co_ci_u32_e32 v25, vcc_lo, s1, v5, vcc_lo
	v_add_co_u32 v28, vcc_lo, s4, v4
	v_add_co_u32 v22, s12, s4, v3
	v_add_co_u32 v26, s0, s0, v3
	v_add_co_ci_u32_e32 v29, vcc_lo, s5, v5, vcc_lo
	v_mov_b32_e32 v6, v2
	v_add_co_ci_u32_e64 v23, null, s5, 0, s12
	v_add_co_ci_u32_e64 v27, null, s1, 0, s0
	v_mov_b32_e32 v3, v2
	v_dual_mov_b32 v4, v2 :: v_dual_mov_b32 v5, v1
	s_lshl_b32 s12, s22, 2
	s_lshl_b32 s23, s22, 1
	s_mul_i32 s24, s22, 3
	s_lshl_b32 s5, s22, 5
	s_mov_b64 s[16:17], s[12:13]
	s_branch .LBB20_4
.LBB20_3:                               ;   in Loop: Header=BB20_4 Depth=1
	s_or_b32 exec_lo, exec_lo, s0
	v_add_co_u32 v5, vcc_lo, v5, s12
	v_add_co_ci_u32_e32 v6, vcc_lo, 0, v6, vcc_lo
	v_add_co_u32 v14, vcc_lo, v14, s5
	v_add_co_ci_u32_e32 v15, vcc_lo, 0, v15, vcc_lo
	;; [unrolled: 2-line block ×7, first 2 shown]
	v_cmp_lt_i64_e64 s0, s[16:17], s[8:9]
	v_cmp_gt_u64_e64 s1, 0x10000, s[16:17]
	v_add_co_u32 v26, vcc_lo, v26, s5
	v_add_co_ci_u32_e32 v27, vcc_lo, 0, v27, vcc_lo
	v_add_co_u32 v28, vcc_lo, v28, s5
	v_add_co_ci_u32_e32 v29, vcc_lo, 0, v29, vcc_lo
	s_and_b32 s0, s0, s1
	s_add_u32 s16, s16, s12
	s_addc_u32 s17, s17, 0
	s_and_b32 vcc_lo, exec_lo, s0
	s_cbranch_vccz .LBB20_18
.LBB20_4:                               ; =>This Inner Loop Header: Depth=1
	v_cmp_gt_u64_e32 vcc_lo, s[14:15], v[5:6]
	v_dual_mov_b32 v10, 0 :: v_dual_mov_b32 v9, 0
	s_and_saveexec_b32 s1, vcc_lo
	s_cbranch_execz .LBB20_6
; %bb.5:                                ;   in Loop: Header=BB20_4 Depth=1
	v_add_co_u32 v7, s0, v14, s10
	s_delay_alu instid0(VALU_DEP_1)
	v_add_co_ci_u32_e64 v8, s0, s11, v15, s0
	global_load_b64 v[9:10], v[7:8], off offset:-4
.LBB20_6:                               ;   in Loop: Header=BB20_4 Depth=1
	s_or_b32 exec_lo, exec_lo, s1
	v_add_co_u32 v11, s0, s22, v5
	s_delay_alu instid0(VALU_DEP_1) | instskip(SKIP_1) | instid1(VALU_DEP_2)
	v_add_co_ci_u32_e64 v12, s0, 0, v6, s0
	v_mov_b32_e32 v8, 0
	v_cmp_gt_u64_e64 s0, s[14:15], v[11:12]
	v_dual_mov_b32 v11, 0 :: v_dual_mov_b32 v12, 0
	s_delay_alu instid0(VALU_DEP_2)
	s_and_saveexec_b32 s4, s0
	s_cbranch_execz .LBB20_8
; %bb.7:                                ;   in Loop: Header=BB20_4 Depth=1
	v_add_co_u32 v11, s1, v26, s10
	s_delay_alu instid0(VALU_DEP_1)
	v_add_co_ci_u32_e64 v12, s1, s11, v27, s1
	global_load_b64 v[11:12], v[11:12], off
.LBB20_8:                               ;   in Loop: Header=BB20_4 Depth=1
	s_or_b32 exec_lo, exec_lo, s4
	v_add_co_u32 v30, s1, s23, v5
	s_delay_alu instid0(VALU_DEP_1) | instskip(SKIP_1) | instid1(VALU_DEP_2)
	v_add_co_ci_u32_e64 v31, s1, 0, v6, s1
	v_mov_b32_e32 v7, 0
	v_cmp_gt_u64_e64 s1, s[14:15], v[30:31]
	s_delay_alu instid0(VALU_DEP_1)
	s_and_saveexec_b32 s13, s1
	s_cbranch_execz .LBB20_10
; %bb.9:                                ;   in Loop: Header=BB20_4 Depth=1
	v_add_co_u32 v7, s4, v24, s10
	s_delay_alu instid0(VALU_DEP_1)
	v_add_co_ci_u32_e64 v8, s4, s11, v25, s4
	global_load_b64 v[7:8], v[7:8], off offset:-4
.LBB20_10:                              ;   in Loop: Header=BB20_4 Depth=1
	s_or_b32 exec_lo, exec_lo, s13
	v_add_co_u32 v30, s4, s24, v5
	s_delay_alu instid0(VALU_DEP_1) | instskip(SKIP_1) | instid1(VALU_DEP_1)
	v_add_co_ci_u32_e64 v31, s4, 0, v6, s4
	v_add_co_u32 v2, s4, v18, s10
	v_add_co_ci_u32_e64 v32, s4, s11, v19, s4
	s_delay_alu instid0(VALU_DEP_3)
	v_cmp_gt_u64_e64 s4, s[14:15], v[30:31]
	ds_store_b64 v0, v[3:4]
	v_cndmask_b32_e64 v31, v13, v32, s4
	v_cndmask_b32_e64 v30, v0, v2, s4
	flat_load_b64 v[30:31], v[30:31]
	s_waitcnt vmcnt(0) lgkmcnt(0)
	v_dual_add_f32 v30, s6, v30 :: v_dual_add_f32 v31, s7, v31
	ds_store_b64 v0, v[30:31]
	s_and_saveexec_b32 s13, vcc_lo
	s_cbranch_execnz .LBB20_14
; %bb.11:                               ;   in Loop: Header=BB20_4 Depth=1
	s_or_b32 exec_lo, exec_lo, s13
	s_and_saveexec_b32 s13, s0
	s_cbranch_execnz .LBB20_15
.LBB20_12:                              ;   in Loop: Header=BB20_4 Depth=1
	s_or_b32 exec_lo, exec_lo, s13
	s_and_saveexec_b32 s0, s1
	s_cbranch_execnz .LBB20_16
.LBB20_13:                              ;   in Loop: Header=BB20_4 Depth=1
	s_or_b32 exec_lo, exec_lo, s0
	s_and_saveexec_b32 s0, s4
	s_cbranch_execz .LBB20_3
	s_branch .LBB20_17
.LBB20_14:                              ;   in Loop: Header=BB20_4 Depth=1
	v_add_co_u32 v30, vcc_lo, v16, s10
	v_add_co_ci_u32_e32 v31, vcc_lo, s11, v17, vcc_lo
	v_dual_add_f32 v9, s6, v9 :: v_dual_add_f32 v10, s7, v10
	global_store_b64 v[30:31], v[9:10], off offset:-4
	s_or_b32 exec_lo, exec_lo, s13
	s_and_saveexec_b32 s13, s0
	s_cbranch_execz .LBB20_12
.LBB20_15:                              ;   in Loop: Header=BB20_4 Depth=1
	v_dual_add_f32 v9, s6, v11 :: v_dual_add_f32 v10, s7, v12
	v_add_co_u32 v11, vcc_lo, v22, s10
	v_add_co_ci_u32_e32 v12, vcc_lo, s11, v23, vcc_lo
	global_store_b64 v[11:12], v[9:10], off
	s_or_b32 exec_lo, exec_lo, s13
	s_and_saveexec_b32 s0, s1
	s_cbranch_execz .LBB20_13
.LBB20_16:                              ;   in Loop: Header=BB20_4 Depth=1
	v_add_co_u32 v9, vcc_lo, v28, s10
	v_dual_add_f32 v7, s6, v7 :: v_dual_add_f32 v8, s7, v8
	v_add_co_ci_u32_e32 v10, vcc_lo, s11, v29, vcc_lo
	global_store_b64 v[9:10], v[7:8], off offset:-4
	s_or_b32 exec_lo, exec_lo, s0
	s_and_saveexec_b32 s0, s4
	s_cbranch_execz .LBB20_3
.LBB20_17:                              ;   in Loop: Header=BB20_4 Depth=1
	ds_load_b64 v[7:8], v0
	v_add_co_u32 v9, vcc_lo, v20, s10
	v_add_co_ci_u32_e32 v10, vcc_lo, s11, v21, vcc_lo
	s_waitcnt lgkmcnt(0)
	global_store_b64 v[9:10], v[7:8], off
	s_branch .LBB20_3
.LBB20_18:
	s_mov_b32 s12, 0
.LBB20_19:
	s_delay_alu instid0(SALU_CYCLE_1)
	s_and_not1_b32 vcc_lo, exec_lo, s12
	s_cbranch_vccnz .LBB20_23
; %bb.20:
	v_dual_mov_b32 v3, 0 :: v_dual_lshlrev_b32 v2, 2, v1
	s_mov_b32 s4, 0
	s_mov_b32 s0, exec_lo
	s_delay_alu instid0(VALU_DEP_1)
	v_cmpx_gt_i64_e64 s[8:9], v[2:3]
	s_cbranch_execz .LBB20_23
; %bb.21:
	s_load_b32 s0, s[2:3], 0xe54
	s_waitcnt lgkmcnt(0)
	s_and_b32 s0, s0, 0xffff
	s_delay_alu instid0(SALU_CYCLE_1)
	v_add_lshl_u32 v2, v1, s0, 2
	v_lshlrev_b32_e32 v1, 5, v1
	s_lshl_b32 s2, s0, 2
	s_lshl_b32 s3, s0, 5
	s_set_inst_prefetch_distance 0x1
	.p2align	6
.LBB20_22:                              ; =>This Inner Loop Header: Depth=1
	s_delay_alu instid0(VALU_DEP_1) | instskip(NEXT) | instid1(VALU_DEP_1)
	v_add_co_u32 v8, s0, s18, v1
	v_add_co_ci_u32_e64 v9, null, s19, 0, s0
	v_cmp_le_i64_e32 vcc_lo, s[8:9], v[2:3]
	v_cmp_lt_u64_e64 s0, 0xffff, v[2:3]
	v_add_co_u32 v12, s1, s20, v1
	s_clause 0x1
	global_load_b128 v[4:7], v[8:9], off
	global_load_b128 v[8:11], v[8:9], off offset:16
	v_add_co_ci_u32_e64 v13, null, s21, 0, s1
	s_or_b32 s0, vcc_lo, s0
	s_add_u32 s18, s18, s3
	v_add_co_u32 v2, s1, v2, s2
	s_addc_u32 s19, s19, 0
	s_add_u32 s20, s20, s3
	v_add_co_ci_u32_e64 v3, s1, 0, v3, s1
	s_addc_u32 s21, s21, 0
	s_and_b32 s0, exec_lo, s0
	s_delay_alu instid0(SALU_CYCLE_1)
	s_or_b32 s4, s0, s4
	s_waitcnt vmcnt(1)
	v_dual_add_f32 v4, s6, v4 :: v_dual_add_f32 v5, s7, v5
	v_dual_add_f32 v6, s6, v6 :: v_dual_add_f32 v7, s7, v7
	s_waitcnt vmcnt(0)
	v_dual_add_f32 v8, s6, v8 :: v_dual_add_f32 v11, s7, v11
	v_dual_add_f32 v10, s6, v10 :: v_dual_add_f32 v9, s7, v9
	ds_store_b64 v0, v[10:11]
	s_clause 0x1
	global_store_b128 v[12:13], v[4:7], off
	global_store_b128 v[12:13], v[8:11], off offset:16
	s_and_not1_b32 exec_lo, exec_lo, s4
	s_cbranch_execnz .LBB20_22
.LBB20_23:
	s_set_inst_prefetch_distance 0x2
	s_nop 0
	s_sendmsg sendmsg(MSG_DEALLOC_VGPRS)
	s_endpgm
	.section	.rodata,"a",@progbits
	.p2align	6, 0x0
	.amdhsa_kernel _ZN2at6native12_GLOBAL__N_125multi_tensor_apply_kernelINS1_28TensorListScalarListMetadataIN3c107complexIfEELi2EEENS1_25BinaryOpScalarListFunctorIS6_Li2ELi1ELi1EEEJSt4plusIS6_EEEEvT_T0_DpT1_
		.amdhsa_group_segment_fixed_size 4096
		.amdhsa_private_segment_fixed_size 0
		.amdhsa_kernarg_size 3912
		.amdhsa_user_sgpr_count 15
		.amdhsa_user_sgpr_dispatch_ptr 1
		.amdhsa_user_sgpr_queue_ptr 0
		.amdhsa_user_sgpr_kernarg_segment_ptr 1
		.amdhsa_user_sgpr_dispatch_id 0
		.amdhsa_user_sgpr_private_segment_size 0
		.amdhsa_wavefront_size32 1
		.amdhsa_uses_dynamic_stack 0
		.amdhsa_enable_private_segment 0
		.amdhsa_system_sgpr_workgroup_id_x 1
		.amdhsa_system_sgpr_workgroup_id_y 0
		.amdhsa_system_sgpr_workgroup_id_z 0
		.amdhsa_system_sgpr_workgroup_info 0
		.amdhsa_system_vgpr_workitem_id 2
		.amdhsa_next_free_vgpr 33
		.amdhsa_next_free_sgpr 25
		.amdhsa_reserve_vcc 1
		.amdhsa_float_round_mode_32 0
		.amdhsa_float_round_mode_16_64 0
		.amdhsa_float_denorm_mode_32 3
		.amdhsa_float_denorm_mode_16_64 3
		.amdhsa_dx10_clamp 1
		.amdhsa_ieee_mode 1
		.amdhsa_fp16_overflow 0
		.amdhsa_workgroup_processor_mode 1
		.amdhsa_memory_ordered 1
		.amdhsa_forward_progress 0
		.amdhsa_shared_vgpr_count 0
		.amdhsa_exception_fp_ieee_invalid_op 0
		.amdhsa_exception_fp_denorm_src 0
		.amdhsa_exception_fp_ieee_div_zero 0
		.amdhsa_exception_fp_ieee_overflow 0
		.amdhsa_exception_fp_ieee_underflow 0
		.amdhsa_exception_fp_ieee_inexact 0
		.amdhsa_exception_int_div_zero 0
	.end_amdhsa_kernel
	.section	.text._ZN2at6native12_GLOBAL__N_125multi_tensor_apply_kernelINS1_28TensorListScalarListMetadataIN3c107complexIfEELi2EEENS1_25BinaryOpScalarListFunctorIS6_Li2ELi1ELi1EEEJSt4plusIS6_EEEEvT_T0_DpT1_,"axG",@progbits,_ZN2at6native12_GLOBAL__N_125multi_tensor_apply_kernelINS1_28TensorListScalarListMetadataIN3c107complexIfEELi2EEENS1_25BinaryOpScalarListFunctorIS6_Li2ELi1ELi1EEEJSt4plusIS6_EEEEvT_T0_DpT1_,comdat
.Lfunc_end20:
	.size	_ZN2at6native12_GLOBAL__N_125multi_tensor_apply_kernelINS1_28TensorListScalarListMetadataIN3c107complexIfEELi2EEENS1_25BinaryOpScalarListFunctorIS6_Li2ELi1ELi1EEEJSt4plusIS6_EEEEvT_T0_DpT1_, .Lfunc_end20-_ZN2at6native12_GLOBAL__N_125multi_tensor_apply_kernelINS1_28TensorListScalarListMetadataIN3c107complexIfEELi2EEENS1_25BinaryOpScalarListFunctorIS6_Li2ELi1ELi1EEEJSt4plusIS6_EEEEvT_T0_DpT1_
                                        ; -- End function
	.section	.AMDGPU.csdata,"",@progbits
; Kernel info:
; codeLenInByte = 1536
; NumSgprs: 27
; NumVgprs: 33
; ScratchSize: 0
; MemoryBound: 0
; FloatMode: 240
; IeeeMode: 1
; LDSByteSize: 4096 bytes/workgroup (compile time only)
; SGPRBlocks: 3
; VGPRBlocks: 4
; NumSGPRsForWavesPerEU: 27
; NumVGPRsForWavesPerEU: 33
; Occupancy: 16
; WaveLimiterHint : 1
; COMPUTE_PGM_RSRC2:SCRATCH_EN: 0
; COMPUTE_PGM_RSRC2:USER_SGPR: 15
; COMPUTE_PGM_RSRC2:TRAP_HANDLER: 0
; COMPUTE_PGM_RSRC2:TGID_X_EN: 1
; COMPUTE_PGM_RSRC2:TGID_Y_EN: 0
; COMPUTE_PGM_RSRC2:TGID_Z_EN: 0
; COMPUTE_PGM_RSRC2:TIDIG_COMP_CNT: 2
	.section	.text._ZN2at6native12_GLOBAL__N_125multi_tensor_apply_kernelINS1_28TensorListScalarListMetadataIbLi2EEENS1_25BinaryOpScalarListFunctorIbLi2ELi1ELi1EEEJSt4plusIbEEEEvT_T0_DpT1_,"axG",@progbits,_ZN2at6native12_GLOBAL__N_125multi_tensor_apply_kernelINS1_28TensorListScalarListMetadataIbLi2EEENS1_25BinaryOpScalarListFunctorIbLi2ELi1ELi1EEEJSt4plusIbEEEEvT_T0_DpT1_,comdat
	.globl	_ZN2at6native12_GLOBAL__N_125multi_tensor_apply_kernelINS1_28TensorListScalarListMetadataIbLi2EEENS1_25BinaryOpScalarListFunctorIbLi2ELi1ELi1EEEJSt4plusIbEEEEvT_T0_DpT1_ ; -- Begin function _ZN2at6native12_GLOBAL__N_125multi_tensor_apply_kernelINS1_28TensorListScalarListMetadataIbLi2EEENS1_25BinaryOpScalarListFunctorIbLi2ELi1ELi1EEEJSt4plusIbEEEEvT_T0_DpT1_
	.p2align	8
	.type	_ZN2at6native12_GLOBAL__N_125multi_tensor_apply_kernelINS1_28TensorListScalarListMetadataIbLi2EEENS1_25BinaryOpScalarListFunctorIbLi2ELi1ELi1EEEJSt4plusIbEEEEvT_T0_DpT1_,@function
_ZN2at6native12_GLOBAL__N_125multi_tensor_apply_kernelINS1_28TensorListScalarListMetadataIbLi2EEENS1_25BinaryOpScalarListFunctorIbLi2ELi1ELi1EEEJSt4plusIbEEEEvT_T0_DpT1_: ; @_ZN2at6native12_GLOBAL__N_125multi_tensor_apply_kernelINS1_28TensorListScalarListMetadataIbLi2EEENS1_25BinaryOpScalarListFunctorIbLi2ELi1ELi1EEEJSt4plusIbEEEEvT_T0_DpT1_
; %bb.0:
	v_mov_b32_e32 v1, s15
	s_mul_i32 s4, s15, 3
	s_mul_hi_u32 s5, s15, 3
	global_load_u8 v3, v1, s[0:1] offset:1600
	s_waitcnt vmcnt(0)
	v_add_co_u32 v1, s2, s0, v3
	s_delay_alu instid0(VALU_DEP_1)
	v_add_co_ci_u32_e64 v2, null, s1, 0, s2
	s_add_u32 s2, s0, s15
	s_addc_u32 s3, s1, 0
	s_add_u32 s2, s2, s4
	global_load_u8 v2, v[1:2], off offset:1536
	s_addc_u32 s3, s3, s5
	v_readfirstlane_b32 s4, v3
	s_load_b32 s6, s[2:3], 0x780
	s_delay_alu instid0(VALU_DEP_1)
	s_lshl_b32 s7, s4, 3
	s_clause 0x2
	s_load_b64 s[4:5], s[0:1], s7 offset:0x0
	s_load_b64 s[2:3], s[0:1], s7 offset:0x200
	s_load_b64 s[8:9], s[0:1], s7 offset:0x400
	s_waitcnt lgkmcnt(0)
	s_ashr_i32 s7, s6, 31
	s_delay_alu instid0(SALU_CYCLE_1) | instskip(NEXT) | instid1(SALU_CYCLE_1)
	s_lshl_b64 s[12:13], s[6:7], 16
	s_add_u32 s6, s4, s12
	s_addc_u32 s7, s5, s13
	s_add_u32 s14, s2, s12
	s_addc_u32 s15, s3, s13
	s_or_b64 s[10:11], s[8:9], s[6:7]
	s_delay_alu instid0(SALU_CYCLE_1) | instskip(NEXT) | instid1(SALU_CYCLE_1)
	s_or_b32 s10, s14, s10
	s_and_b32 s10, s10, 3
	s_sub_u32 s8, s8, s12
	s_subb_u32 s9, s9, s13
	s_cmp_eq_u32 s10, 0
	s_mov_b32 s10, -1
	s_cbranch_scc1 .LBB21_21
; %bb.1:
	v_cmp_lt_i64_e64 s10, s[8:9], 1
	s_delay_alu instid0(VALU_DEP_1)
	s_and_b32 vcc_lo, exec_lo, s10
	s_cbranch_vccnz .LBB21_20
; %bb.2:
	s_load_b32 s10, s[0:1], 0xc94
	v_add_co_u32 v16, s11, s12, v0
	s_delay_alu instid0(VALU_DEP_1) | instskip(SKIP_1) | instid1(VALU_DEP_3)
	v_add_co_ci_u32_e64 v17, null, s13, 0, s11
	v_cmp_gt_u64_e64 s11, 0x10000, s[8:9]
	v_add_co_u32 v1, vcc_lo, s4, v16
	s_delay_alu instid0(VALU_DEP_3)
	v_add_co_ci_u32_e32 v3, vcc_lo, s5, v17, vcc_lo
	v_add_co_u32 v4, vcc_lo, s2, v16
	v_add_co_ci_u32_e32 v5, vcc_lo, s3, v17, vcc_lo
	s_waitcnt lgkmcnt(0)
	s_and_b32 s17, s10, 0xffff
	s_and_b32 s10, s11, exec_lo
	s_mul_i32 s19, s17, 3
	s_cselect_b32 s11, s9, 0
	s_cselect_b32 s10, s8, 0x10000
	s_lshl_b32 s18, s17, 1
	s_lshl_b32 s16, s17, 2
	s_add_u32 s20, s12, s19
	s_addc_u32 s21, s13, 0
	v_add_co_u32 v8, s20, s20, v0
	s_delay_alu instid0(VALU_DEP_1) | instskip(SKIP_1) | instid1(VALU_DEP_2)
	v_add_co_ci_u32_e64 v9, null, s21, 0, s20
	s_add_u32 s12, s12, s18
	v_add_co_u32 v6, vcc_lo, s4, v8
	s_addc_u32 s13, s13, 0
	v_add_co_u32 v14, s12, s12, v0
	v_add_co_ci_u32_e32 v7, vcc_lo, s5, v9, vcc_lo
	v_add_co_u32 v8, vcc_lo, s2, v8
	v_add_co_ci_u32_e64 v15, null, s13, 0, s12
	v_add_co_ci_u32_e32 v9, vcc_lo, s3, v9, vcc_lo
	v_add_co_u32 v12, vcc_lo, s4, v14
	s_delay_alu instid0(VALU_DEP_3)
	v_add_co_ci_u32_e32 v13, vcc_lo, s5, v15, vcc_lo
	v_add_co_u32 v14, vcc_lo, s2, v14
	v_add_co_ci_u32_e32 v15, vcc_lo, s3, v15, vcc_lo
	v_add_co_u32 v20, vcc_lo, v16, s17
	v_add_co_ci_u32_e32 v21, vcc_lo, 0, v17, vcc_lo
	v_add_co_u32 v10, s12, s19, v0
	s_delay_alu instid0(VALU_DEP_3) | instskip(NEXT) | instid1(VALU_DEP_3)
	v_add_co_u32 v18, vcc_lo, s4, v20
	v_add_co_ci_u32_e32 v19, vcc_lo, s5, v21, vcc_lo
	v_add_co_ci_u32_e64 v11, null, 0, 0, s12
	v_add_co_u32 v16, s12, s18, v0
	v_add_co_u32 v20, vcc_lo, s2, v20
	v_add_co_u32 v22, s2, v0, s17
	v_add_co_ci_u32_e64 v17, null, 0, 0, s12
	v_add_co_ci_u32_e32 v21, vcc_lo, s3, v21, vcc_lo
	v_add_co_ci_u32_e64 v23, null, 0, 0, s2
	s_mov_b64 s[12:13], 0
	s_branch .LBB21_4
.LBB21_3:                               ;   in Loop: Header=BB21_4 Depth=1
	s_or_b32 exec_lo, exec_lo, s2
	s_add_u32 s12, s12, s16
	s_addc_u32 s13, s13, 0
	s_delay_alu instid0(SALU_CYCLE_1) | instskip(SKIP_1) | instid1(VALU_DEP_1)
	v_cmp_lt_i64_e64 s2, s[12:13], s[8:9]
	v_cmp_gt_u64_e64 s3, 0x10000, s[12:13]
	s_and_b32 s2, s2, s3
	s_delay_alu instid0(SALU_CYCLE_1)
	s_and_b32 vcc_lo, exec_lo, s2
	s_cbranch_vccz .LBB21_20
.LBB21_4:                               ; =>This Inner Loop Header: Depth=1
	s_waitcnt vmcnt(0)
	v_add_co_u32 v24, s2, v0, s12
	s_delay_alu instid0(VALU_DEP_1) | instskip(NEXT) | instid1(VALU_DEP_1)
	v_add_co_ci_u32_e64 v25, null, 0, s13, s2
	v_cmp_gt_u64_e32 vcc_lo, s[10:11], v[24:25]
	v_mov_b32_e32 v24, 0
	s_and_saveexec_b32 s3, vcc_lo
	s_cbranch_execz .LBB21_6
; %bb.5:                                ;   in Loop: Header=BB21_4 Depth=1
	v_add_co_u32 v24, s2, v1, s12
	s_delay_alu instid0(VALU_DEP_1)
	v_add_co_ci_u32_e64 v25, s2, s13, v3, s2
	global_load_u8 v24, v[24:25], off
.LBB21_6:                               ;   in Loop: Header=BB21_4 Depth=1
	s_or_b32 exec_lo, exec_lo, s3
	v_add_co_u32 v25, s2, v22, s12
	s_delay_alu instid0(VALU_DEP_1) | instskip(NEXT) | instid1(VALU_DEP_1)
	v_add_co_ci_u32_e64 v26, s2, s13, v23, s2
	v_cmp_gt_u64_e64 s2, s[10:11], v[25:26]
	v_mov_b32_e32 v26, 0
	s_delay_alu instid0(VALU_DEP_2)
	s_and_saveexec_b32 s4, s2
	s_cbranch_execz .LBB21_8
; %bb.7:                                ;   in Loop: Header=BB21_4 Depth=1
	v_add_co_u32 v25, s3, v18, s12
	s_delay_alu instid0(VALU_DEP_1)
	v_add_co_ci_u32_e64 v26, s3, s13, v19, s3
	global_load_u8 v26, v[25:26], off
.LBB21_8:                               ;   in Loop: Header=BB21_4 Depth=1
	s_or_b32 exec_lo, exec_lo, s4
	v_add_co_u32 v27, s3, v16, s12
	s_delay_alu instid0(VALU_DEP_1) | instskip(SKIP_1) | instid1(VALU_DEP_2)
	v_add_co_ci_u32_e64 v28, s3, s13, v17, s3
	v_mov_b32_e32 v25, 0
	v_cmp_gt_u64_e64 s3, s[10:11], v[27:28]
	v_mov_b32_e32 v27, 0
	s_delay_alu instid0(VALU_DEP_2)
	s_and_saveexec_b32 s5, s3
	s_cbranch_execz .LBB21_10
; %bb.9:                                ;   in Loop: Header=BB21_4 Depth=1
	v_add_co_u32 v27, s4, v12, s12
	s_delay_alu instid0(VALU_DEP_1)
	v_add_co_ci_u32_e64 v28, s4, s13, v13, s4
	global_load_u8 v27, v[27:28], off
.LBB21_10:                              ;   in Loop: Header=BB21_4 Depth=1
	s_or_b32 exec_lo, exec_lo, s5
	v_add_co_u32 v28, s4, v10, s12
	s_delay_alu instid0(VALU_DEP_1) | instskip(NEXT) | instid1(VALU_DEP_1)
	v_add_co_ci_u32_e64 v29, s4, s13, v11, s4
	v_cmp_gt_u64_e64 s4, s[10:11], v[28:29]
	s_delay_alu instid0(VALU_DEP_1)
	s_and_saveexec_b32 s17, s4
	s_cbranch_execnz .LBB21_15
; %bb.11:                               ;   in Loop: Header=BB21_4 Depth=1
	s_or_b32 exec_lo, exec_lo, s17
	s_and_saveexec_b32 s5, vcc_lo
	s_cbranch_execnz .LBB21_16
.LBB21_12:                              ;   in Loop: Header=BB21_4 Depth=1
	s_or_b32 exec_lo, exec_lo, s5
	s_and_saveexec_b32 s5, s2
	s_cbranch_execnz .LBB21_17
.LBB21_13:                              ;   in Loop: Header=BB21_4 Depth=1
	s_or_b32 exec_lo, exec_lo, s5
	s_and_saveexec_b32 s2, s3
	s_cbranch_execnz .LBB21_18
.LBB21_14:                              ;   in Loop: Header=BB21_4 Depth=1
	s_or_b32 exec_lo, exec_lo, s2
	s_and_saveexec_b32 s2, s4
	s_cbranch_execz .LBB21_3
	s_branch .LBB21_19
.LBB21_15:                              ;   in Loop: Header=BB21_4 Depth=1
	v_add_co_u32 v28, s5, v6, s12
	s_delay_alu instid0(VALU_DEP_1)
	v_add_co_ci_u32_e64 v29, s5, s13, v7, s5
	global_load_u8 v25, v[28:29], off
	s_or_b32 exec_lo, exec_lo, s17
	s_and_saveexec_b32 s5, vcc_lo
	s_cbranch_execz .LBB21_12
.LBB21_16:                              ;   in Loop: Header=BB21_4 Depth=1
	v_add_co_u32 v28, vcc_lo, v4, s12
	s_waitcnt vmcnt(0)
	v_or_b32_e32 v24, v24, v2
	v_add_co_ci_u32_e32 v29, vcc_lo, s13, v5, vcc_lo
	global_store_b8 v[28:29], v24, off
	s_or_b32 exec_lo, exec_lo, s5
	s_and_saveexec_b32 s5, s2
	s_cbranch_execz .LBB21_13
.LBB21_17:                              ;   in Loop: Header=BB21_4 Depth=1
	v_add_co_u32 v28, vcc_lo, v20, s12
	s_waitcnt vmcnt(0)
	v_or_b32_e32 v24, v26, v2
	v_add_co_ci_u32_e32 v29, vcc_lo, s13, v21, vcc_lo
	global_store_b8 v[28:29], v24, off
	s_or_b32 exec_lo, exec_lo, s5
	s_and_saveexec_b32 s2, s3
	s_cbranch_execz .LBB21_14
.LBB21_18:                              ;   in Loop: Header=BB21_4 Depth=1
	s_waitcnt vmcnt(0)
	v_add_co_u32 v26, vcc_lo, v14, s12
	v_or_b32_e32 v24, v27, v2
	v_add_co_ci_u32_e32 v27, vcc_lo, s13, v15, vcc_lo
	global_store_b8 v[26:27], v24, off
	s_or_b32 exec_lo, exec_lo, s2
	s_and_saveexec_b32 s2, s4
	s_cbranch_execz .LBB21_3
.LBB21_19:                              ;   in Loop: Header=BB21_4 Depth=1
	s_waitcnt vmcnt(0)
	v_add_co_u32 v24, vcc_lo, v8, s12
	v_or_b32_e32 v26, v25, v2
	v_add_co_ci_u32_e32 v25, vcc_lo, s13, v9, vcc_lo
	global_store_b8 v[24:25], v26, off
	s_branch .LBB21_3
.LBB21_20:
	s_mov_b32 s10, 0
.LBB21_21:
	s_delay_alu instid0(SALU_CYCLE_1)
	s_and_not1_b32 vcc_lo, exec_lo, s10
	s_cbranch_vccnz .LBB21_25
; %bb.22:
	v_dual_mov_b32 v1, 0 :: v_dual_lshlrev_b32 v0, 2, v0
	s_mov_b32 s2, exec_lo
	s_delay_alu instid0(VALU_DEP_1)
	v_cmpx_gt_i64_e64 s[8:9], v[0:1]
	s_cbranch_execz .LBB21_25
; %bb.23:
	s_load_b32 s0, s[0:1], 0xc94
	s_mov_b32 s2, 0
	s_waitcnt lgkmcnt(0)
	s_and_b32 s0, s0, 0xffff
	s_delay_alu instid0(SALU_CYCLE_1)
	s_lshl_b32 s1, s0, 2
	s_set_inst_prefetch_distance 0x1
	.p2align	6
.LBB21_24:                              ; =>This Inner Loop Header: Depth=1
	v_add_co_u32 v3, vcc_lo, s6, v0
	v_add_co_ci_u32_e32 v4, vcc_lo, s7, v1, vcc_lo
	global_load_b32 v5, v[3:4], off
	v_add_co_u32 v3, vcc_lo, s14, v0
	v_add_co_ci_u32_e32 v4, vcc_lo, s15, v1, vcc_lo
	v_add_co_u32 v0, vcc_lo, s1, v0
	v_add_co_ci_u32_e32 v1, vcc_lo, 0, v1, vcc_lo
	s_delay_alu instid0(VALU_DEP_1) | instskip(SKIP_1) | instid1(VALU_DEP_1)
	v_cmp_le_i64_e32 vcc_lo, s[8:9], v[0:1]
	v_cmp_lt_u64_e64 s0, 0xffff, v[0:1]
	s_or_b32 s0, vcc_lo, s0
	s_delay_alu instid0(SALU_CYCLE_1) | instskip(NEXT) | instid1(SALU_CYCLE_1)
	s_and_b32 s0, exec_lo, s0
	s_or_b32 s2, s0, s2
	s_waitcnt vmcnt(0)
	v_lshrrev_b32_e32 v6, 16, v5
	v_lshrrev_b32_e32 v7, 8, v5
	v_lshrrev_b32_e32 v8, 24, v5
	v_or_b32_e32 v5, v2, v5
	s_delay_alu instid0(VALU_DEP_4) | instskip(NEXT) | instid1(VALU_DEP_4)
	v_or_b32_e32 v6, v2, v6
	v_or_b32_e32 v7, v2, v7
	s_delay_alu instid0(VALU_DEP_4) | instskip(NEXT) | instid1(VALU_DEP_4)
	v_or_b32_e32 v8, v2, v8
	v_and_b32_e32 v5, 0xff, v5
	s_delay_alu instid0(VALU_DEP_4) | instskip(NEXT) | instid1(VALU_DEP_4)
	v_and_b32_e32 v6, 0xff, v6
	v_and_b32_e32 v7, 0xff, v7
	s_delay_alu instid0(VALU_DEP_2) | instskip(NEXT) | instid1(VALU_DEP_2)
	v_lshlrev_b32_e32 v6, 16, v6
	v_lshlrev_b32_e32 v7, 8, v7
	s_delay_alu instid0(VALU_DEP_2) | instskip(NEXT) | instid1(VALU_DEP_1)
	v_lshl_or_b32 v6, v8, 24, v6
	v_or3_b32 v5, v6, v7, v5
	global_store_b32 v[3:4], v5, off
	s_and_not1_b32 exec_lo, exec_lo, s2
	s_cbranch_execnz .LBB21_24
.LBB21_25:
	s_set_inst_prefetch_distance 0x2
	s_nop 0
	s_sendmsg sendmsg(MSG_DEALLOC_VGPRS)
	s_endpgm
	.section	.rodata,"a",@progbits
	.p2align	6, 0x0
	.amdhsa_kernel _ZN2at6native12_GLOBAL__N_125multi_tensor_apply_kernelINS1_28TensorListScalarListMetadataIbLi2EEENS1_25BinaryOpScalarListFunctorIbLi2ELi1ELi1EEEJSt4plusIbEEEEvT_T0_DpT1_
		.amdhsa_group_segment_fixed_size 0
		.amdhsa_private_segment_fixed_size 0
		.amdhsa_kernarg_size 3464
		.amdhsa_user_sgpr_count 15
		.amdhsa_user_sgpr_dispatch_ptr 0
		.amdhsa_user_sgpr_queue_ptr 0
		.amdhsa_user_sgpr_kernarg_segment_ptr 1
		.amdhsa_user_sgpr_dispatch_id 0
		.amdhsa_user_sgpr_private_segment_size 0
		.amdhsa_wavefront_size32 1
		.amdhsa_uses_dynamic_stack 0
		.amdhsa_enable_private_segment 0
		.amdhsa_system_sgpr_workgroup_id_x 1
		.amdhsa_system_sgpr_workgroup_id_y 0
		.amdhsa_system_sgpr_workgroup_id_z 0
		.amdhsa_system_sgpr_workgroup_info 0
		.amdhsa_system_vgpr_workitem_id 0
		.amdhsa_next_free_vgpr 30
		.amdhsa_next_free_sgpr 22
		.amdhsa_reserve_vcc 1
		.amdhsa_float_round_mode_32 0
		.amdhsa_float_round_mode_16_64 0
		.amdhsa_float_denorm_mode_32 3
		.amdhsa_float_denorm_mode_16_64 3
		.amdhsa_dx10_clamp 1
		.amdhsa_ieee_mode 1
		.amdhsa_fp16_overflow 0
		.amdhsa_workgroup_processor_mode 1
		.amdhsa_memory_ordered 1
		.amdhsa_forward_progress 0
		.amdhsa_shared_vgpr_count 0
		.amdhsa_exception_fp_ieee_invalid_op 0
		.amdhsa_exception_fp_denorm_src 0
		.amdhsa_exception_fp_ieee_div_zero 0
		.amdhsa_exception_fp_ieee_overflow 0
		.amdhsa_exception_fp_ieee_underflow 0
		.amdhsa_exception_fp_ieee_inexact 0
		.amdhsa_exception_int_div_zero 0
	.end_amdhsa_kernel
	.section	.text._ZN2at6native12_GLOBAL__N_125multi_tensor_apply_kernelINS1_28TensorListScalarListMetadataIbLi2EEENS1_25BinaryOpScalarListFunctorIbLi2ELi1ELi1EEEJSt4plusIbEEEEvT_T0_DpT1_,"axG",@progbits,_ZN2at6native12_GLOBAL__N_125multi_tensor_apply_kernelINS1_28TensorListScalarListMetadataIbLi2EEENS1_25BinaryOpScalarListFunctorIbLi2ELi1ELi1EEEJSt4plusIbEEEEvT_T0_DpT1_,comdat
.Lfunc_end21:
	.size	_ZN2at6native12_GLOBAL__N_125multi_tensor_apply_kernelINS1_28TensorListScalarListMetadataIbLi2EEENS1_25BinaryOpScalarListFunctorIbLi2ELi1ELi1EEEJSt4plusIbEEEEvT_T0_DpT1_, .Lfunc_end21-_ZN2at6native12_GLOBAL__N_125multi_tensor_apply_kernelINS1_28TensorListScalarListMetadataIbLi2EEENS1_25BinaryOpScalarListFunctorIbLi2ELi1ELi1EEEJSt4plusIbEEEEvT_T0_DpT1_
                                        ; -- End function
	.section	.AMDGPU.csdata,"",@progbits
; Kernel info:
; codeLenInByte = 1368
; NumSgprs: 24
; NumVgprs: 30
; ScratchSize: 0
; MemoryBound: 0
; FloatMode: 240
; IeeeMode: 1
; LDSByteSize: 0 bytes/workgroup (compile time only)
; SGPRBlocks: 2
; VGPRBlocks: 3
; NumSGPRsForWavesPerEU: 24
; NumVGPRsForWavesPerEU: 30
; Occupancy: 16
; WaveLimiterHint : 0
; COMPUTE_PGM_RSRC2:SCRATCH_EN: 0
; COMPUTE_PGM_RSRC2:USER_SGPR: 15
; COMPUTE_PGM_RSRC2:TRAP_HANDLER: 0
; COMPUTE_PGM_RSRC2:TGID_X_EN: 1
; COMPUTE_PGM_RSRC2:TGID_Y_EN: 0
; COMPUTE_PGM_RSRC2:TGID_Z_EN: 0
; COMPUTE_PGM_RSRC2:TIDIG_COMP_CNT: 0
	.section	.text._ZN2at6native12_GLOBAL__N_125multi_tensor_apply_kernelINS1_28TensorListScalarListMetadataIfLi2EEENS1_25BinaryOpScalarListFunctorIN3c104HalfELi2ELi1ELi1EEEJSt4plusIfEEEEvT_T0_DpT1_,"axG",@progbits,_ZN2at6native12_GLOBAL__N_125multi_tensor_apply_kernelINS1_28TensorListScalarListMetadataIfLi2EEENS1_25BinaryOpScalarListFunctorIN3c104HalfELi2ELi1ELi1EEEJSt4plusIfEEEEvT_T0_DpT1_,comdat
	.globl	_ZN2at6native12_GLOBAL__N_125multi_tensor_apply_kernelINS1_28TensorListScalarListMetadataIfLi2EEENS1_25BinaryOpScalarListFunctorIN3c104HalfELi2ELi1ELi1EEEJSt4plusIfEEEEvT_T0_DpT1_ ; -- Begin function _ZN2at6native12_GLOBAL__N_125multi_tensor_apply_kernelINS1_28TensorListScalarListMetadataIfLi2EEENS1_25BinaryOpScalarListFunctorIN3c104HalfELi2ELi1ELi1EEEJSt4plusIfEEEEvT_T0_DpT1_
	.p2align	8
	.type	_ZN2at6native12_GLOBAL__N_125multi_tensor_apply_kernelINS1_28TensorListScalarListMetadataIfLi2EEENS1_25BinaryOpScalarListFunctorIN3c104HalfELi2ELi1ELi1EEEJSt4plusIfEEEEvT_T0_DpT1_,@function
_ZN2at6native12_GLOBAL__N_125multi_tensor_apply_kernelINS1_28TensorListScalarListMetadataIfLi2EEENS1_25BinaryOpScalarListFunctorIN3c104HalfELi2ELi1ELi1EEEJSt4plusIfEEEEvT_T0_DpT1_: ; @_ZN2at6native12_GLOBAL__N_125multi_tensor_apply_kernelINS1_28TensorListScalarListMetadataIfLi2EEENS1_25BinaryOpScalarListFunctorIN3c104HalfELi2ELi1ELi1EEEJSt4plusIfEEEEvT_T0_DpT1_
; %bb.0:
	v_mov_b32_e32 v1, s15
	s_add_u32 s2, s0, s15
	s_mul_hi_u32 s3, s15, 3
	s_mul_i32 s15, s15, 3
	s_addc_u32 s4, s1, 0
	global_load_u8 v1, v1, s[0:1] offset:1792
	s_add_u32 s2, s2, s15
	s_addc_u32 s3, s4, s3
	s_mov_b32 s15, 0
	s_load_b32 s2, s[2:3], 0x840
	s_waitcnt vmcnt(0)
	v_readfirstlane_b32 s3, v1
	v_lshlrev_b32_e32 v1, 2, v1
	s_delay_alu instid0(VALU_DEP_2)
	s_lshl_b32 s8, s3, 3
	s_waitcnt lgkmcnt(0)
	s_ashr_i32 s3, s2, 31
	s_add_u32 s9, s0, s8
	s_addc_u32 s10, s1, 0
	v_sub_co_u32 v1, s9, s9, v1
	s_delay_alu instid0(VALU_DEP_1)
	v_sub_co_ci_u32_e64 v2, null, s10, 0, s9
	s_clause 0x2
	s_load_b64 s[4:5], s[0:1], s8 offset:0x400
	s_load_b64 s[6:7], s[0:1], s8 offset:0x0
	;; [unrolled: 1-line block ×3, first 2 shown]
	v_readfirstlane_b32 s10, v1
	v_readfirstlane_b32 s11, v2
	s_lshl_b64 s[12:13], s[2:3], 17
	s_lshl_b64 s[2:3], s[2:3], 16
	s_load_b32 s18, s[10:11], 0x600
	s_waitcnt lgkmcnt(0)
	s_and_b32 s11, s4, 3
	s_and_b32 s10, s6, 7
	;; [unrolled: 1-line block ×3, first 2 shown]
	s_or_b32 s10, s10, s11
	s_delay_alu instid0(SALU_CYCLE_1)
	s_or_b32 s14, s14, s10
	s_sub_u32 s10, s4, s2
	s_subb_u32 s11, s5, s3
	s_cmp_eq_u64 s[14:15], 0
	s_mov_b32 s2, -1
	s_cbranch_scc1 .LBB22_21
; %bb.1:
	v_cmp_lt_i64_e64 s2, s[10:11], 1
	s_delay_alu instid0(VALU_DEP_1)
	s_and_b32 vcc_lo, exec_lo, s2
	s_cbranch_vccnz .LBB22_20
; %bb.2:
	s_load_b32 s2, s[0:1], 0xd54
	v_dual_mov_b32 v10, 0 :: v_dual_lshlrev_b32 v9, 1, v0
	v_cmp_gt_u64_e64 s3, 0x10000, s[10:11]
	s_mov_b64 s[16:17], 0
	s_delay_alu instid0(VALU_DEP_2) | instskip(NEXT) | instid1(VALU_DEP_1)
	v_add_co_u32 v1, s4, s6, v9
	v_add_co_ci_u32_e64 v2, null, s7, 0, s4
	v_add_co_u32 v3, s4, s8, v9
	s_delay_alu instid0(VALU_DEP_1)
	v_add_co_ci_u32_e64 v4, null, s9, 0, s4
	s_waitcnt lgkmcnt(0)
	s_and_b32 s2, s2, 0xffff
	s_and_b32 s3, s3, exec_lo
	v_mad_u64_u32 v[7:8], null, s2, 6, v[9:10]
	s_cselect_b32 s15, s11, 0
	s_cselect_b32 s14, s10, 0x10000
	s_mul_i32 s4, s2, 3
	s_lshl_b32 s19, s2, 2
	s_lshl_b32 s3, s2, 1
	v_add_co_u32 v14, s5, s19, v9
	v_add_co_u32 v9, s4, s4, v0
	s_delay_alu instid0(VALU_DEP_1) | instskip(SKIP_3) | instid1(VALU_DEP_3)
	v_add_co_ci_u32_e64 v10, null, 0, 0, s4
	v_add_co_u32 v13, s4, v0, s2
	v_add_co_u32 v5, vcc_lo, s6, v7
	v_add_co_ci_u32_e32 v6, vcc_lo, s7, v8, vcc_lo
	v_lshlrev_b32_e32 v21, 1, v13
	v_add_co_u32 v7, vcc_lo, s8, v7
	v_add_co_ci_u32_e64 v15, null, 0, 0, s5
	v_add_co_ci_u32_e32 v8, vcc_lo, s9, v8, vcc_lo
	v_add_co_u32 v17, s3, s3, v0
	v_add_co_u32 v11, vcc_lo, s6, v14
	v_add_co_ci_u32_e64 v18, null, 0, 0, s3
	v_add_co_u32 v19, s3, s6, v21
	v_add_co_ci_u32_e32 v12, vcc_lo, s7, v15, vcc_lo
	v_add_co_u32 v14, vcc_lo, s8, v14
	v_add_co_ci_u32_e64 v20, null, s7, 0, s3
	v_add_co_u32 v21, s3, s8, v21
	v_add_co_ci_u32_e32 v15, vcc_lo, s9, v15, vcc_lo
	v_add_co_ci_u32_e64 v16, null, 0, 0, s4
	v_add_co_ci_u32_e64 v22, null, s9, 0, s3
	s_lshl_b32 s20, s2, 3
	s_branch .LBB22_4
.LBB22_3:                               ;   in Loop: Header=BB22_4 Depth=1
	s_or_b32 exec_lo, exec_lo, s2
	v_add_co_u32 v1, vcc_lo, v1, s20
	v_add_co_ci_u32_e32 v2, vcc_lo, 0, v2, vcc_lo
	v_add_co_u32 v3, vcc_lo, v3, s20
	v_add_co_ci_u32_e32 v4, vcc_lo, 0, v4, vcc_lo
	;; [unrolled: 2-line block ×5, first 2 shown]
	s_add_u32 s16, s16, s19
	v_add_co_u32 v14, vcc_lo, v14, s20
	s_addc_u32 s17, s17, 0
	v_add_co_ci_u32_e32 v15, vcc_lo, 0, v15, vcc_lo
	v_cmp_lt_i64_e64 s2, s[16:17], s[10:11]
	v_cmp_gt_u64_e64 s3, 0x10000, s[16:17]
	v_add_co_u32 v19, vcc_lo, v19, s20
	v_add_co_ci_u32_e32 v20, vcc_lo, 0, v20, vcc_lo
	v_add_co_u32 v21, vcc_lo, v21, s20
	v_add_co_ci_u32_e32 v22, vcc_lo, 0, v22, vcc_lo
	s_and_b32 s2, s2, s3
	s_delay_alu instid0(SALU_CYCLE_1)
	s_and_b32 vcc_lo, exec_lo, s2
	s_cbranch_vccz .LBB22_20
.LBB22_4:                               ; =>This Inner Loop Header: Depth=1
	s_waitcnt vmcnt(0)
	v_add_co_u32 v23, s2, v0, s16
	s_delay_alu instid0(VALU_DEP_1) | instskip(NEXT) | instid1(VALU_DEP_1)
	v_add_co_ci_u32_e64 v24, null, 0, s17, s2
	v_cmp_gt_u64_e32 vcc_lo, s[14:15], v[23:24]
	v_mov_b32_e32 v24, 0
	s_and_saveexec_b32 s3, vcc_lo
	s_cbranch_execz .LBB22_6
; %bb.5:                                ;   in Loop: Header=BB22_4 Depth=1
	v_add_co_u32 v23, s2, v1, s12
	s_delay_alu instid0(VALU_DEP_1)
	v_add_co_ci_u32_e64 v24, s2, s13, v2, s2
	global_load_u16 v24, v[23:24], off
.LBB22_6:                               ;   in Loop: Header=BB22_4 Depth=1
	s_or_b32 exec_lo, exec_lo, s3
	v_add_co_u32 v25, s2, v13, s16
	s_delay_alu instid0(VALU_DEP_1) | instskip(NEXT) | instid1(VALU_DEP_1)
	v_add_co_ci_u32_e64 v26, s2, s17, v16, s2
	v_cmp_gt_u64_e64 s2, s[14:15], v[25:26]
	v_mov_b32_e32 v25, 0
	s_delay_alu instid0(VALU_DEP_2)
	s_and_saveexec_b32 s4, s2
	s_cbranch_execz .LBB22_8
; %bb.7:                                ;   in Loop: Header=BB22_4 Depth=1
	v_add_co_u32 v25, s3, v19, s12
	s_delay_alu instid0(VALU_DEP_1)
	v_add_co_ci_u32_e64 v26, s3, s13, v20, s3
	global_load_u16 v25, v[25:26], off
.LBB22_8:                               ;   in Loop: Header=BB22_4 Depth=1
	s_or_b32 exec_lo, exec_lo, s4
	v_add_co_u32 v26, s3, v17, s16
	s_delay_alu instid0(VALU_DEP_1) | instskip(SKIP_1) | instid1(VALU_DEP_2)
	v_add_co_ci_u32_e64 v27, s3, s17, v18, s3
	v_mov_b32_e32 v23, 0
	v_cmp_gt_u64_e64 s3, s[14:15], v[26:27]
	v_mov_b32_e32 v26, 0
	s_delay_alu instid0(VALU_DEP_2)
	s_and_saveexec_b32 s5, s3
	s_cbranch_execz .LBB22_10
; %bb.9:                                ;   in Loop: Header=BB22_4 Depth=1
	v_add_co_u32 v26, s4, v11, s12
	s_delay_alu instid0(VALU_DEP_1)
	v_add_co_ci_u32_e64 v27, s4, s13, v12, s4
	global_load_u16 v26, v[26:27], off
.LBB22_10:                              ;   in Loop: Header=BB22_4 Depth=1
	s_or_b32 exec_lo, exec_lo, s5
	v_add_co_u32 v27, s4, v9, s16
	s_delay_alu instid0(VALU_DEP_1) | instskip(NEXT) | instid1(VALU_DEP_1)
	v_add_co_ci_u32_e64 v28, s4, s17, v10, s4
	v_cmp_gt_u64_e64 s4, s[14:15], v[27:28]
	s_delay_alu instid0(VALU_DEP_1)
	s_and_saveexec_b32 s21, s4
	s_cbranch_execnz .LBB22_15
; %bb.11:                               ;   in Loop: Header=BB22_4 Depth=1
	s_or_b32 exec_lo, exec_lo, s21
	s_and_saveexec_b32 s5, vcc_lo
	s_cbranch_execnz .LBB22_16
.LBB22_12:                              ;   in Loop: Header=BB22_4 Depth=1
	s_or_b32 exec_lo, exec_lo, s5
	s_and_saveexec_b32 s5, s2
	s_cbranch_execnz .LBB22_17
.LBB22_13:                              ;   in Loop: Header=BB22_4 Depth=1
	s_or_b32 exec_lo, exec_lo, s5
	s_and_saveexec_b32 s2, s3
	s_cbranch_execnz .LBB22_18
.LBB22_14:                              ;   in Loop: Header=BB22_4 Depth=1
	s_or_b32 exec_lo, exec_lo, s2
	s_and_saveexec_b32 s2, s4
	s_cbranch_execz .LBB22_3
	s_branch .LBB22_19
.LBB22_15:                              ;   in Loop: Header=BB22_4 Depth=1
	v_add_co_u32 v27, s5, v5, s12
	s_delay_alu instid0(VALU_DEP_1)
	v_add_co_ci_u32_e64 v28, s5, s13, v6, s5
	global_load_u16 v23, v[27:28], off
	s_or_b32 exec_lo, exec_lo, s21
	s_and_saveexec_b32 s5, vcc_lo
	s_cbranch_execz .LBB22_12
.LBB22_16:                              ;   in Loop: Header=BB22_4 Depth=1
	s_waitcnt vmcnt(0)
	v_cvt_f32_f16_e32 v24, v24
	v_add_co_u32 v27, vcc_lo, v3, s12
	v_add_co_ci_u32_e32 v28, vcc_lo, s13, v4, vcc_lo
	s_delay_alu instid0(VALU_DEP_3) | instskip(NEXT) | instid1(VALU_DEP_1)
	v_add_f32_e32 v24, s18, v24
	v_cvt_f16_f32_e32 v24, v24
	global_store_b16 v[27:28], v24, off
	s_or_b32 exec_lo, exec_lo, s5
	s_and_saveexec_b32 s5, s2
	s_cbranch_execz .LBB22_13
.LBB22_17:                              ;   in Loop: Header=BB22_4 Depth=1
	s_waitcnt vmcnt(0)
	v_cvt_f32_f16_e32 v24, v25
	s_delay_alu instid0(VALU_DEP_1) | instskip(NEXT) | instid1(VALU_DEP_1)
	v_add_f32_e32 v24, s18, v24
	v_cvt_f16_f32_e32 v27, v24
	v_add_co_u32 v24, vcc_lo, v21, s12
	v_add_co_ci_u32_e32 v25, vcc_lo, s13, v22, vcc_lo
	global_store_b16 v[24:25], v27, off
	s_or_b32 exec_lo, exec_lo, s5
	s_and_saveexec_b32 s2, s3
	s_cbranch_execz .LBB22_14
.LBB22_18:                              ;   in Loop: Header=BB22_4 Depth=1
	s_waitcnt vmcnt(0)
	v_cvt_f32_f16_e32 v24, v26
	s_delay_alu instid0(VALU_DEP_1) | instskip(NEXT) | instid1(VALU_DEP_1)
	v_add_f32_e32 v24, s18, v24
	v_cvt_f16_f32_e32 v26, v24
	v_add_co_u32 v24, vcc_lo, v14, s12
	v_add_co_ci_u32_e32 v25, vcc_lo, s13, v15, vcc_lo
	global_store_b16 v[24:25], v26, off
	s_or_b32 exec_lo, exec_lo, s2
	s_and_saveexec_b32 s2, s4
	s_cbranch_execz .LBB22_3
.LBB22_19:                              ;   in Loop: Header=BB22_4 Depth=1
	s_waitcnt vmcnt(0)
	v_cvt_f32_f16_e32 v23, v23
	s_delay_alu instid0(VALU_DEP_1) | instskip(NEXT) | instid1(VALU_DEP_1)
	v_add_f32_e32 v23, s18, v23
	v_cvt_f16_f32_e32 v25, v23
	v_add_co_u32 v23, vcc_lo, v7, s12
	v_add_co_ci_u32_e32 v24, vcc_lo, s13, v8, vcc_lo
	global_store_b16 v[23:24], v25, off
	s_branch .LBB22_3
.LBB22_20:
	s_mov_b32 s2, 0
.LBB22_21:
	s_delay_alu instid0(SALU_CYCLE_1)
	s_and_not1_b32 vcc_lo, exec_lo, s2
	s_cbranch_vccnz .LBB22_25
; %bb.22:
	v_dual_mov_b32 v2, 0 :: v_dual_lshlrev_b32 v1, 2, v0
	s_mov_b32 s2, 0
	s_mov_b32 s3, exec_lo
	s_delay_alu instid0(VALU_DEP_1)
	v_cmpx_gt_i64_e64 s[10:11], v[1:2]
	s_cbranch_execz .LBB22_25
; %bb.23:
	s_load_b32 s0, s[0:1], 0xd54
	v_lshlrev_b32_e32 v1, 3, v0
	s_mov_b32 s3, s18
	s_delay_alu instid0(VALU_DEP_1) | instskip(NEXT) | instid1(VALU_DEP_1)
	v_add_co_u32 v3, s1, s12, v1
	v_add_co_ci_u32_e64 v4, null, s13, 0, s1
	s_waitcnt lgkmcnt(0)
	s_and_b32 s0, s0, 0xffff
	s_delay_alu instid0(SALU_CYCLE_1)
	v_add_lshl_u32 v1, v0, s0, 2
	s_lshl_b32 s4, s0, 3
	s_lshl_b32 s5, s0, 2
	s_set_inst_prefetch_distance 0x1
	.p2align	6
.LBB22_24:                              ; =>This Inner Loop Header: Depth=1
	v_add_co_u32 v5, vcc_lo, s6, v3
	v_add_co_ci_u32_e32 v6, vcc_lo, s7, v4, vcc_lo
	v_add_co_u32 v7, vcc_lo, s8, v3
	v_add_co_ci_u32_e32 v8, vcc_lo, s9, v4, vcc_lo
	global_load_b64 v[5:6], v[5:6], off
	v_cmp_le_i64_e32 vcc_lo, s[10:11], v[1:2]
	v_cmp_lt_u64_e64 s0, 0xffff, v[1:2]
	v_add_co_u32 v3, s1, v3, s4
	s_delay_alu instid0(VALU_DEP_1) | instskip(SKIP_1) | instid1(VALU_DEP_4)
	v_add_co_ci_u32_e64 v4, s1, 0, v4, s1
	v_add_co_u32 v1, s1, v1, s5
	s_or_b32 s0, vcc_lo, s0
	v_add_co_ci_u32_e64 v2, s1, 0, v2, s1
	s_and_b32 s0, exec_lo, s0
	s_delay_alu instid0(SALU_CYCLE_1)
	s_or_b32 s2, s0, s2
	s_waitcnt vmcnt(0)
	v_lshrrev_b32_e32 v0, 16, v5
	v_lshrrev_b32_e32 v9, 16, v6
	v_cvt_f32_f16_e32 v5, v5
	v_cvt_f32_f16_e32 v6, v6
	s_delay_alu instid0(VALU_DEP_4) | instskip(NEXT) | instid1(VALU_DEP_4)
	v_cvt_f32_f16_e32 v0, v0
	v_cvt_f32_f16_e32 v9, v9
	s_delay_alu instid0(VALU_DEP_3) | instskip(NEXT) | instid1(VALU_DEP_2)
	v_dual_add_f32 v5, s18, v5 :: v_dual_add_f32 v6, s18, v6
	v_dual_add_f32 v0, s3, v0 :: v_dual_add_f32 v9, s3, v9
	s_delay_alu instid0(VALU_DEP_2) | instskip(NEXT) | instid1(VALU_DEP_3)
	v_cvt_f16_f32_e32 v5, v5
	v_cvt_f16_f32_e32 v6, v6
	s_delay_alu instid0(VALU_DEP_3) | instskip(NEXT) | instid1(VALU_DEP_4)
	v_cvt_f16_f32_e32 v0, v0
	v_cvt_f16_f32_e32 v9, v9
	s_delay_alu instid0(VALU_DEP_2) | instskip(NEXT) | instid1(VALU_DEP_2)
	v_pack_b32_f16 v5, v5, v0
	v_pack_b32_f16 v6, v6, v9
	global_store_b64 v[7:8], v[5:6], off
	s_and_not1_b32 exec_lo, exec_lo, s2
	s_cbranch_execnz .LBB22_24
.LBB22_25:
	s_set_inst_prefetch_distance 0x2
	s_nop 0
	s_sendmsg sendmsg(MSG_DEALLOC_VGPRS)
	s_endpgm
	.section	.rodata,"a",@progbits
	.p2align	6, 0x0
	.amdhsa_kernel _ZN2at6native12_GLOBAL__N_125multi_tensor_apply_kernelINS1_28TensorListScalarListMetadataIfLi2EEENS1_25BinaryOpScalarListFunctorIN3c104HalfELi2ELi1ELi1EEEJSt4plusIfEEEEvT_T0_DpT1_
		.amdhsa_group_segment_fixed_size 0
		.amdhsa_private_segment_fixed_size 0
		.amdhsa_kernarg_size 3656
		.amdhsa_user_sgpr_count 15
		.amdhsa_user_sgpr_dispatch_ptr 0
		.amdhsa_user_sgpr_queue_ptr 0
		.amdhsa_user_sgpr_kernarg_segment_ptr 1
		.amdhsa_user_sgpr_dispatch_id 0
		.amdhsa_user_sgpr_private_segment_size 0
		.amdhsa_wavefront_size32 1
		.amdhsa_uses_dynamic_stack 0
		.amdhsa_enable_private_segment 0
		.amdhsa_system_sgpr_workgroup_id_x 1
		.amdhsa_system_sgpr_workgroup_id_y 0
		.amdhsa_system_sgpr_workgroup_id_z 0
		.amdhsa_system_sgpr_workgroup_info 0
		.amdhsa_system_vgpr_workitem_id 0
		.amdhsa_next_free_vgpr 29
		.amdhsa_next_free_sgpr 22
		.amdhsa_reserve_vcc 1
		.amdhsa_float_round_mode_32 0
		.amdhsa_float_round_mode_16_64 0
		.amdhsa_float_denorm_mode_32 3
		.amdhsa_float_denorm_mode_16_64 3
		.amdhsa_dx10_clamp 1
		.amdhsa_ieee_mode 1
		.amdhsa_fp16_overflow 0
		.amdhsa_workgroup_processor_mode 1
		.amdhsa_memory_ordered 1
		.amdhsa_forward_progress 0
		.amdhsa_shared_vgpr_count 0
		.amdhsa_exception_fp_ieee_invalid_op 0
		.amdhsa_exception_fp_denorm_src 0
		.amdhsa_exception_fp_ieee_div_zero 0
		.amdhsa_exception_fp_ieee_overflow 0
		.amdhsa_exception_fp_ieee_underflow 0
		.amdhsa_exception_fp_ieee_inexact 0
		.amdhsa_exception_int_div_zero 0
	.end_amdhsa_kernel
	.section	.text._ZN2at6native12_GLOBAL__N_125multi_tensor_apply_kernelINS1_28TensorListScalarListMetadataIfLi2EEENS1_25BinaryOpScalarListFunctorIN3c104HalfELi2ELi1ELi1EEEJSt4plusIfEEEEvT_T0_DpT1_,"axG",@progbits,_ZN2at6native12_GLOBAL__N_125multi_tensor_apply_kernelINS1_28TensorListScalarListMetadataIfLi2EEENS1_25BinaryOpScalarListFunctorIN3c104HalfELi2ELi1ELi1EEEJSt4plusIfEEEEvT_T0_DpT1_,comdat
.Lfunc_end22:
	.size	_ZN2at6native12_GLOBAL__N_125multi_tensor_apply_kernelINS1_28TensorListScalarListMetadataIfLi2EEENS1_25BinaryOpScalarListFunctorIN3c104HalfELi2ELi1ELi1EEEJSt4plusIfEEEEvT_T0_DpT1_, .Lfunc_end22-_ZN2at6native12_GLOBAL__N_125multi_tensor_apply_kernelINS1_28TensorListScalarListMetadataIfLi2EEENS1_25BinaryOpScalarListFunctorIN3c104HalfELi2ELi1ELi1EEEJSt4plusIfEEEEvT_T0_DpT1_
                                        ; -- End function
	.section	.AMDGPU.csdata,"",@progbits
; Kernel info:
; codeLenInByte = 1556
; NumSgprs: 24
; NumVgprs: 29
; ScratchSize: 0
; MemoryBound: 0
; FloatMode: 240
; IeeeMode: 1
; LDSByteSize: 0 bytes/workgroup (compile time only)
; SGPRBlocks: 2
; VGPRBlocks: 3
; NumSGPRsForWavesPerEU: 24
; NumVGPRsForWavesPerEU: 29
; Occupancy: 16
; WaveLimiterHint : 0
; COMPUTE_PGM_RSRC2:SCRATCH_EN: 0
; COMPUTE_PGM_RSRC2:USER_SGPR: 15
; COMPUTE_PGM_RSRC2:TRAP_HANDLER: 0
; COMPUTE_PGM_RSRC2:TGID_X_EN: 1
; COMPUTE_PGM_RSRC2:TGID_Y_EN: 0
; COMPUTE_PGM_RSRC2:TGID_Z_EN: 0
; COMPUTE_PGM_RSRC2:TIDIG_COMP_CNT: 0
	.section	.text._ZN2at6native12_GLOBAL__N_125multi_tensor_apply_kernelINS1_28TensorListScalarListMetadataIfLi2EEENS1_25BinaryOpScalarListFunctorIN3c108BFloat16ELi2ELi1ELi1EEEJSt4plusIfEEEEvT_T0_DpT1_,"axG",@progbits,_ZN2at6native12_GLOBAL__N_125multi_tensor_apply_kernelINS1_28TensorListScalarListMetadataIfLi2EEENS1_25BinaryOpScalarListFunctorIN3c108BFloat16ELi2ELi1ELi1EEEJSt4plusIfEEEEvT_T0_DpT1_,comdat
	.globl	_ZN2at6native12_GLOBAL__N_125multi_tensor_apply_kernelINS1_28TensorListScalarListMetadataIfLi2EEENS1_25BinaryOpScalarListFunctorIN3c108BFloat16ELi2ELi1ELi1EEEJSt4plusIfEEEEvT_T0_DpT1_ ; -- Begin function _ZN2at6native12_GLOBAL__N_125multi_tensor_apply_kernelINS1_28TensorListScalarListMetadataIfLi2EEENS1_25BinaryOpScalarListFunctorIN3c108BFloat16ELi2ELi1ELi1EEEJSt4plusIfEEEEvT_T0_DpT1_
	.p2align	8
	.type	_ZN2at6native12_GLOBAL__N_125multi_tensor_apply_kernelINS1_28TensorListScalarListMetadataIfLi2EEENS1_25BinaryOpScalarListFunctorIN3c108BFloat16ELi2ELi1ELi1EEEJSt4plusIfEEEEvT_T0_DpT1_,@function
_ZN2at6native12_GLOBAL__N_125multi_tensor_apply_kernelINS1_28TensorListScalarListMetadataIfLi2EEENS1_25BinaryOpScalarListFunctorIN3c108BFloat16ELi2ELi1ELi1EEEJSt4plusIfEEEEvT_T0_DpT1_: ; @_ZN2at6native12_GLOBAL__N_125multi_tensor_apply_kernelINS1_28TensorListScalarListMetadataIfLi2EEENS1_25BinaryOpScalarListFunctorIN3c108BFloat16ELi2ELi1ELi1EEEJSt4plusIfEEEEvT_T0_DpT1_
; %bb.0:
	v_mov_b32_e32 v1, s15
	s_add_u32 s2, s0, s15
	s_mul_hi_u32 s3, s15, 3
	s_mul_i32 s15, s15, 3
	s_addc_u32 s4, s1, 0
	global_load_u8 v1, v1, s[0:1] offset:1792
	s_add_u32 s2, s2, s15
	s_addc_u32 s3, s4, s3
	s_mov_b32 s15, 0
	s_load_b32 s2, s[2:3], 0x840
	s_waitcnt vmcnt(0)
	v_readfirstlane_b32 s3, v1
	v_lshlrev_b32_e32 v1, 2, v1
	s_delay_alu instid0(VALU_DEP_2)
	s_lshl_b32 s8, s3, 3
	s_waitcnt lgkmcnt(0)
	s_ashr_i32 s3, s2, 31
	s_add_u32 s9, s0, s8
	s_addc_u32 s10, s1, 0
	v_sub_co_u32 v1, s9, s9, v1
	s_delay_alu instid0(VALU_DEP_1)
	v_sub_co_ci_u32_e64 v2, null, s10, 0, s9
	s_clause 0x2
	s_load_b64 s[4:5], s[0:1], s8 offset:0x400
	s_load_b64 s[6:7], s[0:1], s8 offset:0x0
	;; [unrolled: 1-line block ×3, first 2 shown]
	v_readfirstlane_b32 s10, v1
	v_readfirstlane_b32 s11, v2
	s_lshl_b64 s[12:13], s[2:3], 17
	s_lshl_b64 s[2:3], s[2:3], 16
	s_load_b32 s18, s[10:11], 0x600
	s_waitcnt lgkmcnt(0)
	s_and_b32 s11, s4, 3
	s_and_b32 s10, s6, 7
	;; [unrolled: 1-line block ×3, first 2 shown]
	s_or_b32 s10, s10, s11
	s_delay_alu instid0(SALU_CYCLE_1)
	s_or_b32 s14, s14, s10
	s_sub_u32 s10, s4, s2
	s_subb_u32 s11, s5, s3
	s_cmp_eq_u64 s[14:15], 0
	s_mov_b32 s2, -1
	s_cbranch_scc1 .LBB23_21
; %bb.1:
	v_cmp_lt_i64_e64 s2, s[10:11], 1
	s_delay_alu instid0(VALU_DEP_1)
	s_and_b32 vcc_lo, exec_lo, s2
	s_cbranch_vccnz .LBB23_20
; %bb.2:
	s_load_b32 s2, s[0:1], 0xd54
	v_dual_mov_b32 v10, 0 :: v_dual_lshlrev_b32 v9, 1, v0
	v_cmp_gt_u64_e64 s3, 0x10000, s[10:11]
	s_mov_b64 s[16:17], 0
	s_delay_alu instid0(VALU_DEP_2) | instskip(NEXT) | instid1(VALU_DEP_1)
	v_add_co_u32 v1, s4, s6, v9
	v_add_co_ci_u32_e64 v2, null, s7, 0, s4
	v_add_co_u32 v3, s4, s8, v9
	s_delay_alu instid0(VALU_DEP_1)
	v_add_co_ci_u32_e64 v4, null, s9, 0, s4
	s_waitcnt lgkmcnt(0)
	s_and_b32 s2, s2, 0xffff
	s_and_b32 s3, s3, exec_lo
	v_mad_u64_u32 v[7:8], null, s2, 6, v[9:10]
	s_cselect_b32 s15, s11, 0
	s_cselect_b32 s14, s10, 0x10000
	s_mul_i32 s4, s2, 3
	s_lshl_b32 s19, s2, 2
	s_lshl_b32 s3, s2, 1
	v_add_co_u32 v14, s5, s19, v9
	v_add_co_u32 v9, s4, s4, v0
	s_delay_alu instid0(VALU_DEP_1) | instskip(SKIP_3) | instid1(VALU_DEP_3)
	v_add_co_ci_u32_e64 v10, null, 0, 0, s4
	v_add_co_u32 v13, s4, v0, s2
	v_add_co_u32 v5, vcc_lo, s6, v7
	v_add_co_ci_u32_e32 v6, vcc_lo, s7, v8, vcc_lo
	v_lshlrev_b32_e32 v21, 1, v13
	v_add_co_u32 v7, vcc_lo, s8, v7
	v_add_co_ci_u32_e64 v15, null, 0, 0, s5
	v_add_co_ci_u32_e32 v8, vcc_lo, s9, v8, vcc_lo
	v_add_co_u32 v17, s3, s3, v0
	v_add_co_u32 v11, vcc_lo, s6, v14
	v_add_co_ci_u32_e64 v18, null, 0, 0, s3
	v_add_co_u32 v19, s3, s6, v21
	v_add_co_ci_u32_e32 v12, vcc_lo, s7, v15, vcc_lo
	v_add_co_u32 v14, vcc_lo, s8, v14
	v_add_co_ci_u32_e64 v20, null, s7, 0, s3
	v_add_co_u32 v21, s3, s8, v21
	v_add_co_ci_u32_e32 v15, vcc_lo, s9, v15, vcc_lo
	v_add_co_ci_u32_e64 v16, null, 0, 0, s4
	v_add_co_ci_u32_e64 v22, null, s9, 0, s3
	s_lshl_b32 s20, s2, 3
	s_branch .LBB23_4
.LBB23_3:                               ;   in Loop: Header=BB23_4 Depth=1
	s_or_b32 exec_lo, exec_lo, s2
	v_add_co_u32 v1, vcc_lo, v1, s20
	v_add_co_ci_u32_e32 v2, vcc_lo, 0, v2, vcc_lo
	v_add_co_u32 v3, vcc_lo, v3, s20
	v_add_co_ci_u32_e32 v4, vcc_lo, 0, v4, vcc_lo
	v_add_co_u32 v5, vcc_lo, v5, s20
	v_add_co_ci_u32_e32 v6, vcc_lo, 0, v6, vcc_lo
	v_add_co_u32 v7, vcc_lo, v7, s20
	v_add_co_ci_u32_e32 v8, vcc_lo, 0, v8, vcc_lo
	v_add_co_u32 v11, vcc_lo, v11, s20
	v_add_co_ci_u32_e32 v12, vcc_lo, 0, v12, vcc_lo
	s_add_u32 s16, s16, s19
	v_add_co_u32 v14, vcc_lo, v14, s20
	s_addc_u32 s17, s17, 0
	v_add_co_ci_u32_e32 v15, vcc_lo, 0, v15, vcc_lo
	v_cmp_lt_i64_e64 s2, s[16:17], s[10:11]
	v_cmp_gt_u64_e64 s3, 0x10000, s[16:17]
	v_add_co_u32 v19, vcc_lo, v19, s20
	v_add_co_ci_u32_e32 v20, vcc_lo, 0, v20, vcc_lo
	v_add_co_u32 v21, vcc_lo, v21, s20
	v_add_co_ci_u32_e32 v22, vcc_lo, 0, v22, vcc_lo
	s_and_b32 s2, s2, s3
	s_delay_alu instid0(SALU_CYCLE_1)
	s_and_b32 vcc_lo, exec_lo, s2
	s_cbranch_vccz .LBB23_20
.LBB23_4:                               ; =>This Inner Loop Header: Depth=1
	s_waitcnt vmcnt(0)
	v_add_co_u32 v23, s2, v0, s16
	s_delay_alu instid0(VALU_DEP_1) | instskip(NEXT) | instid1(VALU_DEP_1)
	v_add_co_ci_u32_e64 v24, null, 0, s17, s2
	v_cmp_gt_u64_e64 s2, s[14:15], v[23:24]
	v_mov_b32_e32 v24, 0
	s_delay_alu instid0(VALU_DEP_2)
	s_and_saveexec_b32 s3, s2
	s_cbranch_execz .LBB23_6
; %bb.5:                                ;   in Loop: Header=BB23_4 Depth=1
	v_add_co_u32 v23, vcc_lo, v1, s12
	v_add_co_ci_u32_e32 v24, vcc_lo, s13, v2, vcc_lo
	global_load_u16 v24, v[23:24], off
.LBB23_6:                               ;   in Loop: Header=BB23_4 Depth=1
	s_or_b32 exec_lo, exec_lo, s3
	v_add_co_u32 v25, vcc_lo, v13, s16
	v_add_co_ci_u32_e32 v26, vcc_lo, s17, v16, vcc_lo
	s_delay_alu instid0(VALU_DEP_1)
	v_cmp_gt_u64_e32 vcc_lo, s[14:15], v[25:26]
	v_mov_b32_e32 v25, 0
	s_and_saveexec_b32 s4, vcc_lo
	s_cbranch_execz .LBB23_8
; %bb.7:                                ;   in Loop: Header=BB23_4 Depth=1
	v_add_co_u32 v25, s3, v19, s12
	s_delay_alu instid0(VALU_DEP_1)
	v_add_co_ci_u32_e64 v26, s3, s13, v20, s3
	global_load_u16 v25, v[25:26], off
.LBB23_8:                               ;   in Loop: Header=BB23_4 Depth=1
	s_or_b32 exec_lo, exec_lo, s4
	v_add_co_u32 v26, s3, v17, s16
	s_delay_alu instid0(VALU_DEP_1) | instskip(SKIP_1) | instid1(VALU_DEP_2)
	v_add_co_ci_u32_e64 v27, s3, s17, v18, s3
	v_mov_b32_e32 v23, 0
	v_cmp_gt_u64_e64 s3, s[14:15], v[26:27]
	v_mov_b32_e32 v26, 0
	s_delay_alu instid0(VALU_DEP_2)
	s_and_saveexec_b32 s5, s3
	s_cbranch_execz .LBB23_10
; %bb.9:                                ;   in Loop: Header=BB23_4 Depth=1
	v_add_co_u32 v26, s4, v11, s12
	s_delay_alu instid0(VALU_DEP_1)
	v_add_co_ci_u32_e64 v27, s4, s13, v12, s4
	global_load_u16 v26, v[26:27], off
.LBB23_10:                              ;   in Loop: Header=BB23_4 Depth=1
	s_or_b32 exec_lo, exec_lo, s5
	v_add_co_u32 v27, s4, v9, s16
	s_delay_alu instid0(VALU_DEP_1) | instskip(NEXT) | instid1(VALU_DEP_1)
	v_add_co_ci_u32_e64 v28, s4, s17, v10, s4
	v_cmp_gt_u64_e64 s4, s[14:15], v[27:28]
	s_delay_alu instid0(VALU_DEP_1)
	s_and_saveexec_b32 s21, s4
	s_cbranch_execnz .LBB23_15
; %bb.11:                               ;   in Loop: Header=BB23_4 Depth=1
	s_or_b32 exec_lo, exec_lo, s21
	s_and_saveexec_b32 s5, s2
	s_cbranch_execnz .LBB23_16
.LBB23_12:                              ;   in Loop: Header=BB23_4 Depth=1
	s_or_b32 exec_lo, exec_lo, s5
	s_and_saveexec_b32 s2, vcc_lo
	s_cbranch_execnz .LBB23_17
.LBB23_13:                              ;   in Loop: Header=BB23_4 Depth=1
	s_or_b32 exec_lo, exec_lo, s2
	s_and_saveexec_b32 s2, s3
	s_cbranch_execnz .LBB23_18
.LBB23_14:                              ;   in Loop: Header=BB23_4 Depth=1
	s_or_b32 exec_lo, exec_lo, s2
	s_and_saveexec_b32 s2, s4
	s_cbranch_execz .LBB23_3
	s_branch .LBB23_19
.LBB23_15:                              ;   in Loop: Header=BB23_4 Depth=1
	v_add_co_u32 v27, s5, v5, s12
	s_delay_alu instid0(VALU_DEP_1)
	v_add_co_ci_u32_e64 v28, s5, s13, v6, s5
	global_load_u16 v23, v[27:28], off
	s_or_b32 exec_lo, exec_lo, s21
	s_and_saveexec_b32 s5, s2
	s_cbranch_execz .LBB23_12
.LBB23_16:                              ;   in Loop: Header=BB23_4 Depth=1
	s_waitcnt vmcnt(0)
	v_lshlrev_b32_e32 v24, 16, v24
	s_delay_alu instid0(VALU_DEP_1) | instskip(NEXT) | instid1(VALU_DEP_1)
	v_add_f32_e32 v24, s18, v24
	v_bfe_u32 v27, v24, 16, 1
	s_delay_alu instid0(VALU_DEP_1) | instskip(NEXT) | instid1(VALU_DEP_1)
	v_add3_u32 v27, v24, v27, 0x7fff
	v_lshrrev_b32_e32 v29, 16, v27
	v_add_co_u32 v27, s2, v3, s12
	s_delay_alu instid0(VALU_DEP_1) | instskip(SKIP_1) | instid1(VALU_DEP_1)
	v_add_co_ci_u32_e64 v28, s2, s13, v4, s2
	v_cmp_o_f32_e64 s2, v24, v24
	v_cndmask_b32_e64 v24, 0x7fc0, v29, s2
	global_store_b16 v[27:28], v24, off
	s_or_b32 exec_lo, exec_lo, s5
	s_and_saveexec_b32 s2, vcc_lo
	s_cbranch_execz .LBB23_13
.LBB23_17:                              ;   in Loop: Header=BB23_4 Depth=1
	s_waitcnt vmcnt(0)
	v_lshlrev_b32_e32 v24, 16, v25
	s_delay_alu instid0(VALU_DEP_1) | instskip(NEXT) | instid1(VALU_DEP_1)
	v_add_f32_e32 v24, s18, v24
	v_bfe_u32 v25, v24, 16, 1
	v_cmp_o_f32_e32 vcc_lo, v24, v24
	s_delay_alu instid0(VALU_DEP_2) | instskip(NEXT) | instid1(VALU_DEP_1)
	v_add3_u32 v25, v24, v25, 0x7fff
	v_lshrrev_b32_e32 v25, 16, v25
	s_delay_alu instid0(VALU_DEP_1)
	v_cndmask_b32_e32 v27, 0x7fc0, v25, vcc_lo
	v_add_co_u32 v24, vcc_lo, v21, s12
	v_add_co_ci_u32_e32 v25, vcc_lo, s13, v22, vcc_lo
	global_store_b16 v[24:25], v27, off
	s_or_b32 exec_lo, exec_lo, s2
	s_and_saveexec_b32 s2, s3
	s_cbranch_execz .LBB23_14
.LBB23_18:                              ;   in Loop: Header=BB23_4 Depth=1
	s_waitcnt vmcnt(0)
	v_lshlrev_b32_e32 v24, 16, v26
	s_delay_alu instid0(VALU_DEP_1) | instskip(NEXT) | instid1(VALU_DEP_1)
	v_add_f32_e32 v24, s18, v24
	v_bfe_u32 v25, v24, 16, 1
	v_cmp_o_f32_e32 vcc_lo, v24, v24
	s_delay_alu instid0(VALU_DEP_2) | instskip(NEXT) | instid1(VALU_DEP_1)
	v_add3_u32 v25, v24, v25, 0x7fff
	v_lshrrev_b32_e32 v25, 16, v25
	s_delay_alu instid0(VALU_DEP_1)
	v_cndmask_b32_e32 v26, 0x7fc0, v25, vcc_lo
	v_add_co_u32 v24, vcc_lo, v14, s12
	v_add_co_ci_u32_e32 v25, vcc_lo, s13, v15, vcc_lo
	global_store_b16 v[24:25], v26, off
	s_or_b32 exec_lo, exec_lo, s2
	s_and_saveexec_b32 s2, s4
	s_cbranch_execz .LBB23_3
.LBB23_19:                              ;   in Loop: Header=BB23_4 Depth=1
	s_waitcnt vmcnt(0)
	v_lshlrev_b32_e32 v23, 16, v23
	s_delay_alu instid0(VALU_DEP_1) | instskip(NEXT) | instid1(VALU_DEP_1)
	v_add_f32_e32 v23, s18, v23
	v_bfe_u32 v24, v23, 16, 1
	v_cmp_o_f32_e32 vcc_lo, v23, v23
	s_delay_alu instid0(VALU_DEP_2) | instskip(NEXT) | instid1(VALU_DEP_1)
	v_add3_u32 v24, v23, v24, 0x7fff
	v_lshrrev_b32_e32 v24, 16, v24
	s_delay_alu instid0(VALU_DEP_1)
	v_cndmask_b32_e32 v25, 0x7fc0, v24, vcc_lo
	v_add_co_u32 v23, vcc_lo, v7, s12
	v_add_co_ci_u32_e32 v24, vcc_lo, s13, v8, vcc_lo
	global_store_b16 v[23:24], v25, off
	s_branch .LBB23_3
.LBB23_20:
	s_mov_b32 s2, 0
.LBB23_21:
	s_delay_alu instid0(SALU_CYCLE_1)
	s_and_not1_b32 vcc_lo, exec_lo, s2
	s_cbranch_vccnz .LBB23_25
; %bb.22:
	v_dual_mov_b32 v2, 0 :: v_dual_lshlrev_b32 v1, 2, v0
	s_mov_b32 s4, 0
	s_mov_b32 s2, exec_lo
	s_delay_alu instid0(VALU_DEP_1)
	v_cmpx_gt_i64_e64 s[10:11], v[1:2]
	s_cbranch_execz .LBB23_25
; %bb.23:
	s_load_b32 s0, s[0:1], 0xd54
	v_lshlrev_b32_e32 v1, 3, v0
	s_delay_alu instid0(VALU_DEP_1) | instskip(NEXT) | instid1(VALU_DEP_1)
	v_add_co_u32 v3, s1, s12, v1
	v_add_co_ci_u32_e64 v4, null, s13, 0, s1
	s_waitcnt lgkmcnt(0)
	s_and_b32 s0, s0, 0xffff
	s_delay_alu instid0(SALU_CYCLE_1)
	v_add_lshl_u32 v1, v0, s0, 2
	s_lshl_b32 s5, s0, 3
	s_lshl_b32 s12, s0, 2
.LBB23_24:                              ; =>This Inner Loop Header: Depth=1
	v_add_co_u32 v5, vcc_lo, s6, v3
	v_add_co_ci_u32_e32 v6, vcc_lo, s7, v4, vcc_lo
	v_add_co_u32 v7, vcc_lo, s8, v3
	v_add_co_ci_u32_e32 v8, vcc_lo, s9, v4, vcc_lo
	global_load_b64 v[5:6], v[5:6], off
	v_cmp_le_i64_e32 vcc_lo, s[10:11], v[1:2]
	v_cmp_lt_u64_e64 s0, 0xffff, v[1:2]
	v_add_co_u32 v3, s1, v3, s5
	s_delay_alu instid0(VALU_DEP_1) | instskip(SKIP_1) | instid1(VALU_DEP_4)
	v_add_co_ci_u32_e64 v4, s1, 0, v4, s1
	v_add_co_u32 v1, s1, v1, s12
	s_or_b32 s0, vcc_lo, s0
	v_add_co_ci_u32_e64 v2, s1, 0, v2, s1
	s_and_b32 s0, exec_lo, s0
	s_delay_alu instid0(SALU_CYCLE_1) | instskip(SKIP_3) | instid1(VALU_DEP_2)
	s_or_b32 s4, s0, s4
	s_waitcnt vmcnt(0)
	v_lshlrev_b32_e32 v0, 16, v5
	v_alignbit_b32 v9, v6, v5, 16
	v_dual_add_f32 v0, s18, v0 :: v_dual_and_b32 v5, 0xffff0000, v5
	s_delay_alu instid0(VALU_DEP_1) | instskip(NEXT) | instid1(VALU_DEP_3)
	v_dual_add_f32 v5, s18, v5 :: v_dual_and_b32 v6, 0xffff0000, v6
	v_and_b32_e32 v9, 0xffff0000, v9
	s_delay_alu instid0(VALU_DEP_3) | instskip(NEXT) | instid1(VALU_DEP_3)
	v_bfe_u32 v10, v0, 16, 1
	v_add_f32_e32 v6, s18, v6
	s_delay_alu instid0(VALU_DEP_4)
	v_bfe_u32 v11, v5, 16, 1
	v_cmp_o_f32_e64 s2, v0, v0
	v_cmp_o_f32_e64 s3, v5, v5
	v_add3_u32 v10, v0, v10, 0x7fff
	v_bfe_u32 v12, v6, 16, 1
	v_add3_u32 v11, v5, v11, 0x7fff
	s_delay_alu instid0(VALU_DEP_3) | instskip(NEXT) | instid1(VALU_DEP_3)
	v_lshrrev_b32_e32 v10, 16, v10
	v_add3_u32 v12, v6, v12, 0x7fff
	v_add_f32_e32 v9, s18, v9
	s_delay_alu instid0(VALU_DEP_4) | instskip(NEXT) | instid1(VALU_DEP_4)
	v_and_b32_e32 v11, 0xffff0000, v11
	v_cndmask_b32_e64 v10, 0x7fc0, v10, s2
	s_delay_alu instid0(VALU_DEP_4) | instskip(NEXT) | instid1(VALU_DEP_4)
	v_and_b32_e32 v12, 0xffff0000, v12
	v_bfe_u32 v13, v9, 16, 1
	v_cmp_o_f32_e64 s2, v6, v6
	v_cndmask_b32_e64 v5, 0x7fc00000, v11, s3
	s_delay_alu instid0(VALU_DEP_3) | instskip(NEXT) | instid1(VALU_DEP_3)
	v_add3_u32 v13, v9, v13, 0x7fff
	v_cndmask_b32_e64 v6, 0x7fc00000, v12, s2
	v_cmp_o_f32_e64 s2, v9, v9
	s_delay_alu instid0(VALU_DEP_4) | instskip(NEXT) | instid1(VALU_DEP_4)
	v_or_b32_e32 v5, v10, v5
	v_lshrrev_b32_e32 v0, 16, v13
	s_delay_alu instid0(VALU_DEP_2) | instskip(NEXT) | instid1(VALU_DEP_2)
	v_or3_b32 v5, v5, 0, 0
	v_cndmask_b32_e64 v0, 0x7fc0, v0, s2
	s_delay_alu instid0(VALU_DEP_1)
	v_or3_b32 v6, 0, v0, v6
	global_store_b64 v[7:8], v[5:6], off
	s_and_not1_b32 exec_lo, exec_lo, s4
	s_cbranch_execnz .LBB23_24
.LBB23_25:
	s_nop 0
	s_sendmsg sendmsg(MSG_DEALLOC_VGPRS)
	s_endpgm
	.section	.rodata,"a",@progbits
	.p2align	6, 0x0
	.amdhsa_kernel _ZN2at6native12_GLOBAL__N_125multi_tensor_apply_kernelINS1_28TensorListScalarListMetadataIfLi2EEENS1_25BinaryOpScalarListFunctorIN3c108BFloat16ELi2ELi1ELi1EEEJSt4plusIfEEEEvT_T0_DpT1_
		.amdhsa_group_segment_fixed_size 0
		.amdhsa_private_segment_fixed_size 0
		.amdhsa_kernarg_size 3656
		.amdhsa_user_sgpr_count 15
		.amdhsa_user_sgpr_dispatch_ptr 0
		.amdhsa_user_sgpr_queue_ptr 0
		.amdhsa_user_sgpr_kernarg_segment_ptr 1
		.amdhsa_user_sgpr_dispatch_id 0
		.amdhsa_user_sgpr_private_segment_size 0
		.amdhsa_wavefront_size32 1
		.amdhsa_uses_dynamic_stack 0
		.amdhsa_enable_private_segment 0
		.amdhsa_system_sgpr_workgroup_id_x 1
		.amdhsa_system_sgpr_workgroup_id_y 0
		.amdhsa_system_sgpr_workgroup_id_z 0
		.amdhsa_system_sgpr_workgroup_info 0
		.amdhsa_system_vgpr_workitem_id 0
		.amdhsa_next_free_vgpr 30
		.amdhsa_next_free_sgpr 22
		.amdhsa_reserve_vcc 1
		.amdhsa_float_round_mode_32 0
		.amdhsa_float_round_mode_16_64 0
		.amdhsa_float_denorm_mode_32 3
		.amdhsa_float_denorm_mode_16_64 3
		.amdhsa_dx10_clamp 1
		.amdhsa_ieee_mode 1
		.amdhsa_fp16_overflow 0
		.amdhsa_workgroup_processor_mode 1
		.amdhsa_memory_ordered 1
		.amdhsa_forward_progress 0
		.amdhsa_shared_vgpr_count 0
		.amdhsa_exception_fp_ieee_invalid_op 0
		.amdhsa_exception_fp_denorm_src 0
		.amdhsa_exception_fp_ieee_div_zero 0
		.amdhsa_exception_fp_ieee_overflow 0
		.amdhsa_exception_fp_ieee_underflow 0
		.amdhsa_exception_fp_ieee_inexact 0
		.amdhsa_exception_int_div_zero 0
	.end_amdhsa_kernel
	.section	.text._ZN2at6native12_GLOBAL__N_125multi_tensor_apply_kernelINS1_28TensorListScalarListMetadataIfLi2EEENS1_25BinaryOpScalarListFunctorIN3c108BFloat16ELi2ELi1ELi1EEEJSt4plusIfEEEEvT_T0_DpT1_,"axG",@progbits,_ZN2at6native12_GLOBAL__N_125multi_tensor_apply_kernelINS1_28TensorListScalarListMetadataIfLi2EEENS1_25BinaryOpScalarListFunctorIN3c108BFloat16ELi2ELi1ELi1EEEJSt4plusIfEEEEvT_T0_DpT1_,comdat
.Lfunc_end23:
	.size	_ZN2at6native12_GLOBAL__N_125multi_tensor_apply_kernelINS1_28TensorListScalarListMetadataIfLi2EEENS1_25BinaryOpScalarListFunctorIN3c108BFloat16ELi2ELi1ELi1EEEJSt4plusIfEEEEvT_T0_DpT1_, .Lfunc_end23-_ZN2at6native12_GLOBAL__N_125multi_tensor_apply_kernelINS1_28TensorListScalarListMetadataIfLi2EEENS1_25BinaryOpScalarListFunctorIN3c108BFloat16ELi2ELi1ELi1EEEJSt4plusIfEEEEvT_T0_DpT1_
                                        ; -- End function
	.section	.AMDGPU.csdata,"",@progbits
; Kernel info:
; codeLenInByte = 1908
; NumSgprs: 24
; NumVgprs: 30
; ScratchSize: 0
; MemoryBound: 0
; FloatMode: 240
; IeeeMode: 1
; LDSByteSize: 0 bytes/workgroup (compile time only)
; SGPRBlocks: 2
; VGPRBlocks: 3
; NumSGPRsForWavesPerEU: 24
; NumVGPRsForWavesPerEU: 30
; Occupancy: 16
; WaveLimiterHint : 0
; COMPUTE_PGM_RSRC2:SCRATCH_EN: 0
; COMPUTE_PGM_RSRC2:USER_SGPR: 15
; COMPUTE_PGM_RSRC2:TRAP_HANDLER: 0
; COMPUTE_PGM_RSRC2:TGID_X_EN: 1
; COMPUTE_PGM_RSRC2:TGID_Y_EN: 0
; COMPUTE_PGM_RSRC2:TGID_Z_EN: 0
; COMPUTE_PGM_RSRC2:TIDIG_COMP_CNT: 0
	.section	.text._ZN2at6native12_GLOBAL__N_125multi_tensor_apply_kernelINS1_28TensorListScalarListMetadataIhLi1EEENS1_25BinaryOpScalarListFunctorIhLi1ELi1ELi0EEEJSt10multipliesIhEEEEvT_T0_DpT1_,"axG",@progbits,_ZN2at6native12_GLOBAL__N_125multi_tensor_apply_kernelINS1_28TensorListScalarListMetadataIhLi1EEENS1_25BinaryOpScalarListFunctorIhLi1ELi1ELi0EEEJSt10multipliesIhEEEEvT_T0_DpT1_,comdat
	.globl	_ZN2at6native12_GLOBAL__N_125multi_tensor_apply_kernelINS1_28TensorListScalarListMetadataIhLi1EEENS1_25BinaryOpScalarListFunctorIhLi1ELi1ELi0EEEJSt10multipliesIhEEEEvT_T0_DpT1_ ; -- Begin function _ZN2at6native12_GLOBAL__N_125multi_tensor_apply_kernelINS1_28TensorListScalarListMetadataIhLi1EEENS1_25BinaryOpScalarListFunctorIhLi1ELi1ELi0EEEJSt10multipliesIhEEEEvT_T0_DpT1_
	.p2align	8
	.type	_ZN2at6native12_GLOBAL__N_125multi_tensor_apply_kernelINS1_28TensorListScalarListMetadataIhLi1EEENS1_25BinaryOpScalarListFunctorIhLi1ELi1ELi0EEEJSt10multipliesIhEEEEvT_T0_DpT1_,@function
_ZN2at6native12_GLOBAL__N_125multi_tensor_apply_kernelINS1_28TensorListScalarListMetadataIhLi1EEENS1_25BinaryOpScalarListFunctorIhLi1ELi1ELi0EEEJSt10multipliesIhEEEEvT_T0_DpT1_: ; @_ZN2at6native12_GLOBAL__N_125multi_tensor_apply_kernelINS1_28TensorListScalarListMetadataIhLi1EEENS1_25BinaryOpScalarListFunctorIhLi1ELi1ELi0EEEJSt10multipliesIhEEEEvT_T0_DpT1_
; %bb.0:
	v_mov_b32_e32 v1, s15
	s_mul_i32 s4, s15, 3
	s_mul_hi_u32 s5, s15, 3
	global_load_u8 v3, v1, s[0:1] offset:1632
	s_waitcnt vmcnt(0)
	v_add_co_u32 v1, s2, s0, v3
	s_delay_alu instid0(VALU_DEP_1)
	v_add_co_ci_u32_e64 v2, null, s1, 0, s2
	s_add_u32 s2, s0, s15
	s_addc_u32 s3, s1, 0
	s_add_u32 s2, s2, s4
	global_load_u8 v2, v[1:2], off offset:1536
	v_readfirstlane_b32 s6, v3
	s_addc_u32 s3, s3, s5
	s_load_b32 s4, s[2:3], 0x7a0
	s_delay_alu instid0(VALU_DEP_1)
	s_lshl_b32 s5, s6, 3
	s_clause 0x1
	s_load_b64 s[2:3], s[0:1], s5 offset:0x0
	s_load_b64 s[8:9], s[0:1], s5 offset:0x300
	s_waitcnt lgkmcnt(0)
	s_ashr_i32 s5, s4, 31
	s_delay_alu instid0(SALU_CYCLE_1) | instskip(NEXT) | instid1(SALU_CYCLE_1)
	s_lshl_b64 s[4:5], s[4:5], 16
	s_add_u32 s12, s2, s4
	s_addc_u32 s13, s3, s5
	s_sub_u32 s6, s8, s4
	s_subb_u32 s7, s9, s5
	s_or_b32 s8, s8, s12
	s_delay_alu instid0(SALU_CYCLE_1) | instskip(NEXT) | instid1(SALU_CYCLE_1)
	s_and_b32 s8, s8, 3
	s_cmp_eq_u32 s8, 0
	s_cbranch_scc1 .LBB24_21
; %bb.1:
	v_cmp_lt_i64_e64 s8, s[6:7], 1
	s_delay_alu instid0(VALU_DEP_1)
	s_and_b32 vcc_lo, exec_lo, s8
	s_cbranch_vccnz .LBB24_20
; %bb.2:
	s_load_b32 s8, s[0:1], 0xcb4
	v_add_co_u32 v12, s9, s4, v0
	s_delay_alu instid0(VALU_DEP_1) | instskip(SKIP_1) | instid1(VALU_DEP_3)
	v_add_co_ci_u32_e64 v13, null, s5, 0, s9
	v_cmp_gt_u64_e64 s9, 0x10000, s[6:7]
	v_add_co_u32 v1, vcc_lo, s2, v12
	s_delay_alu instid0(VALU_DEP_3) | instskip(SKIP_2) | instid1(VALU_DEP_3)
	v_add_co_ci_u32_e32 v3, vcc_lo, s3, v13, vcc_lo
	s_waitcnt lgkmcnt(0)
	s_and_b32 s10, s8, 0xffff
	s_and_b32 s8, s9, exec_lo
	s_mul_i32 s15, s10, 3
	s_cselect_b32 s9, s7, 0
	s_cselect_b32 s8, s6, 0x10000
	s_lshl_b32 s11, s10, 1
	s_lshl_b32 s14, s10, 2
	s_add_u32 s16, s4, s15
	v_add_co_u32 v4, s15, s15, v0
	s_delay_alu instid0(VALU_DEP_1)
	v_add_co_ci_u32_e64 v5, null, 0, 0, s15
	s_addc_u32 s15, s5, 0
	s_add_u32 s16, s2, s16
	s_addc_u32 s15, s3, s15
	s_add_u32 s4, s4, s11
	;; [unrolled: 2-line block ×3, first 2 shown]
	s_addc_u32 s5, s3, s5
	v_add_co_u32 v8, s4, s4, v0
	s_add_u32 s2, s2, s10
	v_add_co_u32 v6, s16, s16, v0
	v_add_co_ci_u32_e64 v9, null, s5, 0, s4
	v_add_co_u32 v10, s4, s11, v0
	s_addc_u32 s3, s3, 0
	v_add_co_u32 v12, vcc_lo, s2, v12
	v_add_co_u32 v14, s2, v0, s10
	v_add_co_ci_u32_e64 v7, null, s15, 0, s16
	v_add_co_ci_u32_e64 v11, null, 0, 0, s4
	v_add_co_ci_u32_e32 v13, vcc_lo, s3, v13, vcc_lo
	v_add_co_ci_u32_e64 v15, null, 0, 0, s2
	s_mov_b64 s[10:11], 0
	s_branch .LBB24_4
.LBB24_3:                               ;   in Loop: Header=BB24_4 Depth=1
	s_or_b32 exec_lo, exec_lo, s2
	s_add_u32 s10, s10, s14
	s_addc_u32 s11, s11, 0
	s_delay_alu instid0(SALU_CYCLE_1) | instskip(SKIP_1) | instid1(VALU_DEP_1)
	v_cmp_lt_i64_e64 s2, s[10:11], s[6:7]
	v_cmp_gt_u64_e64 s3, 0x10000, s[10:11]
	s_and_b32 s2, s2, s3
	s_delay_alu instid0(SALU_CYCLE_1)
	s_and_b32 vcc_lo, exec_lo, s2
	s_cbranch_vccz .LBB24_20
.LBB24_4:                               ; =>This Inner Loop Header: Depth=1
	s_waitcnt vmcnt(0)
	v_add_co_u32 v16, s2, v0, s10
	s_delay_alu instid0(VALU_DEP_1) | instskip(NEXT) | instid1(VALU_DEP_1)
	v_add_co_ci_u32_e64 v17, null, 0, s11, s2
	v_cmp_gt_u64_e32 vcc_lo, s[8:9], v[16:17]
	v_mov_b32_e32 v16, 0
	s_and_saveexec_b32 s3, vcc_lo
	s_cbranch_execz .LBB24_6
; %bb.5:                                ;   in Loop: Header=BB24_4 Depth=1
	v_add_co_u32 v16, s2, v1, s10
	s_delay_alu instid0(VALU_DEP_1)
	v_add_co_ci_u32_e64 v17, s2, s11, v3, s2
	global_load_u8 v16, v[16:17], off
.LBB24_6:                               ;   in Loop: Header=BB24_4 Depth=1
	s_or_b32 exec_lo, exec_lo, s3
	v_add_co_u32 v17, s2, v14, s10
	s_delay_alu instid0(VALU_DEP_1) | instskip(NEXT) | instid1(VALU_DEP_1)
	v_add_co_ci_u32_e64 v18, s2, s11, v15, s2
	v_cmp_gt_u64_e64 s2, s[8:9], v[17:18]
	v_mov_b32_e32 v18, 0
	s_delay_alu instid0(VALU_DEP_2)
	s_and_saveexec_b32 s4, s2
	s_cbranch_execz .LBB24_8
; %bb.7:                                ;   in Loop: Header=BB24_4 Depth=1
	v_add_co_u32 v17, s3, v12, s10
	s_delay_alu instid0(VALU_DEP_1)
	v_add_co_ci_u32_e64 v18, s3, s11, v13, s3
	global_load_u8 v18, v[17:18], off
.LBB24_8:                               ;   in Loop: Header=BB24_4 Depth=1
	s_or_b32 exec_lo, exec_lo, s4
	v_add_co_u32 v19, s3, v10, s10
	s_delay_alu instid0(VALU_DEP_1) | instskip(SKIP_1) | instid1(VALU_DEP_2)
	v_add_co_ci_u32_e64 v20, s3, s11, v11, s3
	v_mov_b32_e32 v17, 0
	v_cmp_gt_u64_e64 s3, s[8:9], v[19:20]
	v_mov_b32_e32 v19, 0
	s_delay_alu instid0(VALU_DEP_2)
	s_and_saveexec_b32 s5, s3
	s_cbranch_execz .LBB24_10
; %bb.9:                                ;   in Loop: Header=BB24_4 Depth=1
	v_add_co_u32 v19, s4, v8, s10
	s_delay_alu instid0(VALU_DEP_1)
	v_add_co_ci_u32_e64 v20, s4, s11, v9, s4
	global_load_u8 v19, v[19:20], off
.LBB24_10:                              ;   in Loop: Header=BB24_4 Depth=1
	s_or_b32 exec_lo, exec_lo, s5
	v_add_co_u32 v20, s4, v4, s10
	s_delay_alu instid0(VALU_DEP_1) | instskip(NEXT) | instid1(VALU_DEP_1)
	v_add_co_ci_u32_e64 v21, s4, s11, v5, s4
	v_cmp_gt_u64_e64 s4, s[8:9], v[20:21]
	s_delay_alu instid0(VALU_DEP_1)
	s_and_saveexec_b32 s15, s4
	s_cbranch_execnz .LBB24_15
; %bb.11:                               ;   in Loop: Header=BB24_4 Depth=1
	s_or_b32 exec_lo, exec_lo, s15
	s_and_saveexec_b32 s5, vcc_lo
	s_cbranch_execnz .LBB24_16
.LBB24_12:                              ;   in Loop: Header=BB24_4 Depth=1
	s_or_b32 exec_lo, exec_lo, s5
	s_and_saveexec_b32 s5, s2
	s_cbranch_execnz .LBB24_17
.LBB24_13:                              ;   in Loop: Header=BB24_4 Depth=1
	s_or_b32 exec_lo, exec_lo, s5
	s_and_saveexec_b32 s2, s3
	s_cbranch_execnz .LBB24_18
.LBB24_14:                              ;   in Loop: Header=BB24_4 Depth=1
	s_or_b32 exec_lo, exec_lo, s2
	s_and_saveexec_b32 s2, s4
	s_cbranch_execz .LBB24_3
	s_branch .LBB24_19
.LBB24_15:                              ;   in Loop: Header=BB24_4 Depth=1
	v_add_co_u32 v20, s5, v6, s10
	s_delay_alu instid0(VALU_DEP_1)
	v_add_co_ci_u32_e64 v21, s5, s11, v7, s5
	global_load_u8 v17, v[20:21], off
	s_or_b32 exec_lo, exec_lo, s15
	s_and_saveexec_b32 s5, vcc_lo
	s_cbranch_execz .LBB24_12
.LBB24_16:                              ;   in Loop: Header=BB24_4 Depth=1
	v_add_co_u32 v20, vcc_lo, v1, s10
	s_waitcnt vmcnt(0)
	v_mul_lo_u16 v16, v16, v2
	v_add_co_ci_u32_e32 v21, vcc_lo, s11, v3, vcc_lo
	global_store_b8 v[20:21], v16, off
	s_or_b32 exec_lo, exec_lo, s5
	s_and_saveexec_b32 s5, s2
	s_cbranch_execz .LBB24_13
.LBB24_17:                              ;   in Loop: Header=BB24_4 Depth=1
	v_add_co_u32 v20, vcc_lo, v12, s10
	s_waitcnt vmcnt(0)
	v_mul_lo_u16 v16, v18, v2
	v_add_co_ci_u32_e32 v21, vcc_lo, s11, v13, vcc_lo
	global_store_b8 v[20:21], v16, off
	s_or_b32 exec_lo, exec_lo, s5
	s_and_saveexec_b32 s2, s3
	s_cbranch_execz .LBB24_14
.LBB24_18:                              ;   in Loop: Header=BB24_4 Depth=1
	s_waitcnt vmcnt(0)
	v_add_co_u32 v18, vcc_lo, v8, s10
	v_mul_lo_u16 v16, v19, v2
	v_add_co_ci_u32_e32 v19, vcc_lo, s11, v9, vcc_lo
	global_store_b8 v[18:19], v16, off
	s_or_b32 exec_lo, exec_lo, s2
	s_and_saveexec_b32 s2, s4
	s_cbranch_execz .LBB24_3
.LBB24_19:                              ;   in Loop: Header=BB24_4 Depth=1
	s_waitcnt vmcnt(0)
	v_add_co_u32 v16, vcc_lo, v6, s10
	v_mul_lo_u16 v18, v17, v2
	v_add_co_ci_u32_e32 v17, vcc_lo, s11, v7, vcc_lo
	global_store_b8 v[16:17], v18, off
	s_branch .LBB24_3
.LBB24_20:
	s_cbranch_execz .LBB24_22
	s_branch .LBB24_25
.LBB24_21:
.LBB24_22:
	v_dual_mov_b32 v1, 0 :: v_dual_lshlrev_b32 v0, 2, v0
	s_mov_b32 s2, exec_lo
	s_delay_alu instid0(VALU_DEP_1)
	v_cmpx_gt_i64_e64 s[6:7], v[0:1]
	s_cbranch_execz .LBB24_25
; %bb.23:
	s_load_b32 s0, s[0:1], 0xcb4
	s_mov_b32 s2, 0
	s_waitcnt lgkmcnt(0)
	s_and_b32 s0, s0, 0xffff
	s_delay_alu instid0(SALU_CYCLE_1)
	s_lshl_b32 s1, s0, 2
	s_set_inst_prefetch_distance 0x1
	.p2align	6
.LBB24_24:                              ; =>This Inner Loop Header: Depth=1
	v_add_co_u32 v3, vcc_lo, s12, v0
	v_add_co_ci_u32_e32 v4, vcc_lo, s13, v1, vcc_lo
	v_add_co_u32 v0, vcc_lo, s1, v0
	v_add_co_ci_u32_e32 v1, vcc_lo, 0, v1, vcc_lo
	global_load_b32 v5, v[3:4], off
	v_cmp_le_i64_e32 vcc_lo, s[6:7], v[0:1]
	v_cmp_lt_u64_e64 s0, 0xffff, v[0:1]
	s_delay_alu instid0(VALU_DEP_1) | instskip(NEXT) | instid1(SALU_CYCLE_1)
	s_or_b32 s0, vcc_lo, s0
	s_and_b32 s0, exec_lo, s0
	s_delay_alu instid0(SALU_CYCLE_1)
	s_or_b32 s2, s0, s2
	s_waitcnt vmcnt(0)
	v_lshrrev_b32_e32 v6, 16, v5
	v_lshrrev_b32_e32 v7, 8, v5
	;; [unrolled: 1-line block ×3, first 2 shown]
	v_mul_lo_u16 v5, v2, v5
	s_delay_alu instid0(VALU_DEP_4) | instskip(NEXT) | instid1(VALU_DEP_4)
	v_mul_lo_u16 v6, v2, v6
	v_mul_lo_u16 v7, v2, v7
	s_delay_alu instid0(VALU_DEP_4) | instskip(NEXT) | instid1(VALU_DEP_4)
	v_mul_lo_u16 v8, v2, v8
	v_and_b32_e32 v5, 0xff, v5
	s_delay_alu instid0(VALU_DEP_4) | instskip(NEXT) | instid1(VALU_DEP_4)
	v_and_b32_e32 v6, 0xff, v6
	v_and_b32_e32 v7, 0xff, v7
	s_delay_alu instid0(VALU_DEP_2) | instskip(NEXT) | instid1(VALU_DEP_2)
	v_lshlrev_b32_e32 v6, 16, v6
	v_lshlrev_b32_e32 v7, 8, v7
	s_delay_alu instid0(VALU_DEP_2) | instskip(NEXT) | instid1(VALU_DEP_1)
	v_lshl_or_b32 v6, v8, 24, v6
	v_or3_b32 v5, v6, v7, v5
	global_store_b32 v[3:4], v5, off
	s_and_not1_b32 exec_lo, exec_lo, s2
	s_cbranch_execnz .LBB24_24
.LBB24_25:
	s_set_inst_prefetch_distance 0x2
	s_nop 0
	s_sendmsg sendmsg(MSG_DEALLOC_VGPRS)
	s_endpgm
	.section	.rodata,"a",@progbits
	.p2align	6, 0x0
	.amdhsa_kernel _ZN2at6native12_GLOBAL__N_125multi_tensor_apply_kernelINS1_28TensorListScalarListMetadataIhLi1EEENS1_25BinaryOpScalarListFunctorIhLi1ELi1ELi0EEEJSt10multipliesIhEEEEvT_T0_DpT1_
		.amdhsa_group_segment_fixed_size 0
		.amdhsa_private_segment_fixed_size 0
		.amdhsa_kernarg_size 3496
		.amdhsa_user_sgpr_count 15
		.amdhsa_user_sgpr_dispatch_ptr 0
		.amdhsa_user_sgpr_queue_ptr 0
		.amdhsa_user_sgpr_kernarg_segment_ptr 1
		.amdhsa_user_sgpr_dispatch_id 0
		.amdhsa_user_sgpr_private_segment_size 0
		.amdhsa_wavefront_size32 1
		.amdhsa_uses_dynamic_stack 0
		.amdhsa_enable_private_segment 0
		.amdhsa_system_sgpr_workgroup_id_x 1
		.amdhsa_system_sgpr_workgroup_id_y 0
		.amdhsa_system_sgpr_workgroup_id_z 0
		.amdhsa_system_sgpr_workgroup_info 0
		.amdhsa_system_vgpr_workitem_id 0
		.amdhsa_next_free_vgpr 22
		.amdhsa_next_free_sgpr 17
		.amdhsa_reserve_vcc 1
		.amdhsa_float_round_mode_32 0
		.amdhsa_float_round_mode_16_64 0
		.amdhsa_float_denorm_mode_32 3
		.amdhsa_float_denorm_mode_16_64 3
		.amdhsa_dx10_clamp 1
		.amdhsa_ieee_mode 1
		.amdhsa_fp16_overflow 0
		.amdhsa_workgroup_processor_mode 1
		.amdhsa_memory_ordered 1
		.amdhsa_forward_progress 0
		.amdhsa_shared_vgpr_count 0
		.amdhsa_exception_fp_ieee_invalid_op 0
		.amdhsa_exception_fp_denorm_src 0
		.amdhsa_exception_fp_ieee_div_zero 0
		.amdhsa_exception_fp_ieee_overflow 0
		.amdhsa_exception_fp_ieee_underflow 0
		.amdhsa_exception_fp_ieee_inexact 0
		.amdhsa_exception_int_div_zero 0
	.end_amdhsa_kernel
	.section	.text._ZN2at6native12_GLOBAL__N_125multi_tensor_apply_kernelINS1_28TensorListScalarListMetadataIhLi1EEENS1_25BinaryOpScalarListFunctorIhLi1ELi1ELi0EEEJSt10multipliesIhEEEEvT_T0_DpT1_,"axG",@progbits,_ZN2at6native12_GLOBAL__N_125multi_tensor_apply_kernelINS1_28TensorListScalarListMetadataIhLi1EEENS1_25BinaryOpScalarListFunctorIhLi1ELi1ELi0EEEJSt10multipliesIhEEEEvT_T0_DpT1_,comdat
.Lfunc_end24:
	.size	_ZN2at6native12_GLOBAL__N_125multi_tensor_apply_kernelINS1_28TensorListScalarListMetadataIhLi1EEENS1_25BinaryOpScalarListFunctorIhLi1ELi1ELi0EEEJSt10multipliesIhEEEEvT_T0_DpT1_, .Lfunc_end24-_ZN2at6native12_GLOBAL__N_125multi_tensor_apply_kernelINS1_28TensorListScalarListMetadataIhLi1EEENS1_25BinaryOpScalarListFunctorIhLi1ELi1ELi0EEEJSt10multipliesIhEEEEvT_T0_DpT1_
                                        ; -- End function
	.section	.AMDGPU.csdata,"",@progbits
; Kernel info:
; codeLenInByte = 1288
; NumSgprs: 19
; NumVgprs: 22
; ScratchSize: 0
; MemoryBound: 0
; FloatMode: 240
; IeeeMode: 1
; LDSByteSize: 0 bytes/workgroup (compile time only)
; SGPRBlocks: 2
; VGPRBlocks: 2
; NumSGPRsForWavesPerEU: 19
; NumVGPRsForWavesPerEU: 22
; Occupancy: 16
; WaveLimiterHint : 0
; COMPUTE_PGM_RSRC2:SCRATCH_EN: 0
; COMPUTE_PGM_RSRC2:USER_SGPR: 15
; COMPUTE_PGM_RSRC2:TRAP_HANDLER: 0
; COMPUTE_PGM_RSRC2:TGID_X_EN: 1
; COMPUTE_PGM_RSRC2:TGID_Y_EN: 0
; COMPUTE_PGM_RSRC2:TGID_Z_EN: 0
; COMPUTE_PGM_RSRC2:TIDIG_COMP_CNT: 0
	.section	.text._ZN2at6native12_GLOBAL__N_125multi_tensor_apply_kernelINS1_28TensorListScalarListMetadataIaLi1EEENS1_25BinaryOpScalarListFunctorIaLi1ELi1ELi0EEEJSt10multipliesIaEEEEvT_T0_DpT1_,"axG",@progbits,_ZN2at6native12_GLOBAL__N_125multi_tensor_apply_kernelINS1_28TensorListScalarListMetadataIaLi1EEENS1_25BinaryOpScalarListFunctorIaLi1ELi1ELi0EEEJSt10multipliesIaEEEEvT_T0_DpT1_,comdat
	.globl	_ZN2at6native12_GLOBAL__N_125multi_tensor_apply_kernelINS1_28TensorListScalarListMetadataIaLi1EEENS1_25BinaryOpScalarListFunctorIaLi1ELi1ELi0EEEJSt10multipliesIaEEEEvT_T0_DpT1_ ; -- Begin function _ZN2at6native12_GLOBAL__N_125multi_tensor_apply_kernelINS1_28TensorListScalarListMetadataIaLi1EEENS1_25BinaryOpScalarListFunctorIaLi1ELi1ELi0EEEJSt10multipliesIaEEEEvT_T0_DpT1_
	.p2align	8
	.type	_ZN2at6native12_GLOBAL__N_125multi_tensor_apply_kernelINS1_28TensorListScalarListMetadataIaLi1EEENS1_25BinaryOpScalarListFunctorIaLi1ELi1ELi0EEEJSt10multipliesIaEEEEvT_T0_DpT1_,@function
_ZN2at6native12_GLOBAL__N_125multi_tensor_apply_kernelINS1_28TensorListScalarListMetadataIaLi1EEENS1_25BinaryOpScalarListFunctorIaLi1ELi1ELi0EEEJSt10multipliesIaEEEEvT_T0_DpT1_: ; @_ZN2at6native12_GLOBAL__N_125multi_tensor_apply_kernelINS1_28TensorListScalarListMetadataIaLi1EEENS1_25BinaryOpScalarListFunctorIaLi1ELi1ELi0EEEJSt10multipliesIaEEEEvT_T0_DpT1_
; %bb.0:
	v_mov_b32_e32 v1, s15
	s_mul_i32 s4, s15, 3
	s_mul_hi_u32 s5, s15, 3
	global_load_u8 v3, v1, s[0:1] offset:1632
	s_waitcnt vmcnt(0)
	v_add_co_u32 v1, s2, s0, v3
	s_delay_alu instid0(VALU_DEP_1)
	v_add_co_ci_u32_e64 v2, null, s1, 0, s2
	s_add_u32 s2, s0, s15
	s_addc_u32 s3, s1, 0
	s_add_u32 s2, s2, s4
	global_load_u8 v2, v[1:2], off offset:1536
	v_readfirstlane_b32 s6, v3
	s_addc_u32 s3, s3, s5
	s_load_b32 s4, s[2:3], 0x7a0
	s_delay_alu instid0(VALU_DEP_1)
	s_lshl_b32 s5, s6, 3
	s_clause 0x1
	s_load_b64 s[2:3], s[0:1], s5 offset:0x0
	s_load_b64 s[8:9], s[0:1], s5 offset:0x300
	s_waitcnt lgkmcnt(0)
	s_ashr_i32 s5, s4, 31
	s_delay_alu instid0(SALU_CYCLE_1) | instskip(NEXT) | instid1(SALU_CYCLE_1)
	s_lshl_b64 s[4:5], s[4:5], 16
	s_add_u32 s12, s2, s4
	s_addc_u32 s13, s3, s5
	s_sub_u32 s6, s8, s4
	s_subb_u32 s7, s9, s5
	s_or_b32 s8, s8, s12
	s_delay_alu instid0(SALU_CYCLE_1) | instskip(NEXT) | instid1(SALU_CYCLE_1)
	s_and_b32 s8, s8, 3
	s_cmp_eq_u32 s8, 0
	s_cbranch_scc1 .LBB25_21
; %bb.1:
	v_cmp_lt_i64_e64 s8, s[6:7], 1
	s_delay_alu instid0(VALU_DEP_1)
	s_and_b32 vcc_lo, exec_lo, s8
	s_cbranch_vccnz .LBB25_20
; %bb.2:
	s_load_b32 s8, s[0:1], 0xcb4
	v_add_co_u32 v12, s9, s4, v0
	s_delay_alu instid0(VALU_DEP_1) | instskip(SKIP_1) | instid1(VALU_DEP_3)
	v_add_co_ci_u32_e64 v13, null, s5, 0, s9
	v_cmp_gt_u64_e64 s9, 0x10000, s[6:7]
	v_add_co_u32 v1, vcc_lo, s2, v12
	s_delay_alu instid0(VALU_DEP_3) | instskip(SKIP_2) | instid1(VALU_DEP_3)
	v_add_co_ci_u32_e32 v3, vcc_lo, s3, v13, vcc_lo
	s_waitcnt lgkmcnt(0)
	s_and_b32 s10, s8, 0xffff
	s_and_b32 s8, s9, exec_lo
	s_mul_i32 s15, s10, 3
	s_cselect_b32 s9, s7, 0
	s_cselect_b32 s8, s6, 0x10000
	s_lshl_b32 s11, s10, 1
	s_lshl_b32 s14, s10, 2
	s_add_u32 s16, s4, s15
	v_add_co_u32 v4, s15, s15, v0
	s_delay_alu instid0(VALU_DEP_1)
	v_add_co_ci_u32_e64 v5, null, 0, 0, s15
	s_addc_u32 s15, s5, 0
	s_add_u32 s16, s2, s16
	s_addc_u32 s15, s3, s15
	s_add_u32 s4, s4, s11
	;; [unrolled: 2-line block ×3, first 2 shown]
	s_addc_u32 s5, s3, s5
	v_add_co_u32 v8, s4, s4, v0
	s_add_u32 s2, s2, s10
	v_add_co_u32 v6, s16, s16, v0
	v_add_co_ci_u32_e64 v9, null, s5, 0, s4
	v_add_co_u32 v10, s4, s11, v0
	s_addc_u32 s3, s3, 0
	v_add_co_u32 v12, vcc_lo, s2, v12
	v_add_co_u32 v14, s2, v0, s10
	v_add_co_ci_u32_e64 v7, null, s15, 0, s16
	v_add_co_ci_u32_e64 v11, null, 0, 0, s4
	v_add_co_ci_u32_e32 v13, vcc_lo, s3, v13, vcc_lo
	v_add_co_ci_u32_e64 v15, null, 0, 0, s2
	s_mov_b64 s[10:11], 0
	s_branch .LBB25_4
.LBB25_3:                               ;   in Loop: Header=BB25_4 Depth=1
	s_or_b32 exec_lo, exec_lo, s2
	s_add_u32 s10, s10, s14
	s_addc_u32 s11, s11, 0
	s_delay_alu instid0(SALU_CYCLE_1) | instskip(SKIP_1) | instid1(VALU_DEP_1)
	v_cmp_lt_i64_e64 s2, s[10:11], s[6:7]
	v_cmp_gt_u64_e64 s3, 0x10000, s[10:11]
	s_and_b32 s2, s2, s3
	s_delay_alu instid0(SALU_CYCLE_1)
	s_and_b32 vcc_lo, exec_lo, s2
	s_cbranch_vccz .LBB25_20
.LBB25_4:                               ; =>This Inner Loop Header: Depth=1
	s_waitcnt vmcnt(0)
	v_add_co_u32 v16, s2, v0, s10
	s_delay_alu instid0(VALU_DEP_1) | instskip(NEXT) | instid1(VALU_DEP_1)
	v_add_co_ci_u32_e64 v17, null, 0, s11, s2
	v_cmp_gt_u64_e32 vcc_lo, s[8:9], v[16:17]
	v_mov_b32_e32 v16, 0
	s_and_saveexec_b32 s3, vcc_lo
	s_cbranch_execz .LBB25_6
; %bb.5:                                ;   in Loop: Header=BB25_4 Depth=1
	v_add_co_u32 v16, s2, v1, s10
	s_delay_alu instid0(VALU_DEP_1)
	v_add_co_ci_u32_e64 v17, s2, s11, v3, s2
	global_load_u8 v16, v[16:17], off
.LBB25_6:                               ;   in Loop: Header=BB25_4 Depth=1
	s_or_b32 exec_lo, exec_lo, s3
	v_add_co_u32 v17, s2, v14, s10
	s_delay_alu instid0(VALU_DEP_1) | instskip(NEXT) | instid1(VALU_DEP_1)
	v_add_co_ci_u32_e64 v18, s2, s11, v15, s2
	v_cmp_gt_u64_e64 s2, s[8:9], v[17:18]
	v_mov_b32_e32 v18, 0
	s_delay_alu instid0(VALU_DEP_2)
	s_and_saveexec_b32 s4, s2
	s_cbranch_execz .LBB25_8
; %bb.7:                                ;   in Loop: Header=BB25_4 Depth=1
	v_add_co_u32 v17, s3, v12, s10
	s_delay_alu instid0(VALU_DEP_1)
	v_add_co_ci_u32_e64 v18, s3, s11, v13, s3
	global_load_u8 v18, v[17:18], off
.LBB25_8:                               ;   in Loop: Header=BB25_4 Depth=1
	s_or_b32 exec_lo, exec_lo, s4
	v_add_co_u32 v19, s3, v10, s10
	s_delay_alu instid0(VALU_DEP_1) | instskip(SKIP_1) | instid1(VALU_DEP_2)
	v_add_co_ci_u32_e64 v20, s3, s11, v11, s3
	v_mov_b32_e32 v17, 0
	v_cmp_gt_u64_e64 s3, s[8:9], v[19:20]
	v_mov_b32_e32 v19, 0
	s_delay_alu instid0(VALU_DEP_2)
	s_and_saveexec_b32 s5, s3
	s_cbranch_execz .LBB25_10
; %bb.9:                                ;   in Loop: Header=BB25_4 Depth=1
	v_add_co_u32 v19, s4, v8, s10
	s_delay_alu instid0(VALU_DEP_1)
	v_add_co_ci_u32_e64 v20, s4, s11, v9, s4
	global_load_u8 v19, v[19:20], off
.LBB25_10:                              ;   in Loop: Header=BB25_4 Depth=1
	s_or_b32 exec_lo, exec_lo, s5
	v_add_co_u32 v20, s4, v4, s10
	s_delay_alu instid0(VALU_DEP_1) | instskip(NEXT) | instid1(VALU_DEP_1)
	v_add_co_ci_u32_e64 v21, s4, s11, v5, s4
	v_cmp_gt_u64_e64 s4, s[8:9], v[20:21]
	s_delay_alu instid0(VALU_DEP_1)
	s_and_saveexec_b32 s15, s4
	s_cbranch_execnz .LBB25_15
; %bb.11:                               ;   in Loop: Header=BB25_4 Depth=1
	s_or_b32 exec_lo, exec_lo, s15
	s_and_saveexec_b32 s5, vcc_lo
	s_cbranch_execnz .LBB25_16
.LBB25_12:                              ;   in Loop: Header=BB25_4 Depth=1
	s_or_b32 exec_lo, exec_lo, s5
	s_and_saveexec_b32 s5, s2
	s_cbranch_execnz .LBB25_17
.LBB25_13:                              ;   in Loop: Header=BB25_4 Depth=1
	s_or_b32 exec_lo, exec_lo, s5
	s_and_saveexec_b32 s2, s3
	s_cbranch_execnz .LBB25_18
.LBB25_14:                              ;   in Loop: Header=BB25_4 Depth=1
	s_or_b32 exec_lo, exec_lo, s2
	s_and_saveexec_b32 s2, s4
	s_cbranch_execz .LBB25_3
	s_branch .LBB25_19
.LBB25_15:                              ;   in Loop: Header=BB25_4 Depth=1
	v_add_co_u32 v20, s5, v6, s10
	s_delay_alu instid0(VALU_DEP_1)
	v_add_co_ci_u32_e64 v21, s5, s11, v7, s5
	global_load_u8 v17, v[20:21], off
	s_or_b32 exec_lo, exec_lo, s15
	s_and_saveexec_b32 s5, vcc_lo
	s_cbranch_execz .LBB25_12
.LBB25_16:                              ;   in Loop: Header=BB25_4 Depth=1
	v_add_co_u32 v20, vcc_lo, v1, s10
	s_waitcnt vmcnt(0)
	v_mul_lo_u16 v16, v16, v2
	v_add_co_ci_u32_e32 v21, vcc_lo, s11, v3, vcc_lo
	global_store_b8 v[20:21], v16, off
	s_or_b32 exec_lo, exec_lo, s5
	s_and_saveexec_b32 s5, s2
	s_cbranch_execz .LBB25_13
.LBB25_17:                              ;   in Loop: Header=BB25_4 Depth=1
	v_add_co_u32 v20, vcc_lo, v12, s10
	s_waitcnt vmcnt(0)
	v_mul_lo_u16 v16, v18, v2
	v_add_co_ci_u32_e32 v21, vcc_lo, s11, v13, vcc_lo
	global_store_b8 v[20:21], v16, off
	s_or_b32 exec_lo, exec_lo, s5
	s_and_saveexec_b32 s2, s3
	s_cbranch_execz .LBB25_14
.LBB25_18:                              ;   in Loop: Header=BB25_4 Depth=1
	s_waitcnt vmcnt(0)
	v_add_co_u32 v18, vcc_lo, v8, s10
	v_mul_lo_u16 v16, v19, v2
	v_add_co_ci_u32_e32 v19, vcc_lo, s11, v9, vcc_lo
	global_store_b8 v[18:19], v16, off
	s_or_b32 exec_lo, exec_lo, s2
	s_and_saveexec_b32 s2, s4
	s_cbranch_execz .LBB25_3
.LBB25_19:                              ;   in Loop: Header=BB25_4 Depth=1
	s_waitcnt vmcnt(0)
	v_add_co_u32 v16, vcc_lo, v6, s10
	v_mul_lo_u16 v18, v17, v2
	v_add_co_ci_u32_e32 v17, vcc_lo, s11, v7, vcc_lo
	global_store_b8 v[16:17], v18, off
	s_branch .LBB25_3
.LBB25_20:
	s_cbranch_execz .LBB25_22
	s_branch .LBB25_25
.LBB25_21:
.LBB25_22:
	v_dual_mov_b32 v1, 0 :: v_dual_lshlrev_b32 v0, 2, v0
	s_mov_b32 s2, exec_lo
	s_delay_alu instid0(VALU_DEP_1)
	v_cmpx_gt_i64_e64 s[6:7], v[0:1]
	s_cbranch_execz .LBB25_25
; %bb.23:
	s_load_b32 s0, s[0:1], 0xcb4
	s_mov_b32 s2, 0
	s_waitcnt lgkmcnt(0)
	s_and_b32 s0, s0, 0xffff
	s_delay_alu instid0(SALU_CYCLE_1)
	s_lshl_b32 s1, s0, 2
	s_set_inst_prefetch_distance 0x1
	.p2align	6
.LBB25_24:                              ; =>This Inner Loop Header: Depth=1
	v_add_co_u32 v3, vcc_lo, s12, v0
	v_add_co_ci_u32_e32 v4, vcc_lo, s13, v1, vcc_lo
	v_add_co_u32 v0, vcc_lo, s1, v0
	v_add_co_ci_u32_e32 v1, vcc_lo, 0, v1, vcc_lo
	global_load_b32 v5, v[3:4], off
	v_cmp_le_i64_e32 vcc_lo, s[6:7], v[0:1]
	v_cmp_lt_u64_e64 s0, 0xffff, v[0:1]
	s_delay_alu instid0(VALU_DEP_1) | instskip(NEXT) | instid1(SALU_CYCLE_1)
	s_or_b32 s0, vcc_lo, s0
	s_and_b32 s0, exec_lo, s0
	s_delay_alu instid0(SALU_CYCLE_1)
	s_or_b32 s2, s0, s2
	s_waitcnt vmcnt(0)
	v_lshrrev_b32_e32 v6, 16, v5
	v_lshrrev_b32_e32 v7, 8, v5
	;; [unrolled: 1-line block ×3, first 2 shown]
	v_mul_lo_u16 v5, v2, v5
	s_delay_alu instid0(VALU_DEP_4) | instskip(NEXT) | instid1(VALU_DEP_4)
	v_mul_lo_u16 v6, v2, v6
	v_mul_lo_u16 v7, v2, v7
	s_delay_alu instid0(VALU_DEP_4) | instskip(NEXT) | instid1(VALU_DEP_4)
	v_mul_lo_u16 v8, v2, v8
	v_and_b32_e32 v5, 0xff, v5
	s_delay_alu instid0(VALU_DEP_4) | instskip(NEXT) | instid1(VALU_DEP_4)
	v_and_b32_e32 v6, 0xff, v6
	v_and_b32_e32 v7, 0xff, v7
	s_delay_alu instid0(VALU_DEP_2) | instskip(NEXT) | instid1(VALU_DEP_2)
	v_lshlrev_b32_e32 v6, 16, v6
	v_lshlrev_b32_e32 v7, 8, v7
	s_delay_alu instid0(VALU_DEP_2) | instskip(NEXT) | instid1(VALU_DEP_1)
	v_lshl_or_b32 v6, v8, 24, v6
	v_or3_b32 v5, v6, v7, v5
	global_store_b32 v[3:4], v5, off
	s_and_not1_b32 exec_lo, exec_lo, s2
	s_cbranch_execnz .LBB25_24
.LBB25_25:
	s_set_inst_prefetch_distance 0x2
	s_nop 0
	s_sendmsg sendmsg(MSG_DEALLOC_VGPRS)
	s_endpgm
	.section	.rodata,"a",@progbits
	.p2align	6, 0x0
	.amdhsa_kernel _ZN2at6native12_GLOBAL__N_125multi_tensor_apply_kernelINS1_28TensorListScalarListMetadataIaLi1EEENS1_25BinaryOpScalarListFunctorIaLi1ELi1ELi0EEEJSt10multipliesIaEEEEvT_T0_DpT1_
		.amdhsa_group_segment_fixed_size 0
		.amdhsa_private_segment_fixed_size 0
		.amdhsa_kernarg_size 3496
		.amdhsa_user_sgpr_count 15
		.amdhsa_user_sgpr_dispatch_ptr 0
		.amdhsa_user_sgpr_queue_ptr 0
		.amdhsa_user_sgpr_kernarg_segment_ptr 1
		.amdhsa_user_sgpr_dispatch_id 0
		.amdhsa_user_sgpr_private_segment_size 0
		.amdhsa_wavefront_size32 1
		.amdhsa_uses_dynamic_stack 0
		.amdhsa_enable_private_segment 0
		.amdhsa_system_sgpr_workgroup_id_x 1
		.amdhsa_system_sgpr_workgroup_id_y 0
		.amdhsa_system_sgpr_workgroup_id_z 0
		.amdhsa_system_sgpr_workgroup_info 0
		.amdhsa_system_vgpr_workitem_id 0
		.amdhsa_next_free_vgpr 22
		.amdhsa_next_free_sgpr 17
		.amdhsa_reserve_vcc 1
		.amdhsa_float_round_mode_32 0
		.amdhsa_float_round_mode_16_64 0
		.amdhsa_float_denorm_mode_32 3
		.amdhsa_float_denorm_mode_16_64 3
		.amdhsa_dx10_clamp 1
		.amdhsa_ieee_mode 1
		.amdhsa_fp16_overflow 0
		.amdhsa_workgroup_processor_mode 1
		.amdhsa_memory_ordered 1
		.amdhsa_forward_progress 0
		.amdhsa_shared_vgpr_count 0
		.amdhsa_exception_fp_ieee_invalid_op 0
		.amdhsa_exception_fp_denorm_src 0
		.amdhsa_exception_fp_ieee_div_zero 0
		.amdhsa_exception_fp_ieee_overflow 0
		.amdhsa_exception_fp_ieee_underflow 0
		.amdhsa_exception_fp_ieee_inexact 0
		.amdhsa_exception_int_div_zero 0
	.end_amdhsa_kernel
	.section	.text._ZN2at6native12_GLOBAL__N_125multi_tensor_apply_kernelINS1_28TensorListScalarListMetadataIaLi1EEENS1_25BinaryOpScalarListFunctorIaLi1ELi1ELi0EEEJSt10multipliesIaEEEEvT_T0_DpT1_,"axG",@progbits,_ZN2at6native12_GLOBAL__N_125multi_tensor_apply_kernelINS1_28TensorListScalarListMetadataIaLi1EEENS1_25BinaryOpScalarListFunctorIaLi1ELi1ELi0EEEJSt10multipliesIaEEEEvT_T0_DpT1_,comdat
.Lfunc_end25:
	.size	_ZN2at6native12_GLOBAL__N_125multi_tensor_apply_kernelINS1_28TensorListScalarListMetadataIaLi1EEENS1_25BinaryOpScalarListFunctorIaLi1ELi1ELi0EEEJSt10multipliesIaEEEEvT_T0_DpT1_, .Lfunc_end25-_ZN2at6native12_GLOBAL__N_125multi_tensor_apply_kernelINS1_28TensorListScalarListMetadataIaLi1EEENS1_25BinaryOpScalarListFunctorIaLi1ELi1ELi0EEEJSt10multipliesIaEEEEvT_T0_DpT1_
                                        ; -- End function
	.section	.AMDGPU.csdata,"",@progbits
; Kernel info:
; codeLenInByte = 1288
; NumSgprs: 19
; NumVgprs: 22
; ScratchSize: 0
; MemoryBound: 0
; FloatMode: 240
; IeeeMode: 1
; LDSByteSize: 0 bytes/workgroup (compile time only)
; SGPRBlocks: 2
; VGPRBlocks: 2
; NumSGPRsForWavesPerEU: 19
; NumVGPRsForWavesPerEU: 22
; Occupancy: 16
; WaveLimiterHint : 0
; COMPUTE_PGM_RSRC2:SCRATCH_EN: 0
; COMPUTE_PGM_RSRC2:USER_SGPR: 15
; COMPUTE_PGM_RSRC2:TRAP_HANDLER: 0
; COMPUTE_PGM_RSRC2:TGID_X_EN: 1
; COMPUTE_PGM_RSRC2:TGID_Y_EN: 0
; COMPUTE_PGM_RSRC2:TGID_Z_EN: 0
; COMPUTE_PGM_RSRC2:TIDIG_COMP_CNT: 0
	.section	.text._ZN2at6native12_GLOBAL__N_125multi_tensor_apply_kernelINS1_28TensorListScalarListMetadataIiLi1EEENS1_25BinaryOpScalarListFunctorIiLi1ELi1ELi0EEEJSt10multipliesIiEEEEvT_T0_DpT1_,"axG",@progbits,_ZN2at6native12_GLOBAL__N_125multi_tensor_apply_kernelINS1_28TensorListScalarListMetadataIiLi1EEENS1_25BinaryOpScalarListFunctorIiLi1ELi1ELi0EEEJSt10multipliesIiEEEEvT_T0_DpT1_,comdat
	.globl	_ZN2at6native12_GLOBAL__N_125multi_tensor_apply_kernelINS1_28TensorListScalarListMetadataIiLi1EEENS1_25BinaryOpScalarListFunctorIiLi1ELi1ELi0EEEJSt10multipliesIiEEEEvT_T0_DpT1_ ; -- Begin function _ZN2at6native12_GLOBAL__N_125multi_tensor_apply_kernelINS1_28TensorListScalarListMetadataIiLi1EEENS1_25BinaryOpScalarListFunctorIiLi1ELi1ELi0EEEJSt10multipliesIiEEEEvT_T0_DpT1_
	.p2align	8
	.type	_ZN2at6native12_GLOBAL__N_125multi_tensor_apply_kernelINS1_28TensorListScalarListMetadataIiLi1EEENS1_25BinaryOpScalarListFunctorIiLi1ELi1ELi0EEEJSt10multipliesIiEEEEvT_T0_DpT1_,@function
_ZN2at6native12_GLOBAL__N_125multi_tensor_apply_kernelINS1_28TensorListScalarListMetadataIiLi1EEENS1_25BinaryOpScalarListFunctorIiLi1ELi1ELi0EEEJSt10multipliesIiEEEEvT_T0_DpT1_: ; @_ZN2at6native12_GLOBAL__N_125multi_tensor_apply_kernelINS1_28TensorListScalarListMetadataIiLi1EEENS1_25BinaryOpScalarListFunctorIiLi1ELi1ELi0EEEJSt10multipliesIiEEEEvT_T0_DpT1_
; %bb.0:
	v_mov_b32_e32 v1, s15
	s_add_u32 s2, s0, s15
	s_mul_i32 s3, s15, 3
	s_mul_hi_u32 s4, s15, 3
	s_addc_u32 s5, s1, 0
	global_load_u8 v1, v1, s[0:1] offset:1920
	s_add_u32 s2, s2, s3
	s_addc_u32 s3, s5, s4
	s_load_b32 s2, s[2:3], 0x8c0
	s_waitcnt vmcnt(0)
	v_readfirstlane_b32 s3, v1
	v_lshlrev_b32_e32 v1, 2, v1
	s_delay_alu instid0(VALU_DEP_2)
	s_lshl_b32 s6, s3, 3
	s_waitcnt lgkmcnt(0)
	s_ashr_i32 s3, s2, 31
	s_clause 0x1
	s_load_b64 s[4:5], s[0:1], s6 offset:0x300
	s_load_b64 s[8:9], s[0:1], s6 offset:0x0
	s_add_u32 s6, s0, s6
	s_addc_u32 s7, s1, 0
	v_sub_co_u32 v1, s6, s6, v1
	s_delay_alu instid0(VALU_DEP_1) | instskip(SKIP_1) | instid1(VALU_DEP_2)
	v_sub_co_ci_u32_e64 v2, null, s7, 0, s6
	s_lshl_b64 s[10:11], s[2:3], 18
	v_readfirstlane_b32 s6, v1
	s_lshl_b64 s[2:3], s[2:3], 16
	s_delay_alu instid0(VALU_DEP_2)
	v_readfirstlane_b32 s7, v2
	s_load_b32 s16, s[6:7], 0x600
	s_waitcnt lgkmcnt(0)
	s_and_b32 s12, s8, 15
	s_sub_u32 s6, s4, s2
	s_subb_u32 s7, s5, s3
	s_and_b32 s2, s4, 3
	s_mov_b32 s3, 0
	s_or_b32 s2, s12, s2
	s_delay_alu instid0(SALU_CYCLE_1)
	s_cmp_eq_u64 s[2:3], 0
	s_cbranch_scc1 .LBB26_21
; %bb.1:
	v_cmp_lt_i64_e64 s2, s[6:7], 1
	s_delay_alu instid0(VALU_DEP_1)
	s_and_b32 vcc_lo, exec_lo, s2
	s_cbranch_vccnz .LBB26_20
; %bb.2:
	s_load_b32 s2, s[0:1], 0xdd4
	v_cmp_gt_u64_e64 s3, 0x10000, s[6:7]
	v_lshlrev_b32_e32 v1, 2, v0
	s_waitcnt lgkmcnt(0)
	s_and_b32 s2, s2, 0xffff
	s_delay_alu instid0(VALU_DEP_2)
	s_and_b32 s3, s3, exec_lo
	v_add_co_u32 v5, s5, v0, s2
	s_cselect_b32 s13, s7, 0
	s_cselect_b32 s12, s6, 0x10000
	s_lshl_b32 s3, s2, 1
	s_lshl_b32 s17, s2, 2
	v_lshlrev_b32_e32 v3, 2, v5
	v_add_co_ci_u32_e64 v6, null, 0, 0, s5
	s_add_u32 s5, s8, s10
	v_add_co_u32 v9, s3, s3, v0
	s_mul_i32 s4, s2, 3
	s_addc_u32 s14, s9, s11
	v_add_co_ci_u32_e64 v10, null, 0, 0, s3
	v_add_co_u32 v1, s3, s5, v1
	v_add_co_u32 v7, s4, s4, v0
	v_add_co_ci_u32_e64 v2, null, s14, 0, s3
	v_add_co_u32 v3, s3, s5, v3
	v_add_co_ci_u32_e64 v8, null, 0, 0, s4
	v_add_co_ci_u32_e64 v4, null, s14, 0, s3
	s_lshl_b32 s18, s2, 4
	s_mul_i32 s19, s2, 12
	s_lshl_b32 s20, s2, 3
	s_mov_b64 s[14:15], 0
	s_branch .LBB26_4
.LBB26_3:                               ;   in Loop: Header=BB26_4 Depth=1
	s_or_b32 exec_lo, exec_lo, s2
	s_add_u32 s14, s14, s17
	s_addc_u32 s15, s15, 0
	v_add_co_u32 v1, vcc_lo, v1, s18
	v_cmp_lt_i64_e64 s2, s[14:15], s[6:7]
	v_cmp_gt_u64_e64 s3, 0x10000, s[14:15]
	v_add_co_ci_u32_e32 v2, vcc_lo, 0, v2, vcc_lo
	v_add_co_u32 v3, vcc_lo, v3, s18
	v_add_co_ci_u32_e32 v4, vcc_lo, 0, v4, vcc_lo
	s_delay_alu instid0(VALU_DEP_4) | instskip(NEXT) | instid1(SALU_CYCLE_1)
	s_and_b32 s2, s2, s3
	s_and_b32 vcc_lo, exec_lo, s2
	s_cbranch_vccz .LBB26_20
.LBB26_4:                               ; =>This Inner Loop Header: Depth=1
	s_waitcnt vmcnt(0)
	v_add_co_u32 v11, s2, v0, s14
	s_delay_alu instid0(VALU_DEP_1) | instskip(NEXT) | instid1(VALU_DEP_1)
	v_add_co_ci_u32_e64 v12, null, 0, s15, s2
	v_cmp_gt_u64_e32 vcc_lo, s[12:13], v[11:12]
	v_mov_b32_e32 v11, 0
	s_and_saveexec_b32 s2, vcc_lo
	s_cbranch_execz .LBB26_6
; %bb.5:                                ;   in Loop: Header=BB26_4 Depth=1
	global_load_b32 v11, v[1:2], off
.LBB26_6:                               ;   in Loop: Header=BB26_4 Depth=1
	s_or_b32 exec_lo, exec_lo, s2
	v_add_co_u32 v12, s2, v5, s14
	s_delay_alu instid0(VALU_DEP_1) | instskip(NEXT) | instid1(VALU_DEP_1)
	v_add_co_ci_u32_e64 v13, s2, s15, v6, s2
	v_cmp_gt_u64_e64 s2, s[12:13], v[12:13]
	v_mov_b32_e32 v13, 0
	s_delay_alu instid0(VALU_DEP_2)
	s_and_saveexec_b32 s3, s2
	s_cbranch_execz .LBB26_8
; %bb.7:                                ;   in Loop: Header=BB26_4 Depth=1
	global_load_b32 v13, v[3:4], off
.LBB26_8:                               ;   in Loop: Header=BB26_4 Depth=1
	s_or_b32 exec_lo, exec_lo, s3
	v_add_co_u32 v14, s3, v9, s14
	s_delay_alu instid0(VALU_DEP_1) | instskip(SKIP_1) | instid1(VALU_DEP_2)
	v_add_co_ci_u32_e64 v15, s3, s15, v10, s3
	v_mov_b32_e32 v12, 0
	v_cmp_gt_u64_e64 s3, s[12:13], v[14:15]
	v_mov_b32_e32 v14, 0
	s_delay_alu instid0(VALU_DEP_2)
	s_and_saveexec_b32 s5, s3
	s_cbranch_execz .LBB26_10
; %bb.9:                                ;   in Loop: Header=BB26_4 Depth=1
	v_add_co_u32 v14, s4, v1, s20
	s_delay_alu instid0(VALU_DEP_1)
	v_add_co_ci_u32_e64 v15, s4, 0, v2, s4
	global_load_b32 v14, v[14:15], off
.LBB26_10:                              ;   in Loop: Header=BB26_4 Depth=1
	s_or_b32 exec_lo, exec_lo, s5
	v_add_co_u32 v15, s4, v7, s14
	s_delay_alu instid0(VALU_DEP_1) | instskip(NEXT) | instid1(VALU_DEP_1)
	v_add_co_ci_u32_e64 v16, s4, s15, v8, s4
	v_cmp_gt_u64_e64 s4, s[12:13], v[15:16]
	s_delay_alu instid0(VALU_DEP_1)
	s_and_saveexec_b32 s21, s4
	s_cbranch_execnz .LBB26_15
; %bb.11:                               ;   in Loop: Header=BB26_4 Depth=1
	s_or_b32 exec_lo, exec_lo, s21
	s_and_saveexec_b32 s5, vcc_lo
	s_cbranch_execnz .LBB26_16
.LBB26_12:                              ;   in Loop: Header=BB26_4 Depth=1
	s_or_b32 exec_lo, exec_lo, s5
	s_and_saveexec_b32 s5, s2
	s_cbranch_execnz .LBB26_17
.LBB26_13:                              ;   in Loop: Header=BB26_4 Depth=1
	s_or_b32 exec_lo, exec_lo, s5
	s_and_saveexec_b32 s2, s3
	s_cbranch_execnz .LBB26_18
.LBB26_14:                              ;   in Loop: Header=BB26_4 Depth=1
	s_or_b32 exec_lo, exec_lo, s2
	s_and_saveexec_b32 s2, s4
	s_cbranch_execz .LBB26_3
	s_branch .LBB26_19
.LBB26_15:                              ;   in Loop: Header=BB26_4 Depth=1
	v_add_co_u32 v15, s5, v1, s19
	s_delay_alu instid0(VALU_DEP_1)
	v_add_co_ci_u32_e64 v16, s5, 0, v2, s5
	global_load_b32 v12, v[15:16], off
	s_or_b32 exec_lo, exec_lo, s21
	s_and_saveexec_b32 s5, vcc_lo
	s_cbranch_execz .LBB26_12
.LBB26_16:                              ;   in Loop: Header=BB26_4 Depth=1
	s_waitcnt vmcnt(0)
	v_mul_lo_u32 v11, v11, s16
	global_store_b32 v[1:2], v11, off
	s_or_b32 exec_lo, exec_lo, s5
	s_and_saveexec_b32 s5, s2
	s_cbranch_execz .LBB26_13
.LBB26_17:                              ;   in Loop: Header=BB26_4 Depth=1
	s_waitcnt vmcnt(0)
	v_mul_lo_u32 v11, v13, s16
	global_store_b32 v[3:4], v11, off
	s_or_b32 exec_lo, exec_lo, s5
	s_and_saveexec_b32 s2, s3
	s_cbranch_execz .LBB26_14
.LBB26_18:                              ;   in Loop: Header=BB26_4 Depth=1
	s_waitcnt vmcnt(0)
	v_mul_lo_u32 v11, v14, s16
	v_add_co_u32 v13, vcc_lo, v1, s20
	v_add_co_ci_u32_e32 v14, vcc_lo, 0, v2, vcc_lo
	global_store_b32 v[13:14], v11, off
	s_or_b32 exec_lo, exec_lo, s2
	s_and_saveexec_b32 s2, s4
	s_cbranch_execz .LBB26_3
.LBB26_19:                              ;   in Loop: Header=BB26_4 Depth=1
	s_waitcnt vmcnt(0)
	v_mul_lo_u32 v13, v12, s16
	v_add_co_u32 v11, vcc_lo, v1, s19
	v_add_co_ci_u32_e32 v12, vcc_lo, 0, v2, vcc_lo
	global_store_b32 v[11:12], v13, off
	s_branch .LBB26_3
.LBB26_20:
	s_cbranch_execz .LBB26_22
	s_branch .LBB26_25
.LBB26_21:
.LBB26_22:
	v_dual_mov_b32 v2, 0 :: v_dual_lshlrev_b32 v1, 2, v0
	s_mov_b32 s2, 0
	s_mov_b32 s3, exec_lo
	s_delay_alu instid0(VALU_DEP_1)
	v_cmpx_gt_i64_e64 s[6:7], v[1:2]
	s_cbranch_execz .LBB26_25
; %bb.23:
	s_load_b32 s0, s[0:1], 0xdd4
	v_lshlrev_b32_e32 v1, 4, v0
	s_waitcnt lgkmcnt(0)
	s_and_b32 s0, s0, 0xffff
	s_delay_alu instid0(SALU_CYCLE_1) | instskip(SKIP_3) | instid1(VALU_DEP_1)
	s_lshl_b32 s3, s0, 2
	s_add_u32 s1, s8, s10
	s_addc_u32 s4, s9, s11
	v_add_co_u32 v3, s1, s1, v1
	v_add_co_ci_u32_e64 v4, null, s4, 0, s1
	v_add_lshl_u32 v1, v0, s0, 2
	s_delay_alu instid0(VALU_DEP_3) | instskip(NEXT) | instid1(VALU_DEP_3)
	v_add_co_u32 v3, vcc_lo, v3, 8
	v_add_co_ci_u32_e32 v4, vcc_lo, 0, v4, vcc_lo
	s_lshl_b32 s4, s0, 4
	.p2align	6
.LBB26_24:                              ; =>This Inner Loop Header: Depth=1
	global_load_b128 v[5:8], v[3:4], off offset:-8
	v_cmp_le_i64_e32 vcc_lo, s[6:7], v[1:2]
	v_cmp_lt_u64_e64 s0, 0xffff, v[1:2]
	v_add_co_u32 v1, s1, v1, s3
	s_delay_alu instid0(VALU_DEP_1) | instskip(NEXT) | instid1(VALU_DEP_3)
	v_add_co_ci_u32_e64 v2, s1, 0, v2, s1
	s_or_b32 s0, vcc_lo, s0
	s_delay_alu instid0(SALU_CYCLE_1) | instskip(NEXT) | instid1(SALU_CYCLE_1)
	s_and_b32 s0, exec_lo, s0
	s_or_b32 s2, s0, s2
	s_waitcnt vmcnt(0)
	v_mul_lo_u32 v5, v5, s16
	v_mul_lo_u32 v6, v6, s16
	;; [unrolled: 1-line block ×4, first 2 shown]
	global_store_b128 v[3:4], v[5:8], off offset:-8
	v_add_co_u32 v3, vcc_lo, v3, s4
	v_add_co_ci_u32_e32 v4, vcc_lo, 0, v4, vcc_lo
	s_and_not1_b32 exec_lo, exec_lo, s2
	s_cbranch_execnz .LBB26_24
.LBB26_25:
	s_nop 0
	s_sendmsg sendmsg(MSG_DEALLOC_VGPRS)
	s_endpgm
	.section	.rodata,"a",@progbits
	.p2align	6, 0x0
	.amdhsa_kernel _ZN2at6native12_GLOBAL__N_125multi_tensor_apply_kernelINS1_28TensorListScalarListMetadataIiLi1EEENS1_25BinaryOpScalarListFunctorIiLi1ELi1ELi0EEEJSt10multipliesIiEEEEvT_T0_DpT1_
		.amdhsa_group_segment_fixed_size 0
		.amdhsa_private_segment_fixed_size 0
		.amdhsa_kernarg_size 3784
		.amdhsa_user_sgpr_count 15
		.amdhsa_user_sgpr_dispatch_ptr 0
		.amdhsa_user_sgpr_queue_ptr 0
		.amdhsa_user_sgpr_kernarg_segment_ptr 1
		.amdhsa_user_sgpr_dispatch_id 0
		.amdhsa_user_sgpr_private_segment_size 0
		.amdhsa_wavefront_size32 1
		.amdhsa_uses_dynamic_stack 0
		.amdhsa_enable_private_segment 0
		.amdhsa_system_sgpr_workgroup_id_x 1
		.amdhsa_system_sgpr_workgroup_id_y 0
		.amdhsa_system_sgpr_workgroup_id_z 0
		.amdhsa_system_sgpr_workgroup_info 0
		.amdhsa_system_vgpr_workitem_id 0
		.amdhsa_next_free_vgpr 17
		.amdhsa_next_free_sgpr 22
		.amdhsa_reserve_vcc 1
		.amdhsa_float_round_mode_32 0
		.amdhsa_float_round_mode_16_64 0
		.amdhsa_float_denorm_mode_32 3
		.amdhsa_float_denorm_mode_16_64 3
		.amdhsa_dx10_clamp 1
		.amdhsa_ieee_mode 1
		.amdhsa_fp16_overflow 0
		.amdhsa_workgroup_processor_mode 1
		.amdhsa_memory_ordered 1
		.amdhsa_forward_progress 0
		.amdhsa_shared_vgpr_count 0
		.amdhsa_exception_fp_ieee_invalid_op 0
		.amdhsa_exception_fp_denorm_src 0
		.amdhsa_exception_fp_ieee_div_zero 0
		.amdhsa_exception_fp_ieee_overflow 0
		.amdhsa_exception_fp_ieee_underflow 0
		.amdhsa_exception_fp_ieee_inexact 0
		.amdhsa_exception_int_div_zero 0
	.end_amdhsa_kernel
	.section	.text._ZN2at6native12_GLOBAL__N_125multi_tensor_apply_kernelINS1_28TensorListScalarListMetadataIiLi1EEENS1_25BinaryOpScalarListFunctorIiLi1ELi1ELi0EEEJSt10multipliesIiEEEEvT_T0_DpT1_,"axG",@progbits,_ZN2at6native12_GLOBAL__N_125multi_tensor_apply_kernelINS1_28TensorListScalarListMetadataIiLi1EEENS1_25BinaryOpScalarListFunctorIiLi1ELi1ELi0EEEJSt10multipliesIiEEEEvT_T0_DpT1_,comdat
.Lfunc_end26:
	.size	_ZN2at6native12_GLOBAL__N_125multi_tensor_apply_kernelINS1_28TensorListScalarListMetadataIiLi1EEENS1_25BinaryOpScalarListFunctorIiLi1ELi1ELi0EEEJSt10multipliesIiEEEEvT_T0_DpT1_, .Lfunc_end26-_ZN2at6native12_GLOBAL__N_125multi_tensor_apply_kernelINS1_28TensorListScalarListMetadataIiLi1EEENS1_25BinaryOpScalarListFunctorIiLi1ELi1ELi0EEEJSt10multipliesIiEEEEvT_T0_DpT1_
                                        ; -- End function
	.section	.AMDGPU.csdata,"",@progbits
; Kernel info:
; codeLenInByte = 1184
; NumSgprs: 24
; NumVgprs: 17
; ScratchSize: 0
; MemoryBound: 0
; FloatMode: 240
; IeeeMode: 1
; LDSByteSize: 0 bytes/workgroup (compile time only)
; SGPRBlocks: 2
; VGPRBlocks: 2
; NumSGPRsForWavesPerEU: 24
; NumVGPRsForWavesPerEU: 17
; Occupancy: 16
; WaveLimiterHint : 0
; COMPUTE_PGM_RSRC2:SCRATCH_EN: 0
; COMPUTE_PGM_RSRC2:USER_SGPR: 15
; COMPUTE_PGM_RSRC2:TRAP_HANDLER: 0
; COMPUTE_PGM_RSRC2:TGID_X_EN: 1
; COMPUTE_PGM_RSRC2:TGID_Y_EN: 0
; COMPUTE_PGM_RSRC2:TGID_Z_EN: 0
; COMPUTE_PGM_RSRC2:TIDIG_COMP_CNT: 0
	.section	.text._ZN2at6native12_GLOBAL__N_125multi_tensor_apply_kernelINS1_28TensorListScalarListMetadataIlLi1EEENS1_25BinaryOpScalarListFunctorIlLi1ELi1ELi0EEEJSt10multipliesIlEEEEvT_T0_DpT1_,"axG",@progbits,_ZN2at6native12_GLOBAL__N_125multi_tensor_apply_kernelINS1_28TensorListScalarListMetadataIlLi1EEENS1_25BinaryOpScalarListFunctorIlLi1ELi1ELi0EEEJSt10multipliesIlEEEEvT_T0_DpT1_,comdat
	.globl	_ZN2at6native12_GLOBAL__N_125multi_tensor_apply_kernelINS1_28TensorListScalarListMetadataIlLi1EEENS1_25BinaryOpScalarListFunctorIlLi1ELi1ELi0EEEJSt10multipliesIlEEEEvT_T0_DpT1_ ; -- Begin function _ZN2at6native12_GLOBAL__N_125multi_tensor_apply_kernelINS1_28TensorListScalarListMetadataIlLi1EEENS1_25BinaryOpScalarListFunctorIlLi1ELi1ELi0EEEJSt10multipliesIlEEEEvT_T0_DpT1_
	.p2align	8
	.type	_ZN2at6native12_GLOBAL__N_125multi_tensor_apply_kernelINS1_28TensorListScalarListMetadataIlLi1EEENS1_25BinaryOpScalarListFunctorIlLi1ELi1ELi0EEEJSt10multipliesIlEEEEvT_T0_DpT1_,@function
_ZN2at6native12_GLOBAL__N_125multi_tensor_apply_kernelINS1_28TensorListScalarListMetadataIlLi1EEENS1_25BinaryOpScalarListFunctorIlLi1ELi1ELi0EEEJSt10multipliesIlEEEEvT_T0_DpT1_: ; @_ZN2at6native12_GLOBAL__N_125multi_tensor_apply_kernelINS1_28TensorListScalarListMetadataIlLi1EEENS1_25BinaryOpScalarListFunctorIlLi1ELi1ELi0EEEJSt10multipliesIlEEEEvT_T0_DpT1_
; %bb.0:
	v_mov_b32_e32 v1, s15
	s_add_u32 s2, s0, s15
	s_mul_hi_u32 s3, s15, 3
	s_mul_i32 s15, s15, 3
	s_addc_u32 s4, s1, 0
	global_load_u8 v1, v1, s[0:1] offset:2304
	s_add_u32 s2, s2, s15
	s_addc_u32 s3, s4, s3
	s_mov_b32 s15, 0
	s_load_b32 s2, s[2:3], 0xa40
	s_waitcnt vmcnt(0)
	v_readfirstlane_b32 s5, v1
	s_delay_alu instid0(VALU_DEP_1)
	s_lshl_b32 s3, s5, 3
	s_clause 0x2
	s_load_b64 s[6:7], s[0:1], s3 offset:0x600
	s_load_b64 s[10:11], s[0:1], s3 offset:0x0
	;; [unrolled: 1-line block ×3, first 2 shown]
	s_waitcnt lgkmcnt(0)
	s_ashr_i32 s3, s2, 31
	s_delay_alu instid0(SALU_CYCLE_1)
	s_lshl_b64 s[12:13], s[2:3], 19
	s_lshl_b64 s[2:3], s[2:3], 16
	s_and_b32 s14, s10, 31
	s_sub_u32 s8, s4, s2
	s_subb_u32 s9, s5, s3
	s_and_b32 s2, s4, 3
	s_mov_b32 s3, s15
	s_delay_alu instid0(SALU_CYCLE_1) | instskip(NEXT) | instid1(SALU_CYCLE_1)
	s_or_b64 s[2:3], s[14:15], s[2:3]
	s_cmp_eq_u64 s[2:3], 0
	s_cbranch_scc1 .LBB27_21
; %bb.1:
	v_cmp_lt_i64_e64 s2, s[8:9], 1
	s_delay_alu instid0(VALU_DEP_1)
	s_and_b32 vcc_lo, exec_lo, s2
	s_cbranch_vccnz .LBB27_20
; %bb.2:
	s_load_b32 s2, s[0:1], 0xf54
	v_cmp_gt_u64_e64 s3, 0x10000, s[8:9]
	v_lshlrev_b32_e32 v1, 3, v0
	s_waitcnt lgkmcnt(0)
	s_and_b32 s2, s2, 0xffff
	s_delay_alu instid0(VALU_DEP_2)
	s_and_b32 s3, s3, exec_lo
	v_add_co_u32 v13, s5, v0, s2
	s_cselect_b32 s15, s9, 0
	s_cselect_b32 s14, s8, 0x10000
	s_lshl_b32 s3, s2, 1
	s_lshl_b32 s18, s2, 2
	v_lshlrev_b32_e32 v3, 3, v13
	v_add_co_ci_u32_e64 v14, null, 0, 0, s5
	s_add_u32 s5, s10, s12
	v_add_co_u32 v17, s3, s3, v0
	s_mul_i32 s4, s2, 3
	s_addc_u32 s16, s11, s13
	v_add_co_ci_u32_e64 v18, null, 0, 0, s3
	v_add_co_u32 v1, s3, s5, v1
	v_add_co_u32 v15, s4, s4, v0
	v_add_co_ci_u32_e64 v2, null, s16, 0, s3
	v_add_co_u32 v3, s3, s5, v3
	v_add_co_ci_u32_e64 v16, null, 0, 0, s4
	v_add_co_ci_u32_e64 v4, null, s16, 0, s3
	s_lshl_b32 s19, s2, 5
	s_mul_i32 s20, s2, 24
	s_lshl_b32 s21, s2, 4
	s_mov_b64 s[16:17], 0
	s_branch .LBB27_4
.LBB27_3:                               ;   in Loop: Header=BB27_4 Depth=1
	s_or_b32 exec_lo, exec_lo, s2
	s_add_u32 s16, s16, s18
	s_addc_u32 s17, s17, 0
	v_add_co_u32 v1, vcc_lo, v1, s19
	v_cmp_lt_i64_e64 s2, s[16:17], s[8:9]
	v_cmp_gt_u64_e64 s3, 0x10000, s[16:17]
	v_add_co_ci_u32_e32 v2, vcc_lo, 0, v2, vcc_lo
	v_add_co_u32 v3, vcc_lo, v3, s19
	v_add_co_ci_u32_e32 v4, vcc_lo, 0, v4, vcc_lo
	s_delay_alu instid0(VALU_DEP_4) | instskip(NEXT) | instid1(SALU_CYCLE_1)
	s_and_b32 s2, s2, s3
	s_and_b32 vcc_lo, exec_lo, s2
	s_cbranch_vccz .LBB27_20
.LBB27_4:                               ; =>This Inner Loop Header: Depth=1
	s_waitcnt vmcnt(0)
	v_add_co_u32 v7, s2, v0, s16
	s_delay_alu instid0(VALU_DEP_1) | instskip(SKIP_2) | instid1(VALU_DEP_3)
	v_add_co_ci_u32_e64 v8, null, 0, s17, s2
	v_mov_b32_e32 v5, 0
	v_mov_b32_e32 v6, 0
	v_cmp_gt_u64_e32 vcc_lo, s[14:15], v[7:8]
	s_delay_alu instid0(VALU_DEP_2)
	v_dual_mov_b32 v10, v6 :: v_dual_mov_b32 v9, v5
	s_and_saveexec_b32 s2, vcc_lo
	s_cbranch_execz .LBB27_6
; %bb.5:                                ;   in Loop: Header=BB27_4 Depth=1
	global_load_b64 v[9:10], v[1:2], off
.LBB27_6:                               ;   in Loop: Header=BB27_4 Depth=1
	s_or_b32 exec_lo, exec_lo, s2
	v_add_co_u32 v7, s2, v13, s16
	s_delay_alu instid0(VALU_DEP_1) | instskip(NEXT) | instid1(VALU_DEP_1)
	v_add_co_ci_u32_e64 v8, s2, s17, v14, s2
	v_cmp_gt_u64_e64 s2, s[14:15], v[7:8]
	s_delay_alu instid0(VALU_DEP_1)
	s_and_saveexec_b32 s3, s2
	s_cbranch_execz .LBB27_8
; %bb.7:                                ;   in Loop: Header=BB27_4 Depth=1
	global_load_b64 v[5:6], v[3:4], off
.LBB27_8:                               ;   in Loop: Header=BB27_4 Depth=1
	s_or_b32 exec_lo, exec_lo, s3
	v_add_co_u32 v11, s3, v17, s16
	s_delay_alu instid0(VALU_DEP_1) | instskip(SKIP_2) | instid1(VALU_DEP_3)
	v_add_co_ci_u32_e64 v12, s3, s17, v18, s3
	v_mov_b32_e32 v7, 0
	v_mov_b32_e32 v8, 0
	v_cmp_gt_u64_e64 s3, s[14:15], v[11:12]
	s_delay_alu instid0(VALU_DEP_2) | instskip(NEXT) | instid1(VALU_DEP_2)
	v_dual_mov_b32 v12, v8 :: v_dual_mov_b32 v11, v7
	s_and_saveexec_b32 s5, s3
	s_cbranch_execz .LBB27_10
; %bb.9:                                ;   in Loop: Header=BB27_4 Depth=1
	v_add_co_u32 v11, s4, v1, s21
	s_delay_alu instid0(VALU_DEP_1)
	v_add_co_ci_u32_e64 v12, s4, 0, v2, s4
	global_load_b64 v[11:12], v[11:12], off
.LBB27_10:                              ;   in Loop: Header=BB27_4 Depth=1
	s_or_b32 exec_lo, exec_lo, s5
	v_add_co_u32 v19, s4, v15, s16
	s_delay_alu instid0(VALU_DEP_1) | instskip(NEXT) | instid1(VALU_DEP_1)
	v_add_co_ci_u32_e64 v20, s4, s17, v16, s4
	v_cmp_gt_u64_e64 s4, s[14:15], v[19:20]
	s_delay_alu instid0(VALU_DEP_1)
	s_and_saveexec_b32 s22, s4
	s_cbranch_execnz .LBB27_15
; %bb.11:                               ;   in Loop: Header=BB27_4 Depth=1
	s_or_b32 exec_lo, exec_lo, s22
	s_and_saveexec_b32 s5, vcc_lo
	s_cbranch_execnz .LBB27_16
.LBB27_12:                              ;   in Loop: Header=BB27_4 Depth=1
	s_or_b32 exec_lo, exec_lo, s5
	s_and_saveexec_b32 s5, s2
	s_cbranch_execnz .LBB27_17
.LBB27_13:                              ;   in Loop: Header=BB27_4 Depth=1
	s_or_b32 exec_lo, exec_lo, s5
	s_and_saveexec_b32 s2, s3
	s_cbranch_execnz .LBB27_18
.LBB27_14:                              ;   in Loop: Header=BB27_4 Depth=1
	s_or_b32 exec_lo, exec_lo, s2
	s_and_saveexec_b32 s2, s4
	s_cbranch_execz .LBB27_3
	s_branch .LBB27_19
.LBB27_15:                              ;   in Loop: Header=BB27_4 Depth=1
	v_add_co_u32 v7, s5, v1, s20
	s_delay_alu instid0(VALU_DEP_1)
	v_add_co_ci_u32_e64 v8, s5, 0, v2, s5
	global_load_b64 v[7:8], v[7:8], off
	s_or_b32 exec_lo, exec_lo, s22
	s_and_saveexec_b32 s5, vcc_lo
	s_cbranch_execz .LBB27_12
.LBB27_16:                              ;   in Loop: Header=BB27_4 Depth=1
	s_waitcnt vmcnt(0)
	v_mul_lo_u32 v10, v10, s6
	v_mul_lo_u32 v21, v9, s7
	v_mad_u64_u32 v[19:20], null, v9, s6, 0
	s_delay_alu instid0(VALU_DEP_1)
	v_add3_u32 v20, v20, v21, v10
	global_store_b64 v[1:2], v[19:20], off
	s_or_b32 exec_lo, exec_lo, s5
	s_and_saveexec_b32 s5, s2
	s_cbranch_execz .LBB27_13
.LBB27_17:                              ;   in Loop: Header=BB27_4 Depth=1
	s_waitcnt vmcnt(0)
	v_mul_lo_u32 v6, v6, s6
	v_mul_lo_u32 v19, v5, s7
	v_mad_u64_u32 v[9:10], null, v5, s6, 0
	s_delay_alu instid0(VALU_DEP_1)
	v_add3_u32 v10, v10, v19, v6
	global_store_b64 v[3:4], v[9:10], off
	s_or_b32 exec_lo, exec_lo, s5
	s_and_saveexec_b32 s2, s3
	s_cbranch_execz .LBB27_14
.LBB27_18:                              ;   in Loop: Header=BB27_4 Depth=1
	s_waitcnt vmcnt(0)
	v_mul_lo_u32 v9, v12, s6
	v_mul_lo_u32 v10, v11, s7
	v_mad_u64_u32 v[5:6], null, v11, s6, 0
	s_delay_alu instid0(VALU_DEP_1)
	v_add3_u32 v6, v6, v10, v9
	v_add_co_u32 v9, vcc_lo, v1, s21
	v_add_co_ci_u32_e32 v10, vcc_lo, 0, v2, vcc_lo
	global_store_b64 v[9:10], v[5:6], off
	s_or_b32 exec_lo, exec_lo, s2
	s_and_saveexec_b32 s2, s4
	s_cbranch_execz .LBB27_3
.LBB27_19:                              ;   in Loop: Header=BB27_4 Depth=1
	s_waitcnt vmcnt(0)
	v_mul_lo_u32 v8, v8, s6
	v_mul_lo_u32 v9, v7, s7
	v_mad_u64_u32 v[5:6], null, v7, s6, 0
	v_add_co_u32 v7, vcc_lo, v1, s20
	s_delay_alu instid0(VALU_DEP_2)
	v_add3_u32 v6, v6, v9, v8
	v_add_co_ci_u32_e32 v8, vcc_lo, 0, v2, vcc_lo
	global_store_b64 v[7:8], v[5:6], off
	s_branch .LBB27_3
.LBB27_20:
	s_cbranch_execz .LBB27_22
	s_branch .LBB27_25
.LBB27_21:
.LBB27_22:
	v_dual_mov_b32 v2, 0 :: v_dual_lshlrev_b32 v1, 2, v0
	s_mov_b32 s2, 0
	s_mov_b32 s3, exec_lo
	s_delay_alu instid0(VALU_DEP_1)
	v_cmpx_gt_i64_e64 s[8:9], v[1:2]
	s_cbranch_execz .LBB27_25
; %bb.23:
	s_load_b32 s0, s[0:1], 0xf54
	v_lshlrev_b32_e32 v1, 5, v0
	s_waitcnt lgkmcnt(0)
	s_and_b32 s0, s0, 0xffff
	s_delay_alu instid0(SALU_CYCLE_1) | instskip(SKIP_3) | instid1(VALU_DEP_1)
	s_lshl_b32 s3, s0, 2
	s_add_u32 s1, s10, s12
	s_addc_u32 s4, s11, s13
	v_add_co_u32 v3, s1, s1, v1
	v_add_co_ci_u32_e64 v4, null, s4, 0, s1
	v_add_lshl_u32 v1, v0, s0, 2
	s_delay_alu instid0(VALU_DEP_3) | instskip(NEXT) | instid1(VALU_DEP_3)
	v_add_co_u32 v3, vcc_lo, v3, 16
	v_add_co_ci_u32_e32 v4, vcc_lo, 0, v4, vcc_lo
	s_lshl_b32 s4, s0, 5
.LBB27_24:                              ; =>This Inner Loop Header: Depth=1
	s_clause 0x1
	global_load_b128 v[5:8], v[3:4], off offset:-16
	global_load_b128 v[9:12], v[3:4], off
	v_cmp_le_i64_e32 vcc_lo, s[8:9], v[1:2]
	v_cmp_lt_u64_e64 s0, 0xffff, v[1:2]
	v_add_co_u32 v1, s1, v1, s3
	s_delay_alu instid0(VALU_DEP_1) | instskip(NEXT) | instid1(VALU_DEP_3)
	v_add_co_ci_u32_e64 v2, s1, 0, v2, s1
	s_or_b32 s0, vcc_lo, s0
	s_delay_alu instid0(SALU_CYCLE_1) | instskip(NEXT) | instid1(SALU_CYCLE_1)
	s_and_b32 s0, exec_lo, s0
	s_or_b32 s2, s0, s2
	s_waitcnt vmcnt(1)
	v_mul_lo_u32 v0, v6, s6
	v_mul_lo_u32 v17, v5, s7
	v_mad_u64_u32 v[13:14], null, v5, s6, 0
	v_mul_lo_u32 v18, v8, s6
	v_mul_lo_u32 v19, v7, s7
	v_mad_u64_u32 v[15:16], null, v7, s6, 0
	s_waitcnt vmcnt(0)
	v_mul_lo_u32 v10, v10, s6
	v_mul_lo_u32 v20, v9, s7
	v_mad_u64_u32 v[5:6], null, v9, s6, 0
	v_mul_lo_u32 v9, v12, s6
	v_mul_lo_u32 v12, v11, s7
	v_mad_u64_u32 v[7:8], null, v11, s6, 0
	v_add3_u32 v14, v14, v17, v0
	v_add3_u32 v16, v16, v19, v18
	;; [unrolled: 1-line block ×3, first 2 shown]
	s_delay_alu instid0(VALU_DEP_4)
	v_add3_u32 v8, v8, v12, v9
	s_clause 0x1
	global_store_b128 v[3:4], v[13:16], off offset:-16
	global_store_b128 v[3:4], v[5:8], off
	v_add_co_u32 v3, vcc_lo, v3, s4
	v_add_co_ci_u32_e32 v4, vcc_lo, 0, v4, vcc_lo
	s_and_not1_b32 exec_lo, exec_lo, s2
	s_cbranch_execnz .LBB27_24
.LBB27_25:
	s_nop 0
	s_sendmsg sendmsg(MSG_DEALLOC_VGPRS)
	s_endpgm
	.section	.rodata,"a",@progbits
	.p2align	6, 0x0
	.amdhsa_kernel _ZN2at6native12_GLOBAL__N_125multi_tensor_apply_kernelINS1_28TensorListScalarListMetadataIlLi1EEENS1_25BinaryOpScalarListFunctorIlLi1ELi1ELi0EEEJSt10multipliesIlEEEEvT_T0_DpT1_
		.amdhsa_group_segment_fixed_size 0
		.amdhsa_private_segment_fixed_size 0
		.amdhsa_kernarg_size 4168
		.amdhsa_user_sgpr_count 15
		.amdhsa_user_sgpr_dispatch_ptr 0
		.amdhsa_user_sgpr_queue_ptr 0
		.amdhsa_user_sgpr_kernarg_segment_ptr 1
		.amdhsa_user_sgpr_dispatch_id 0
		.amdhsa_user_sgpr_private_segment_size 0
		.amdhsa_wavefront_size32 1
		.amdhsa_uses_dynamic_stack 0
		.amdhsa_enable_private_segment 0
		.amdhsa_system_sgpr_workgroup_id_x 1
		.amdhsa_system_sgpr_workgroup_id_y 0
		.amdhsa_system_sgpr_workgroup_id_z 0
		.amdhsa_system_sgpr_workgroup_info 0
		.amdhsa_system_vgpr_workitem_id 0
		.amdhsa_next_free_vgpr 22
		.amdhsa_next_free_sgpr 23
		.amdhsa_reserve_vcc 1
		.amdhsa_float_round_mode_32 0
		.amdhsa_float_round_mode_16_64 0
		.amdhsa_float_denorm_mode_32 3
		.amdhsa_float_denorm_mode_16_64 3
		.amdhsa_dx10_clamp 1
		.amdhsa_ieee_mode 1
		.amdhsa_fp16_overflow 0
		.amdhsa_workgroup_processor_mode 1
		.amdhsa_memory_ordered 1
		.amdhsa_forward_progress 0
		.amdhsa_shared_vgpr_count 0
		.amdhsa_exception_fp_ieee_invalid_op 0
		.amdhsa_exception_fp_denorm_src 0
		.amdhsa_exception_fp_ieee_div_zero 0
		.amdhsa_exception_fp_ieee_overflow 0
		.amdhsa_exception_fp_ieee_underflow 0
		.amdhsa_exception_fp_ieee_inexact 0
		.amdhsa_exception_int_div_zero 0
	.end_amdhsa_kernel
	.section	.text._ZN2at6native12_GLOBAL__N_125multi_tensor_apply_kernelINS1_28TensorListScalarListMetadataIlLi1EEENS1_25BinaryOpScalarListFunctorIlLi1ELi1ELi0EEEJSt10multipliesIlEEEEvT_T0_DpT1_,"axG",@progbits,_ZN2at6native12_GLOBAL__N_125multi_tensor_apply_kernelINS1_28TensorListScalarListMetadataIlLi1EEENS1_25BinaryOpScalarListFunctorIlLi1ELi1ELi0EEEJSt10multipliesIlEEEEvT_T0_DpT1_,comdat
.Lfunc_end27:
	.size	_ZN2at6native12_GLOBAL__N_125multi_tensor_apply_kernelINS1_28TensorListScalarListMetadataIlLi1EEENS1_25BinaryOpScalarListFunctorIlLi1ELi1ELi0EEEJSt10multipliesIlEEEEvT_T0_DpT1_, .Lfunc_end27-_ZN2at6native12_GLOBAL__N_125multi_tensor_apply_kernelINS1_28TensorListScalarListMetadataIlLi1EEENS1_25BinaryOpScalarListFunctorIlLi1ELi1ELi0EEEJSt10multipliesIlEEEEvT_T0_DpT1_
                                        ; -- End function
	.section	.AMDGPU.csdata,"",@progbits
; Kernel info:
; codeLenInByte = 1404
; NumSgprs: 25
; NumVgprs: 22
; ScratchSize: 0
; MemoryBound: 0
; FloatMode: 240
; IeeeMode: 1
; LDSByteSize: 0 bytes/workgroup (compile time only)
; SGPRBlocks: 3
; VGPRBlocks: 2
; NumSGPRsForWavesPerEU: 25
; NumVGPRsForWavesPerEU: 22
; Occupancy: 16
; WaveLimiterHint : 1
; COMPUTE_PGM_RSRC2:SCRATCH_EN: 0
; COMPUTE_PGM_RSRC2:USER_SGPR: 15
; COMPUTE_PGM_RSRC2:TRAP_HANDLER: 0
; COMPUTE_PGM_RSRC2:TGID_X_EN: 1
; COMPUTE_PGM_RSRC2:TGID_Y_EN: 0
; COMPUTE_PGM_RSRC2:TGID_Z_EN: 0
; COMPUTE_PGM_RSRC2:TIDIG_COMP_CNT: 0
	.section	.text._ZN2at6native12_GLOBAL__N_125multi_tensor_apply_kernelINS1_28TensorListScalarListMetadataIsLi1EEENS1_25BinaryOpScalarListFunctorIsLi1ELi1ELi0EEEJSt10multipliesIsEEEEvT_T0_DpT1_,"axG",@progbits,_ZN2at6native12_GLOBAL__N_125multi_tensor_apply_kernelINS1_28TensorListScalarListMetadataIsLi1EEENS1_25BinaryOpScalarListFunctorIsLi1ELi1ELi0EEEJSt10multipliesIsEEEEvT_T0_DpT1_,comdat
	.globl	_ZN2at6native12_GLOBAL__N_125multi_tensor_apply_kernelINS1_28TensorListScalarListMetadataIsLi1EEENS1_25BinaryOpScalarListFunctorIsLi1ELi1ELi0EEEJSt10multipliesIsEEEEvT_T0_DpT1_ ; -- Begin function _ZN2at6native12_GLOBAL__N_125multi_tensor_apply_kernelINS1_28TensorListScalarListMetadataIsLi1EEENS1_25BinaryOpScalarListFunctorIsLi1ELi1ELi0EEEJSt10multipliesIsEEEEvT_T0_DpT1_
	.p2align	8
	.type	_ZN2at6native12_GLOBAL__N_125multi_tensor_apply_kernelINS1_28TensorListScalarListMetadataIsLi1EEENS1_25BinaryOpScalarListFunctorIsLi1ELi1ELi0EEEJSt10multipliesIsEEEEvT_T0_DpT1_,@function
_ZN2at6native12_GLOBAL__N_125multi_tensor_apply_kernelINS1_28TensorListScalarListMetadataIsLi1EEENS1_25BinaryOpScalarListFunctorIsLi1ELi1ELi0EEEJSt10multipliesIsEEEEvT_T0_DpT1_: ; @_ZN2at6native12_GLOBAL__N_125multi_tensor_apply_kernelINS1_28TensorListScalarListMetadataIsLi1EEENS1_25BinaryOpScalarListFunctorIsLi1ELi1ELi0EEEJSt10multipliesIsEEEEvT_T0_DpT1_
; %bb.0:
	v_mov_b32_e32 v1, s15
	s_add_u32 s2, s0, s15
	s_mul_i32 s3, s15, 3
	s_mul_hi_u32 s4, s15, 3
	s_addc_u32 s5, s1, 0
	global_load_u8 v1, v1, s[0:1] offset:1728
	s_add_u32 s2, s2, s3
	s_addc_u32 s3, s5, s4
	s_load_b32 s2, s[2:3], 0x800
	s_waitcnt vmcnt(0)
	v_readfirstlane_b32 s3, v1
	v_mul_lo_u32 v2, v1, -6
	v_mul_hi_i32 v3, v1, -6
	s_delay_alu instid0(VALU_DEP_3) | instskip(SKIP_4) | instid1(VALU_DEP_2)
	s_lshl_b32 s6, s3, 3
	s_waitcnt lgkmcnt(0)
	s_ashr_i32 s3, s2, 31
	s_add_u32 s7, s0, s6
	s_addc_u32 s8, s1, 0
	v_add_co_u32 v1, vcc_lo, s7, v2
	s_delay_alu instid0(VALU_DEP_2)
	v_add_co_ci_u32_e32 v2, vcc_lo, s8, v3, vcc_lo
	s_load_b64 s[4:5], s[0:1], s6 offset:0x300
	s_lshl_b64 s[10:11], s[2:3], 17
	s_lshl_b64 s[2:3], s[2:3], 16
	global_load_u16 v5, v[1:2], off offset:1536
	s_load_b64 s[8:9], s[0:1], s6 offset:0x0
	s_waitcnt lgkmcnt(0)
	s_and_b32 s12, s8, 7
	s_sub_u32 s6, s4, s2
	s_subb_u32 s7, s5, s3
	s_and_b32 s2, s4, 3
	s_mov_b32 s3, 0
	s_or_b32 s2, s12, s2
	s_delay_alu instid0(SALU_CYCLE_1)
	s_cmp_eq_u64 s[2:3], 0
	s_cbranch_scc1 .LBB28_21
; %bb.1:
	v_cmp_lt_i64_e64 s2, s[6:7], 1
	s_delay_alu instid0(VALU_DEP_1)
	s_and_b32 vcc_lo, exec_lo, s2
	s_cbranch_vccnz .LBB28_20
; %bb.2:
	s_load_b32 s2, s[0:1], 0xd14
	v_cmp_gt_u64_e64 s3, 0x10000, s[6:7]
	v_lshlrev_b32_e32 v1, 1, v0
	s_waitcnt lgkmcnt(0)
	s_and_b32 s2, s2, 0xffff
	s_delay_alu instid0(VALU_DEP_2)
	s_and_b32 s3, s3, exec_lo
	v_add_co_u32 v6, s5, v0, s2
	s_cselect_b32 s13, s7, 0
	s_cselect_b32 s12, s6, 0x10000
	s_lshl_b32 s3, s2, 1
	s_lshl_b32 s16, s2, 2
	v_lshlrev_b32_e32 v3, 1, v6
	v_add_co_ci_u32_e64 v7, null, 0, 0, s5
	s_add_u32 s5, s8, s10
	v_add_co_u32 v10, s3, s3, v0
	s_mul_i32 s4, s2, 3
	s_addc_u32 s14, s9, s11
	v_add_co_ci_u32_e64 v11, null, 0, 0, s3
	v_add_co_u32 v1, s3, s5, v1
	v_add_co_u32 v8, s4, s4, v0
	v_add_co_ci_u32_e64 v2, null, s14, 0, s3
	v_add_co_u32 v3, s3, s5, v3
	v_add_co_ci_u32_e64 v9, null, 0, 0, s4
	v_add_co_ci_u32_e64 v4, null, s14, 0, s3
	s_lshl_b32 s17, s2, 3
	s_mul_i32 s18, s2, 6
	s_mov_b64 s[14:15], 0
	s_branch .LBB28_4
.LBB28_3:                               ;   in Loop: Header=BB28_4 Depth=1
	s_or_b32 exec_lo, exec_lo, s2
	s_add_u32 s14, s14, s16
	s_addc_u32 s15, s15, 0
	v_add_co_u32 v1, vcc_lo, v1, s17
	v_cmp_lt_i64_e64 s2, s[14:15], s[6:7]
	v_cmp_gt_u64_e64 s3, 0x10000, s[14:15]
	v_add_co_ci_u32_e32 v2, vcc_lo, 0, v2, vcc_lo
	v_add_co_u32 v3, vcc_lo, v3, s17
	v_add_co_ci_u32_e32 v4, vcc_lo, 0, v4, vcc_lo
	s_delay_alu instid0(VALU_DEP_4) | instskip(NEXT) | instid1(SALU_CYCLE_1)
	s_and_b32 s2, s2, s3
	s_and_b32 vcc_lo, exec_lo, s2
	s_cbranch_vccz .LBB28_20
.LBB28_4:                               ; =>This Inner Loop Header: Depth=1
	s_waitcnt vmcnt(0)
	v_add_co_u32 v12, s2, v0, s14
	s_delay_alu instid0(VALU_DEP_1) | instskip(NEXT) | instid1(VALU_DEP_1)
	v_add_co_ci_u32_e64 v13, null, 0, s15, s2
	v_cmp_gt_u64_e32 vcc_lo, s[12:13], v[12:13]
	v_mov_b32_e32 v12, 0
	s_and_saveexec_b32 s2, vcc_lo
	s_cbranch_execz .LBB28_6
; %bb.5:                                ;   in Loop: Header=BB28_4 Depth=1
	global_load_u16 v12, v[1:2], off
.LBB28_6:                               ;   in Loop: Header=BB28_4 Depth=1
	s_or_b32 exec_lo, exec_lo, s2
	v_add_co_u32 v13, s2, v6, s14
	s_delay_alu instid0(VALU_DEP_1) | instskip(NEXT) | instid1(VALU_DEP_1)
	v_add_co_ci_u32_e64 v14, s2, s15, v7, s2
	v_cmp_gt_u64_e64 s2, s[12:13], v[13:14]
	v_mov_b32_e32 v14, 0
	s_delay_alu instid0(VALU_DEP_2)
	s_and_saveexec_b32 s3, s2
	s_cbranch_execz .LBB28_8
; %bb.7:                                ;   in Loop: Header=BB28_4 Depth=1
	global_load_u16 v14, v[3:4], off
.LBB28_8:                               ;   in Loop: Header=BB28_4 Depth=1
	s_or_b32 exec_lo, exec_lo, s3
	v_add_co_u32 v15, s3, v10, s14
	s_delay_alu instid0(VALU_DEP_1) | instskip(SKIP_1) | instid1(VALU_DEP_2)
	v_add_co_ci_u32_e64 v16, s3, s15, v11, s3
	v_mov_b32_e32 v13, 0
	v_cmp_gt_u64_e64 s3, s[12:13], v[15:16]
	v_mov_b32_e32 v15, 0
	s_delay_alu instid0(VALU_DEP_2)
	s_and_saveexec_b32 s5, s3
	s_cbranch_execz .LBB28_10
; %bb.9:                                ;   in Loop: Header=BB28_4 Depth=1
	v_add_co_u32 v15, s4, v1, s16
	s_delay_alu instid0(VALU_DEP_1)
	v_add_co_ci_u32_e64 v16, s4, 0, v2, s4
	global_load_u16 v15, v[15:16], off
.LBB28_10:                              ;   in Loop: Header=BB28_4 Depth=1
	s_or_b32 exec_lo, exec_lo, s5
	v_add_co_u32 v16, s4, v8, s14
	s_delay_alu instid0(VALU_DEP_1) | instskip(NEXT) | instid1(VALU_DEP_1)
	v_add_co_ci_u32_e64 v17, s4, s15, v9, s4
	v_cmp_gt_u64_e64 s4, s[12:13], v[16:17]
	s_delay_alu instid0(VALU_DEP_1)
	s_and_saveexec_b32 s19, s4
	s_cbranch_execnz .LBB28_15
; %bb.11:                               ;   in Loop: Header=BB28_4 Depth=1
	s_or_b32 exec_lo, exec_lo, s19
	s_and_saveexec_b32 s5, vcc_lo
	s_cbranch_execnz .LBB28_16
.LBB28_12:                              ;   in Loop: Header=BB28_4 Depth=1
	s_or_b32 exec_lo, exec_lo, s5
	s_and_saveexec_b32 s5, s2
	s_cbranch_execnz .LBB28_17
.LBB28_13:                              ;   in Loop: Header=BB28_4 Depth=1
	s_or_b32 exec_lo, exec_lo, s5
	s_and_saveexec_b32 s2, s3
	s_cbranch_execnz .LBB28_18
.LBB28_14:                              ;   in Loop: Header=BB28_4 Depth=1
	s_or_b32 exec_lo, exec_lo, s2
	s_and_saveexec_b32 s2, s4
	s_cbranch_execz .LBB28_3
	s_branch .LBB28_19
.LBB28_15:                              ;   in Loop: Header=BB28_4 Depth=1
	v_add_co_u32 v16, s5, v1, s18
	s_delay_alu instid0(VALU_DEP_1)
	v_add_co_ci_u32_e64 v17, s5, 0, v2, s5
	global_load_u16 v13, v[16:17], off
	s_or_b32 exec_lo, exec_lo, s19
	s_and_saveexec_b32 s5, vcc_lo
	s_cbranch_execz .LBB28_12
.LBB28_16:                              ;   in Loop: Header=BB28_4 Depth=1
	s_waitcnt vmcnt(0)
	v_mul_lo_u16 v12, v12, v5
	global_store_b16 v[1:2], v12, off
	s_or_b32 exec_lo, exec_lo, s5
	s_and_saveexec_b32 s5, s2
	s_cbranch_execz .LBB28_13
.LBB28_17:                              ;   in Loop: Header=BB28_4 Depth=1
	s_waitcnt vmcnt(0)
	v_mul_lo_u16 v12, v14, v5
	global_store_b16 v[3:4], v12, off
	s_or_b32 exec_lo, exec_lo, s5
	s_and_saveexec_b32 s2, s3
	s_cbranch_execz .LBB28_14
.LBB28_18:                              ;   in Loop: Header=BB28_4 Depth=1
	s_waitcnt vmcnt(0)
	v_add_co_u32 v14, vcc_lo, v1, s16
	v_mul_lo_u16 v12, v15, v5
	v_add_co_ci_u32_e32 v15, vcc_lo, 0, v2, vcc_lo
	global_store_b16 v[14:15], v12, off
	s_or_b32 exec_lo, exec_lo, s2
	s_and_saveexec_b32 s2, s4
	s_cbranch_execz .LBB28_3
.LBB28_19:                              ;   in Loop: Header=BB28_4 Depth=1
	s_waitcnt vmcnt(0)
	v_add_co_u32 v12, vcc_lo, v1, s18
	v_mul_lo_u16 v14, v13, v5
	v_add_co_ci_u32_e32 v13, vcc_lo, 0, v2, vcc_lo
	global_store_b16 v[12:13], v14, off
	s_branch .LBB28_3
.LBB28_20:
	s_cbranch_execz .LBB28_22
	s_branch .LBB28_25
.LBB28_21:
.LBB28_22:
	v_dual_mov_b32 v2, 0 :: v_dual_lshlrev_b32 v1, 2, v0
	s_mov_b32 s2, 0
	s_mov_b32 s3, exec_lo
	s_delay_alu instid0(VALU_DEP_1)
	v_cmpx_gt_i64_e64 s[6:7], v[1:2]
	s_cbranch_execz .LBB28_25
; %bb.23:
	s_load_b32 s0, s[0:1], 0xd14
	v_lshlrev_b32_e32 v1, 3, v0
	s_waitcnt lgkmcnt(0)
	s_and_b32 s0, s0, 0xffff
	s_add_u32 s1, s8, s10
	s_addc_u32 s3, s9, s11
	v_add_co_u32 v3, s1, s1, v1
	s_delay_alu instid0(VALU_DEP_1)
	v_add_co_ci_u32_e64 v4, null, s3, 0, s1
	v_add_lshl_u32 v1, v0, s0, 2
	s_lshl_b32 s3, s0, 3
	s_lshl_b32 s4, s0, 2
	s_set_inst_prefetch_distance 0x1
	.p2align	6
.LBB28_24:                              ; =>This Inner Loop Header: Depth=1
	global_load_b64 v[6:7], v[3:4], off
	v_cmp_le_i64_e32 vcc_lo, s[6:7], v[1:2]
	v_cmp_lt_u64_e64 s0, 0xffff, v[1:2]
	v_add_co_u32 v1, s1, v1, s4
	s_delay_alu instid0(VALU_DEP_1) | instskip(NEXT) | instid1(VALU_DEP_3)
	v_add_co_ci_u32_e64 v2, s1, 0, v2, s1
	s_or_b32 s0, vcc_lo, s0
	s_delay_alu instid0(SALU_CYCLE_1) | instskip(NEXT) | instid1(SALU_CYCLE_1)
	s_and_b32 s0, exec_lo, s0
	s_or_b32 s2, s0, s2
	s_waitcnt vmcnt(0)
	v_lshrrev_b32_e32 v0, 16, v7
	v_lshrrev_b32_e32 v8, 16, v6
	v_mul_lo_u16 v7, v5, v7
	v_mul_lo_u16 v6, v5, v6
	s_delay_alu instid0(VALU_DEP_4) | instskip(NEXT) | instid1(VALU_DEP_4)
	v_mul_lo_u16 v0, v5, v0
	v_mul_lo_u16 v8, v5, v8
	s_delay_alu instid0(VALU_DEP_4) | instskip(NEXT) | instid1(VALU_DEP_4)
	v_and_b32_e32 v7, 0xffff, v7
	v_and_b32_e32 v6, 0xffff, v6
	s_delay_alu instid0(VALU_DEP_4) | instskip(NEXT) | instid1(VALU_DEP_4)
	v_lshlrev_b32_e32 v0, 16, v0
	v_lshlrev_b32_e32 v8, 16, v8
	s_delay_alu instid0(VALU_DEP_2) | instskip(NEXT) | instid1(VALU_DEP_2)
	v_or_b32_e32 v7, v0, v7
	v_or_b32_e32 v6, v8, v6
	global_store_b64 v[3:4], v[6:7], off
	v_add_co_u32 v3, vcc_lo, v3, s3
	v_add_co_ci_u32_e32 v4, vcc_lo, 0, v4, vcc_lo
	s_and_not1_b32 exec_lo, exec_lo, s2
	s_cbranch_execnz .LBB28_24
.LBB28_25:
	s_set_inst_prefetch_distance 0x2
	s_nop 0
	s_sendmsg sendmsg(MSG_DEALLOC_VGPRS)
	s_endpgm
	.section	.rodata,"a",@progbits
	.p2align	6, 0x0
	.amdhsa_kernel _ZN2at6native12_GLOBAL__N_125multi_tensor_apply_kernelINS1_28TensorListScalarListMetadataIsLi1EEENS1_25BinaryOpScalarListFunctorIsLi1ELi1ELi0EEEJSt10multipliesIsEEEEvT_T0_DpT1_
		.amdhsa_group_segment_fixed_size 0
		.amdhsa_private_segment_fixed_size 0
		.amdhsa_kernarg_size 3592
		.amdhsa_user_sgpr_count 15
		.amdhsa_user_sgpr_dispatch_ptr 0
		.amdhsa_user_sgpr_queue_ptr 0
		.amdhsa_user_sgpr_kernarg_segment_ptr 1
		.amdhsa_user_sgpr_dispatch_id 0
		.amdhsa_user_sgpr_private_segment_size 0
		.amdhsa_wavefront_size32 1
		.amdhsa_uses_dynamic_stack 0
		.amdhsa_enable_private_segment 0
		.amdhsa_system_sgpr_workgroup_id_x 1
		.amdhsa_system_sgpr_workgroup_id_y 0
		.amdhsa_system_sgpr_workgroup_id_z 0
		.amdhsa_system_sgpr_workgroup_info 0
		.amdhsa_system_vgpr_workitem_id 0
		.amdhsa_next_free_vgpr 18
		.amdhsa_next_free_sgpr 20
		.amdhsa_reserve_vcc 1
		.amdhsa_float_round_mode_32 0
		.amdhsa_float_round_mode_16_64 0
		.amdhsa_float_denorm_mode_32 3
		.amdhsa_float_denorm_mode_16_64 3
		.amdhsa_dx10_clamp 1
		.amdhsa_ieee_mode 1
		.amdhsa_fp16_overflow 0
		.amdhsa_workgroup_processor_mode 1
		.amdhsa_memory_ordered 1
		.amdhsa_forward_progress 0
		.amdhsa_shared_vgpr_count 0
		.amdhsa_exception_fp_ieee_invalid_op 0
		.amdhsa_exception_fp_denorm_src 0
		.amdhsa_exception_fp_ieee_div_zero 0
		.amdhsa_exception_fp_ieee_overflow 0
		.amdhsa_exception_fp_ieee_underflow 0
		.amdhsa_exception_fp_ieee_inexact 0
		.amdhsa_exception_int_div_zero 0
	.end_amdhsa_kernel
	.section	.text._ZN2at6native12_GLOBAL__N_125multi_tensor_apply_kernelINS1_28TensorListScalarListMetadataIsLi1EEENS1_25BinaryOpScalarListFunctorIsLi1ELi1ELi0EEEJSt10multipliesIsEEEEvT_T0_DpT1_,"axG",@progbits,_ZN2at6native12_GLOBAL__N_125multi_tensor_apply_kernelINS1_28TensorListScalarListMetadataIsLi1EEENS1_25BinaryOpScalarListFunctorIsLi1ELi1ELi0EEEJSt10multipliesIsEEEEvT_T0_DpT1_,comdat
.Lfunc_end28:
	.size	_ZN2at6native12_GLOBAL__N_125multi_tensor_apply_kernelINS1_28TensorListScalarListMetadataIsLi1EEENS1_25BinaryOpScalarListFunctorIsLi1ELi1ELi0EEEJSt10multipliesIsEEEEvT_T0_DpT1_, .Lfunc_end28-_ZN2at6native12_GLOBAL__N_125multi_tensor_apply_kernelINS1_28TensorListScalarListMetadataIsLi1EEENS1_25BinaryOpScalarListFunctorIsLi1ELi1ELi0EEEJSt10multipliesIsEEEEvT_T0_DpT1_
                                        ; -- End function
	.section	.AMDGPU.csdata,"",@progbits
; Kernel info:
; codeLenInByte = 1220
; NumSgprs: 22
; NumVgprs: 18
; ScratchSize: 0
; MemoryBound: 0
; FloatMode: 240
; IeeeMode: 1
; LDSByteSize: 0 bytes/workgroup (compile time only)
; SGPRBlocks: 2
; VGPRBlocks: 2
; NumSGPRsForWavesPerEU: 22
; NumVGPRsForWavesPerEU: 18
; Occupancy: 16
; WaveLimiterHint : 0
; COMPUTE_PGM_RSRC2:SCRATCH_EN: 0
; COMPUTE_PGM_RSRC2:USER_SGPR: 15
; COMPUTE_PGM_RSRC2:TRAP_HANDLER: 0
; COMPUTE_PGM_RSRC2:TGID_X_EN: 1
; COMPUTE_PGM_RSRC2:TGID_Y_EN: 0
; COMPUTE_PGM_RSRC2:TGID_Z_EN: 0
; COMPUTE_PGM_RSRC2:TIDIG_COMP_CNT: 0
	.section	.text._ZN2at6native12_GLOBAL__N_125multi_tensor_apply_kernelINS1_28TensorListScalarListMetadataIdLi1EEENS1_25BinaryOpScalarListFunctorIdLi1ELi1ELi0EEEJSt10multipliesIdEEEEvT_T0_DpT1_,"axG",@progbits,_ZN2at6native12_GLOBAL__N_125multi_tensor_apply_kernelINS1_28TensorListScalarListMetadataIdLi1EEENS1_25BinaryOpScalarListFunctorIdLi1ELi1ELi0EEEJSt10multipliesIdEEEEvT_T0_DpT1_,comdat
	.globl	_ZN2at6native12_GLOBAL__N_125multi_tensor_apply_kernelINS1_28TensorListScalarListMetadataIdLi1EEENS1_25BinaryOpScalarListFunctorIdLi1ELi1ELi0EEEJSt10multipliesIdEEEEvT_T0_DpT1_ ; -- Begin function _ZN2at6native12_GLOBAL__N_125multi_tensor_apply_kernelINS1_28TensorListScalarListMetadataIdLi1EEENS1_25BinaryOpScalarListFunctorIdLi1ELi1ELi0EEEJSt10multipliesIdEEEEvT_T0_DpT1_
	.p2align	8
	.type	_ZN2at6native12_GLOBAL__N_125multi_tensor_apply_kernelINS1_28TensorListScalarListMetadataIdLi1EEENS1_25BinaryOpScalarListFunctorIdLi1ELi1ELi0EEEJSt10multipliesIdEEEEvT_T0_DpT1_,@function
_ZN2at6native12_GLOBAL__N_125multi_tensor_apply_kernelINS1_28TensorListScalarListMetadataIdLi1EEENS1_25BinaryOpScalarListFunctorIdLi1ELi1ELi0EEEJSt10multipliesIdEEEEvT_T0_DpT1_: ; @_ZN2at6native12_GLOBAL__N_125multi_tensor_apply_kernelINS1_28TensorListScalarListMetadataIdLi1EEENS1_25BinaryOpScalarListFunctorIdLi1ELi1ELi0EEEJSt10multipliesIdEEEEvT_T0_DpT1_
; %bb.0:
	v_mov_b32_e32 v1, s15
	s_add_u32 s2, s0, s15
	s_mul_hi_u32 s3, s15, 3
	s_mul_i32 s15, s15, 3
	s_addc_u32 s4, s1, 0
	global_load_u8 v1, v1, s[0:1] offset:2304
	s_add_u32 s2, s2, s15
	s_addc_u32 s3, s4, s3
	s_mov_b32 s15, 0
	s_load_b32 s2, s[2:3], 0xa40
	s_waitcnt vmcnt(0)
	v_readfirstlane_b32 s5, v1
	s_delay_alu instid0(VALU_DEP_1)
	s_lshl_b32 s3, s5, 3
	s_clause 0x2
	s_load_b64 s[6:7], s[0:1], s3 offset:0x600
	s_load_b64 s[10:11], s[0:1], s3 offset:0x0
	;; [unrolled: 1-line block ×3, first 2 shown]
	s_waitcnt lgkmcnt(0)
	s_ashr_i32 s3, s2, 31
	s_delay_alu instid0(SALU_CYCLE_1)
	s_lshl_b64 s[12:13], s[2:3], 19
	s_lshl_b64 s[2:3], s[2:3], 16
	s_and_b32 s14, s10, 31
	s_sub_u32 s8, s4, s2
	s_subb_u32 s9, s5, s3
	s_and_b32 s2, s4, 3
	s_mov_b32 s3, s15
	s_delay_alu instid0(SALU_CYCLE_1) | instskip(NEXT) | instid1(SALU_CYCLE_1)
	s_or_b64 s[2:3], s[14:15], s[2:3]
	s_cmp_eq_u64 s[2:3], 0
	s_cbranch_scc1 .LBB29_21
; %bb.1:
	v_cmp_lt_i64_e64 s2, s[8:9], 1
	s_delay_alu instid0(VALU_DEP_1)
	s_and_b32 vcc_lo, exec_lo, s2
	s_cbranch_vccnz .LBB29_20
; %bb.2:
	s_load_b32 s2, s[0:1], 0xf54
	v_cmp_gt_u64_e64 s3, 0x10000, s[8:9]
	v_lshlrev_b32_e32 v1, 3, v0
	s_waitcnt lgkmcnt(0)
	s_and_b32 s2, s2, 0xffff
	s_delay_alu instid0(VALU_DEP_2)
	s_and_b32 s3, s3, exec_lo
	v_add_co_u32 v13, s5, v0, s2
	s_cselect_b32 s15, s9, 0
	s_cselect_b32 s14, s8, 0x10000
	s_lshl_b32 s3, s2, 1
	s_lshl_b32 s18, s2, 2
	v_lshlrev_b32_e32 v3, 3, v13
	v_add_co_ci_u32_e64 v14, null, 0, 0, s5
	s_add_u32 s5, s10, s12
	v_add_co_u32 v17, s3, s3, v0
	s_mul_i32 s4, s2, 3
	s_addc_u32 s16, s11, s13
	v_add_co_ci_u32_e64 v18, null, 0, 0, s3
	v_add_co_u32 v1, s3, s5, v1
	v_add_co_u32 v15, s4, s4, v0
	v_add_co_ci_u32_e64 v2, null, s16, 0, s3
	v_add_co_u32 v3, s3, s5, v3
	v_add_co_ci_u32_e64 v16, null, 0, 0, s4
	v_add_co_ci_u32_e64 v4, null, s16, 0, s3
	s_lshl_b32 s19, s2, 5
	s_mul_i32 s20, s2, 24
	s_lshl_b32 s21, s2, 4
	s_mov_b64 s[16:17], 0
	s_branch .LBB29_4
.LBB29_3:                               ;   in Loop: Header=BB29_4 Depth=1
	s_or_b32 exec_lo, exec_lo, s2
	s_add_u32 s16, s16, s18
	s_addc_u32 s17, s17, 0
	v_add_co_u32 v1, vcc_lo, v1, s19
	v_cmp_lt_i64_e64 s2, s[16:17], s[8:9]
	v_cmp_gt_u64_e64 s3, 0x10000, s[16:17]
	v_add_co_ci_u32_e32 v2, vcc_lo, 0, v2, vcc_lo
	v_add_co_u32 v3, vcc_lo, v3, s19
	v_add_co_ci_u32_e32 v4, vcc_lo, 0, v4, vcc_lo
	s_delay_alu instid0(VALU_DEP_4) | instskip(NEXT) | instid1(SALU_CYCLE_1)
	s_and_b32 s2, s2, s3
	s_and_b32 vcc_lo, exec_lo, s2
	s_cbranch_vccz .LBB29_20
.LBB29_4:                               ; =>This Inner Loop Header: Depth=1
	s_waitcnt vmcnt(0)
	v_add_co_u32 v7, s2, v0, s16
	s_delay_alu instid0(VALU_DEP_1) | instskip(SKIP_2) | instid1(VALU_DEP_3)
	v_add_co_ci_u32_e64 v8, null, 0, s17, s2
	v_mov_b32_e32 v5, 0
	v_mov_b32_e32 v6, 0
	v_cmp_gt_u64_e32 vcc_lo, s[14:15], v[7:8]
	s_delay_alu instid0(VALU_DEP_2)
	v_dual_mov_b32 v8, v6 :: v_dual_mov_b32 v7, v5
	s_and_saveexec_b32 s2, vcc_lo
	s_cbranch_execz .LBB29_6
; %bb.5:                                ;   in Loop: Header=BB29_4 Depth=1
	global_load_b64 v[7:8], v[1:2], off
.LBB29_6:                               ;   in Loop: Header=BB29_4 Depth=1
	s_or_b32 exec_lo, exec_lo, s2
	v_add_co_u32 v9, s2, v13, s16
	s_delay_alu instid0(VALU_DEP_1) | instskip(NEXT) | instid1(VALU_DEP_1)
	v_add_co_ci_u32_e64 v10, s2, s17, v14, s2
	v_cmp_gt_u64_e64 s2, s[14:15], v[9:10]
	s_delay_alu instid0(VALU_DEP_1)
	s_and_saveexec_b32 s3, s2
	s_cbranch_execz .LBB29_8
; %bb.7:                                ;   in Loop: Header=BB29_4 Depth=1
	global_load_b64 v[5:6], v[3:4], off
.LBB29_8:                               ;   in Loop: Header=BB29_4 Depth=1
	s_or_b32 exec_lo, exec_lo, s3
	v_add_co_u32 v11, s3, v17, s16
	s_delay_alu instid0(VALU_DEP_1) | instskip(SKIP_2) | instid1(VALU_DEP_3)
	v_add_co_ci_u32_e64 v12, s3, s17, v18, s3
	v_mov_b32_e32 v9, 0
	v_mov_b32_e32 v10, 0
	v_cmp_gt_u64_e64 s3, s[14:15], v[11:12]
	s_delay_alu instid0(VALU_DEP_2) | instskip(NEXT) | instid1(VALU_DEP_2)
	v_dual_mov_b32 v12, v10 :: v_dual_mov_b32 v11, v9
	s_and_saveexec_b32 s5, s3
	s_cbranch_execz .LBB29_10
; %bb.9:                                ;   in Loop: Header=BB29_4 Depth=1
	v_add_co_u32 v11, s4, v1, s21
	s_delay_alu instid0(VALU_DEP_1)
	v_add_co_ci_u32_e64 v12, s4, 0, v2, s4
	global_load_b64 v[11:12], v[11:12], off
.LBB29_10:                              ;   in Loop: Header=BB29_4 Depth=1
	s_or_b32 exec_lo, exec_lo, s5
	v_add_co_u32 v19, s4, v15, s16
	s_delay_alu instid0(VALU_DEP_1) | instskip(NEXT) | instid1(VALU_DEP_1)
	v_add_co_ci_u32_e64 v20, s4, s17, v16, s4
	v_cmp_gt_u64_e64 s4, s[14:15], v[19:20]
	s_delay_alu instid0(VALU_DEP_1)
	s_and_saveexec_b32 s22, s4
	s_cbranch_execnz .LBB29_15
; %bb.11:                               ;   in Loop: Header=BB29_4 Depth=1
	s_or_b32 exec_lo, exec_lo, s22
	s_and_saveexec_b32 s5, vcc_lo
	s_cbranch_execnz .LBB29_16
.LBB29_12:                              ;   in Loop: Header=BB29_4 Depth=1
	s_or_b32 exec_lo, exec_lo, s5
	s_and_saveexec_b32 s5, s2
	s_cbranch_execnz .LBB29_17
.LBB29_13:                              ;   in Loop: Header=BB29_4 Depth=1
	s_or_b32 exec_lo, exec_lo, s5
	s_and_saveexec_b32 s2, s3
	s_cbranch_execnz .LBB29_18
.LBB29_14:                              ;   in Loop: Header=BB29_4 Depth=1
	s_or_b32 exec_lo, exec_lo, s2
	s_and_saveexec_b32 s2, s4
	s_cbranch_execz .LBB29_3
	s_branch .LBB29_19
.LBB29_15:                              ;   in Loop: Header=BB29_4 Depth=1
	v_add_co_u32 v9, s5, v1, s20
	s_delay_alu instid0(VALU_DEP_1)
	v_add_co_ci_u32_e64 v10, s5, 0, v2, s5
	global_load_b64 v[9:10], v[9:10], off
	s_or_b32 exec_lo, exec_lo, s22
	s_and_saveexec_b32 s5, vcc_lo
	s_cbranch_execz .LBB29_12
.LBB29_16:                              ;   in Loop: Header=BB29_4 Depth=1
	s_waitcnt vmcnt(0)
	v_mul_f64 v[7:8], s[6:7], v[7:8]
	global_store_b64 v[1:2], v[7:8], off
	s_or_b32 exec_lo, exec_lo, s5
	s_and_saveexec_b32 s5, s2
	s_cbranch_execz .LBB29_13
.LBB29_17:                              ;   in Loop: Header=BB29_4 Depth=1
	s_waitcnt vmcnt(0)
	v_mul_f64 v[5:6], s[6:7], v[5:6]
	global_store_b64 v[3:4], v[5:6], off
	s_or_b32 exec_lo, exec_lo, s5
	s_and_saveexec_b32 s2, s3
	s_cbranch_execz .LBB29_14
.LBB29_18:                              ;   in Loop: Header=BB29_4 Depth=1
	s_waitcnt vmcnt(0)
	v_mul_f64 v[5:6], s[6:7], v[11:12]
	v_add_co_u32 v7, vcc_lo, v1, s21
	v_add_co_ci_u32_e32 v8, vcc_lo, 0, v2, vcc_lo
	global_store_b64 v[7:8], v[5:6], off
	s_or_b32 exec_lo, exec_lo, s2
	s_and_saveexec_b32 s2, s4
	s_cbranch_execz .LBB29_3
.LBB29_19:                              ;   in Loop: Header=BB29_4 Depth=1
	s_waitcnt vmcnt(0)
	v_mul_f64 v[5:6], s[6:7], v[9:10]
	v_add_co_u32 v7, vcc_lo, v1, s20
	v_add_co_ci_u32_e32 v8, vcc_lo, 0, v2, vcc_lo
	global_store_b64 v[7:8], v[5:6], off
	s_branch .LBB29_3
.LBB29_20:
	s_cbranch_execz .LBB29_22
	s_branch .LBB29_25
.LBB29_21:
.LBB29_22:
	v_dual_mov_b32 v2, 0 :: v_dual_lshlrev_b32 v1, 2, v0
	s_mov_b32 s2, 0
	s_mov_b32 s3, exec_lo
	s_delay_alu instid0(VALU_DEP_1)
	v_cmpx_gt_i64_e64 s[8:9], v[1:2]
	s_cbranch_execz .LBB29_25
; %bb.23:
	s_load_b32 s0, s[0:1], 0xf54
	v_lshlrev_b32_e32 v1, 5, v0
	s_waitcnt lgkmcnt(0)
	s_and_b32 s0, s0, 0xffff
	s_delay_alu instid0(SALU_CYCLE_1) | instskip(SKIP_3) | instid1(VALU_DEP_1)
	s_lshl_b32 s3, s0, 2
	s_add_u32 s1, s10, s12
	s_addc_u32 s4, s11, s13
	v_add_co_u32 v3, s1, s1, v1
	v_add_co_ci_u32_e64 v4, null, s4, 0, s1
	v_add_lshl_u32 v1, v0, s0, 2
	s_delay_alu instid0(VALU_DEP_3) | instskip(NEXT) | instid1(VALU_DEP_3)
	v_add_co_u32 v3, vcc_lo, v3, 16
	v_add_co_ci_u32_e32 v4, vcc_lo, 0, v4, vcc_lo
	s_lshl_b32 s4, s0, 5
	.p2align	6
.LBB29_24:                              ; =>This Inner Loop Header: Depth=1
	s_clause 0x1
	global_load_b128 v[5:8], v[3:4], off offset:-16
	global_load_b128 v[9:12], v[3:4], off
	v_cmp_le_i64_e32 vcc_lo, s[8:9], v[1:2]
	v_cmp_lt_u64_e64 s0, 0xffff, v[1:2]
	v_add_co_u32 v1, s1, v1, s3
	s_delay_alu instid0(VALU_DEP_1) | instskip(NEXT) | instid1(VALU_DEP_3)
	v_add_co_ci_u32_e64 v2, s1, 0, v2, s1
	s_or_b32 s0, vcc_lo, s0
	s_delay_alu instid0(SALU_CYCLE_1) | instskip(NEXT) | instid1(SALU_CYCLE_1)
	s_and_b32 s0, exec_lo, s0
	s_or_b32 s2, s0, s2
	s_waitcnt vmcnt(1)
	v_mul_f64 v[5:6], s[6:7], v[5:6]
	v_mul_f64 v[7:8], s[6:7], v[7:8]
	s_waitcnt vmcnt(0)
	v_mul_f64 v[9:10], s[6:7], v[9:10]
	v_mul_f64 v[11:12], s[6:7], v[11:12]
	s_clause 0x1
	global_store_b128 v[3:4], v[5:8], off offset:-16
	global_store_b128 v[3:4], v[9:12], off
	v_add_co_u32 v3, vcc_lo, v3, s4
	v_add_co_ci_u32_e32 v4, vcc_lo, 0, v4, vcc_lo
	s_and_not1_b32 exec_lo, exec_lo, s2
	s_cbranch_execnz .LBB29_24
.LBB29_25:
	s_nop 0
	s_sendmsg sendmsg(MSG_DEALLOC_VGPRS)
	s_endpgm
	.section	.rodata,"a",@progbits
	.p2align	6, 0x0
	.amdhsa_kernel _ZN2at6native12_GLOBAL__N_125multi_tensor_apply_kernelINS1_28TensorListScalarListMetadataIdLi1EEENS1_25BinaryOpScalarListFunctorIdLi1ELi1ELi0EEEJSt10multipliesIdEEEEvT_T0_DpT1_
		.amdhsa_group_segment_fixed_size 0
		.amdhsa_private_segment_fixed_size 0
		.amdhsa_kernarg_size 4168
		.amdhsa_user_sgpr_count 15
		.amdhsa_user_sgpr_dispatch_ptr 0
		.amdhsa_user_sgpr_queue_ptr 0
		.amdhsa_user_sgpr_kernarg_segment_ptr 1
		.amdhsa_user_sgpr_dispatch_id 0
		.amdhsa_user_sgpr_private_segment_size 0
		.amdhsa_wavefront_size32 1
		.amdhsa_uses_dynamic_stack 0
		.amdhsa_enable_private_segment 0
		.amdhsa_system_sgpr_workgroup_id_x 1
		.amdhsa_system_sgpr_workgroup_id_y 0
		.amdhsa_system_sgpr_workgroup_id_z 0
		.amdhsa_system_sgpr_workgroup_info 0
		.amdhsa_system_vgpr_workitem_id 0
		.amdhsa_next_free_vgpr 21
		.amdhsa_next_free_sgpr 23
		.amdhsa_reserve_vcc 1
		.amdhsa_float_round_mode_32 0
		.amdhsa_float_round_mode_16_64 0
		.amdhsa_float_denorm_mode_32 3
		.amdhsa_float_denorm_mode_16_64 3
		.amdhsa_dx10_clamp 1
		.amdhsa_ieee_mode 1
		.amdhsa_fp16_overflow 0
		.amdhsa_workgroup_processor_mode 1
		.amdhsa_memory_ordered 1
		.amdhsa_forward_progress 0
		.amdhsa_shared_vgpr_count 0
		.amdhsa_exception_fp_ieee_invalid_op 0
		.amdhsa_exception_fp_denorm_src 0
		.amdhsa_exception_fp_ieee_div_zero 0
		.amdhsa_exception_fp_ieee_overflow 0
		.amdhsa_exception_fp_ieee_underflow 0
		.amdhsa_exception_fp_ieee_inexact 0
		.amdhsa_exception_int_div_zero 0
	.end_amdhsa_kernel
	.section	.text._ZN2at6native12_GLOBAL__N_125multi_tensor_apply_kernelINS1_28TensorListScalarListMetadataIdLi1EEENS1_25BinaryOpScalarListFunctorIdLi1ELi1ELi0EEEJSt10multipliesIdEEEEvT_T0_DpT1_,"axG",@progbits,_ZN2at6native12_GLOBAL__N_125multi_tensor_apply_kernelINS1_28TensorListScalarListMetadataIdLi1EEENS1_25BinaryOpScalarListFunctorIdLi1ELi1ELi0EEEJSt10multipliesIdEEEEvT_T0_DpT1_,comdat
.Lfunc_end29:
	.size	_ZN2at6native12_GLOBAL__N_125multi_tensor_apply_kernelINS1_28TensorListScalarListMetadataIdLi1EEENS1_25BinaryOpScalarListFunctorIdLi1ELi1ELi0EEEJSt10multipliesIdEEEEvT_T0_DpT1_, .Lfunc_end29-_ZN2at6native12_GLOBAL__N_125multi_tensor_apply_kernelINS1_28TensorListScalarListMetadataIdLi1EEENS1_25BinaryOpScalarListFunctorIdLi1ELi1ELi0EEEJSt10multipliesIdEEEEvT_T0_DpT1_
                                        ; -- End function
	.section	.AMDGPU.csdata,"",@progbits
; Kernel info:
; codeLenInByte = 1192
; NumSgprs: 25
; NumVgprs: 21
; ScratchSize: 0
; MemoryBound: 0
; FloatMode: 240
; IeeeMode: 1
; LDSByteSize: 0 bytes/workgroup (compile time only)
; SGPRBlocks: 3
; VGPRBlocks: 2
; NumSGPRsForWavesPerEU: 25
; NumVGPRsForWavesPerEU: 21
; Occupancy: 16
; WaveLimiterHint : 1
; COMPUTE_PGM_RSRC2:SCRATCH_EN: 0
; COMPUTE_PGM_RSRC2:USER_SGPR: 15
; COMPUTE_PGM_RSRC2:TRAP_HANDLER: 0
; COMPUTE_PGM_RSRC2:TGID_X_EN: 1
; COMPUTE_PGM_RSRC2:TGID_Y_EN: 0
; COMPUTE_PGM_RSRC2:TGID_Z_EN: 0
; COMPUTE_PGM_RSRC2:TIDIG_COMP_CNT: 0
	.section	.text._ZN2at6native12_GLOBAL__N_125multi_tensor_apply_kernelINS1_28TensorListScalarListMetadataIfLi1EEENS1_25BinaryOpScalarListFunctorIfLi1ELi1ELi0EEEJSt10multipliesIfEEEEvT_T0_DpT1_,"axG",@progbits,_ZN2at6native12_GLOBAL__N_125multi_tensor_apply_kernelINS1_28TensorListScalarListMetadataIfLi1EEENS1_25BinaryOpScalarListFunctorIfLi1ELi1ELi0EEEJSt10multipliesIfEEEEvT_T0_DpT1_,comdat
	.globl	_ZN2at6native12_GLOBAL__N_125multi_tensor_apply_kernelINS1_28TensorListScalarListMetadataIfLi1EEENS1_25BinaryOpScalarListFunctorIfLi1ELi1ELi0EEEJSt10multipliesIfEEEEvT_T0_DpT1_ ; -- Begin function _ZN2at6native12_GLOBAL__N_125multi_tensor_apply_kernelINS1_28TensorListScalarListMetadataIfLi1EEENS1_25BinaryOpScalarListFunctorIfLi1ELi1ELi0EEEJSt10multipliesIfEEEEvT_T0_DpT1_
	.p2align	8
	.type	_ZN2at6native12_GLOBAL__N_125multi_tensor_apply_kernelINS1_28TensorListScalarListMetadataIfLi1EEENS1_25BinaryOpScalarListFunctorIfLi1ELi1ELi0EEEJSt10multipliesIfEEEEvT_T0_DpT1_,@function
_ZN2at6native12_GLOBAL__N_125multi_tensor_apply_kernelINS1_28TensorListScalarListMetadataIfLi1EEENS1_25BinaryOpScalarListFunctorIfLi1ELi1ELi0EEEJSt10multipliesIfEEEEvT_T0_DpT1_: ; @_ZN2at6native12_GLOBAL__N_125multi_tensor_apply_kernelINS1_28TensorListScalarListMetadataIfLi1EEENS1_25BinaryOpScalarListFunctorIfLi1ELi1ELi0EEEJSt10multipliesIfEEEEvT_T0_DpT1_
; %bb.0:
	v_mov_b32_e32 v1, s15
	s_add_u32 s2, s0, s15
	s_mul_i32 s3, s15, 3
	s_mul_hi_u32 s4, s15, 3
	s_addc_u32 s5, s1, 0
	global_load_u8 v1, v1, s[0:1] offset:1920
	s_add_u32 s2, s2, s3
	s_addc_u32 s3, s5, s4
	s_load_b32 s2, s[2:3], 0x8c0
	s_waitcnt vmcnt(0)
	v_readfirstlane_b32 s3, v1
	v_lshlrev_b32_e32 v1, 2, v1
	s_delay_alu instid0(VALU_DEP_2)
	s_lshl_b32 s6, s3, 3
	s_waitcnt lgkmcnt(0)
	s_ashr_i32 s3, s2, 31
	s_clause 0x1
	s_load_b64 s[4:5], s[0:1], s6 offset:0x300
	s_load_b64 s[8:9], s[0:1], s6 offset:0x0
	s_add_u32 s6, s0, s6
	s_addc_u32 s7, s1, 0
	v_sub_co_u32 v1, s6, s6, v1
	s_delay_alu instid0(VALU_DEP_1) | instskip(SKIP_1) | instid1(VALU_DEP_2)
	v_sub_co_ci_u32_e64 v2, null, s7, 0, s6
	s_lshl_b64 s[10:11], s[2:3], 18
	v_readfirstlane_b32 s6, v1
	s_lshl_b64 s[2:3], s[2:3], 16
	s_delay_alu instid0(VALU_DEP_2)
	v_readfirstlane_b32 s7, v2
	s_load_b32 s16, s[6:7], 0x600
	s_waitcnt lgkmcnt(0)
	s_and_b32 s12, s8, 15
	s_sub_u32 s6, s4, s2
	s_subb_u32 s7, s5, s3
	s_and_b32 s2, s4, 3
	s_mov_b32 s3, 0
	s_or_b32 s2, s12, s2
	s_delay_alu instid0(SALU_CYCLE_1)
	s_cmp_eq_u64 s[2:3], 0
	s_cbranch_scc1 .LBB30_21
; %bb.1:
	v_cmp_lt_i64_e64 s2, s[6:7], 1
	s_delay_alu instid0(VALU_DEP_1)
	s_and_b32 vcc_lo, exec_lo, s2
	s_cbranch_vccnz .LBB30_20
; %bb.2:
	s_load_b32 s2, s[0:1], 0xdd4
	v_cmp_gt_u64_e64 s3, 0x10000, s[6:7]
	v_lshlrev_b32_e32 v1, 2, v0
	s_waitcnt lgkmcnt(0)
	s_and_b32 s2, s2, 0xffff
	s_delay_alu instid0(VALU_DEP_2)
	s_and_b32 s3, s3, exec_lo
	v_add_co_u32 v5, s5, v0, s2
	s_cselect_b32 s13, s7, 0
	s_cselect_b32 s12, s6, 0x10000
	s_lshl_b32 s3, s2, 1
	s_lshl_b32 s17, s2, 2
	v_lshlrev_b32_e32 v3, 2, v5
	v_add_co_ci_u32_e64 v6, null, 0, 0, s5
	s_add_u32 s5, s8, s10
	v_add_co_u32 v9, s3, s3, v0
	s_mul_i32 s4, s2, 3
	s_addc_u32 s14, s9, s11
	v_add_co_ci_u32_e64 v10, null, 0, 0, s3
	v_add_co_u32 v1, s3, s5, v1
	v_add_co_u32 v7, s4, s4, v0
	v_add_co_ci_u32_e64 v2, null, s14, 0, s3
	v_add_co_u32 v3, s3, s5, v3
	v_add_co_ci_u32_e64 v8, null, 0, 0, s4
	v_add_co_ci_u32_e64 v4, null, s14, 0, s3
	s_lshl_b32 s18, s2, 4
	s_mul_i32 s19, s2, 12
	s_lshl_b32 s20, s2, 3
	s_mov_b64 s[14:15], 0
	s_branch .LBB30_4
.LBB30_3:                               ;   in Loop: Header=BB30_4 Depth=1
	s_or_b32 exec_lo, exec_lo, s2
	s_add_u32 s14, s14, s17
	s_addc_u32 s15, s15, 0
	v_add_co_u32 v1, vcc_lo, v1, s18
	v_cmp_lt_i64_e64 s2, s[14:15], s[6:7]
	v_cmp_gt_u64_e64 s3, 0x10000, s[14:15]
	v_add_co_ci_u32_e32 v2, vcc_lo, 0, v2, vcc_lo
	v_add_co_u32 v3, vcc_lo, v3, s18
	v_add_co_ci_u32_e32 v4, vcc_lo, 0, v4, vcc_lo
	s_delay_alu instid0(VALU_DEP_4) | instskip(NEXT) | instid1(SALU_CYCLE_1)
	s_and_b32 s2, s2, s3
	s_and_b32 vcc_lo, exec_lo, s2
	s_cbranch_vccz .LBB30_20
.LBB30_4:                               ; =>This Inner Loop Header: Depth=1
	s_waitcnt vmcnt(0)
	v_add_co_u32 v11, s2, v0, s14
	s_delay_alu instid0(VALU_DEP_1) | instskip(NEXT) | instid1(VALU_DEP_1)
	v_add_co_ci_u32_e64 v12, null, 0, s15, s2
	v_cmp_gt_u64_e32 vcc_lo, s[12:13], v[11:12]
	v_mov_b32_e32 v11, 0
	s_and_saveexec_b32 s2, vcc_lo
	s_cbranch_execz .LBB30_6
; %bb.5:                                ;   in Loop: Header=BB30_4 Depth=1
	global_load_b32 v11, v[1:2], off
.LBB30_6:                               ;   in Loop: Header=BB30_4 Depth=1
	s_or_b32 exec_lo, exec_lo, s2
	v_add_co_u32 v12, s2, v5, s14
	s_delay_alu instid0(VALU_DEP_1) | instskip(NEXT) | instid1(VALU_DEP_1)
	v_add_co_ci_u32_e64 v13, s2, s15, v6, s2
	v_cmp_gt_u64_e64 s2, s[12:13], v[12:13]
	v_mov_b32_e32 v13, 0
	s_delay_alu instid0(VALU_DEP_2)
	s_and_saveexec_b32 s3, s2
	s_cbranch_execz .LBB30_8
; %bb.7:                                ;   in Loop: Header=BB30_4 Depth=1
	global_load_b32 v13, v[3:4], off
.LBB30_8:                               ;   in Loop: Header=BB30_4 Depth=1
	s_or_b32 exec_lo, exec_lo, s3
	v_add_co_u32 v14, s3, v9, s14
	s_delay_alu instid0(VALU_DEP_1) | instskip(SKIP_1) | instid1(VALU_DEP_2)
	v_add_co_ci_u32_e64 v15, s3, s15, v10, s3
	v_mov_b32_e32 v12, 0
	v_cmp_gt_u64_e64 s3, s[12:13], v[14:15]
	v_mov_b32_e32 v14, 0
	s_delay_alu instid0(VALU_DEP_2)
	s_and_saveexec_b32 s5, s3
	s_cbranch_execz .LBB30_10
; %bb.9:                                ;   in Loop: Header=BB30_4 Depth=1
	v_add_co_u32 v14, s4, v1, s20
	s_delay_alu instid0(VALU_DEP_1)
	v_add_co_ci_u32_e64 v15, s4, 0, v2, s4
	global_load_b32 v14, v[14:15], off
.LBB30_10:                              ;   in Loop: Header=BB30_4 Depth=1
	s_or_b32 exec_lo, exec_lo, s5
	v_add_co_u32 v15, s4, v7, s14
	s_delay_alu instid0(VALU_DEP_1) | instskip(NEXT) | instid1(VALU_DEP_1)
	v_add_co_ci_u32_e64 v16, s4, s15, v8, s4
	v_cmp_gt_u64_e64 s4, s[12:13], v[15:16]
	s_delay_alu instid0(VALU_DEP_1)
	s_and_saveexec_b32 s21, s4
	s_cbranch_execnz .LBB30_15
; %bb.11:                               ;   in Loop: Header=BB30_4 Depth=1
	s_or_b32 exec_lo, exec_lo, s21
	s_and_saveexec_b32 s5, vcc_lo
	s_cbranch_execnz .LBB30_16
.LBB30_12:                              ;   in Loop: Header=BB30_4 Depth=1
	s_or_b32 exec_lo, exec_lo, s5
	s_and_saveexec_b32 s5, s2
	s_cbranch_execnz .LBB30_17
.LBB30_13:                              ;   in Loop: Header=BB30_4 Depth=1
	s_or_b32 exec_lo, exec_lo, s5
	s_and_saveexec_b32 s2, s3
	s_cbranch_execnz .LBB30_18
.LBB30_14:                              ;   in Loop: Header=BB30_4 Depth=1
	s_or_b32 exec_lo, exec_lo, s2
	s_and_saveexec_b32 s2, s4
	s_cbranch_execz .LBB30_3
	s_branch .LBB30_19
.LBB30_15:                              ;   in Loop: Header=BB30_4 Depth=1
	v_add_co_u32 v15, s5, v1, s19
	s_delay_alu instid0(VALU_DEP_1)
	v_add_co_ci_u32_e64 v16, s5, 0, v2, s5
	global_load_b32 v12, v[15:16], off
	s_or_b32 exec_lo, exec_lo, s21
	s_and_saveexec_b32 s5, vcc_lo
	s_cbranch_execz .LBB30_12
.LBB30_16:                              ;   in Loop: Header=BB30_4 Depth=1
	s_waitcnt vmcnt(0)
	v_mul_f32_e32 v11, s16, v11
	global_store_b32 v[1:2], v11, off
	s_or_b32 exec_lo, exec_lo, s5
	s_and_saveexec_b32 s5, s2
	s_cbranch_execz .LBB30_13
.LBB30_17:                              ;   in Loop: Header=BB30_4 Depth=1
	s_waitcnt vmcnt(0)
	v_mul_f32_e32 v11, s16, v13
	global_store_b32 v[3:4], v11, off
	s_or_b32 exec_lo, exec_lo, s5
	s_and_saveexec_b32 s2, s3
	s_cbranch_execz .LBB30_14
.LBB30_18:                              ;   in Loop: Header=BB30_4 Depth=1
	s_waitcnt vmcnt(0)
	v_add_co_u32 v13, vcc_lo, v1, s20
	v_mul_f32_e32 v11, s16, v14
	v_add_co_ci_u32_e32 v14, vcc_lo, 0, v2, vcc_lo
	global_store_b32 v[13:14], v11, off
	s_or_b32 exec_lo, exec_lo, s2
	s_and_saveexec_b32 s2, s4
	s_cbranch_execz .LBB30_3
.LBB30_19:                              ;   in Loop: Header=BB30_4 Depth=1
	s_waitcnt vmcnt(0)
	v_add_co_u32 v11, vcc_lo, v1, s19
	v_mul_f32_e32 v13, s16, v12
	v_add_co_ci_u32_e32 v12, vcc_lo, 0, v2, vcc_lo
	global_store_b32 v[11:12], v13, off
	s_branch .LBB30_3
.LBB30_20:
	s_cbranch_execz .LBB30_22
	s_branch .LBB30_25
.LBB30_21:
.LBB30_22:
	v_dual_mov_b32 v2, 0 :: v_dual_lshlrev_b32 v1, 2, v0
	s_mov_b32 s2, 0
	s_mov_b32 s3, exec_lo
	s_delay_alu instid0(VALU_DEP_1)
	v_cmpx_gt_i64_e64 s[6:7], v[1:2]
	s_cbranch_execz .LBB30_25
; %bb.23:
	s_load_b32 s0, s[0:1], 0xdd4
	v_lshlrev_b32_e32 v1, 4, v0
	s_waitcnt lgkmcnt(0)
	s_and_b32 s0, s0, 0xffff
	s_delay_alu instid0(SALU_CYCLE_1) | instskip(SKIP_3) | instid1(VALU_DEP_1)
	s_lshl_b32 s3, s0, 2
	s_add_u32 s1, s8, s10
	s_addc_u32 s4, s9, s11
	v_add_co_u32 v3, s1, s1, v1
	v_add_co_ci_u32_e64 v4, null, s4, 0, s1
	v_add_lshl_u32 v1, v0, s0, 2
	s_delay_alu instid0(VALU_DEP_3) | instskip(NEXT) | instid1(VALU_DEP_3)
	v_add_co_u32 v3, vcc_lo, v3, 8
	v_add_co_ci_u32_e32 v4, vcc_lo, 0, v4, vcc_lo
	s_lshl_b32 s4, s0, 4
	.p2align	6
.LBB30_24:                              ; =>This Inner Loop Header: Depth=1
	global_load_b128 v[5:8], v[3:4], off offset:-8
	v_cmp_le_i64_e32 vcc_lo, s[6:7], v[1:2]
	v_cmp_lt_u64_e64 s0, 0xffff, v[1:2]
	v_add_co_u32 v1, s1, v1, s3
	s_delay_alu instid0(VALU_DEP_1) | instskip(NEXT) | instid1(VALU_DEP_3)
	v_add_co_ci_u32_e64 v2, s1, 0, v2, s1
	s_or_b32 s0, vcc_lo, s0
	s_delay_alu instid0(SALU_CYCLE_1) | instskip(NEXT) | instid1(SALU_CYCLE_1)
	s_and_b32 s0, exec_lo, s0
	s_or_b32 s2, s0, s2
	s_waitcnt vmcnt(0)
	v_dual_mul_f32 v5, s16, v5 :: v_dual_mul_f32 v6, s16, v6
	v_dual_mul_f32 v7, s16, v7 :: v_dual_mul_f32 v8, s16, v8
	global_store_b128 v[3:4], v[5:8], off offset:-8
	v_add_co_u32 v3, vcc_lo, v3, s4
	v_add_co_ci_u32_e32 v4, vcc_lo, 0, v4, vcc_lo
	s_and_not1_b32 exec_lo, exec_lo, s2
	s_cbranch_execnz .LBB30_24
.LBB30_25:
	s_nop 0
	s_sendmsg sendmsg(MSG_DEALLOC_VGPRS)
	s_endpgm
	.section	.rodata,"a",@progbits
	.p2align	6, 0x0
	.amdhsa_kernel _ZN2at6native12_GLOBAL__N_125multi_tensor_apply_kernelINS1_28TensorListScalarListMetadataIfLi1EEENS1_25BinaryOpScalarListFunctorIfLi1ELi1ELi0EEEJSt10multipliesIfEEEEvT_T0_DpT1_
		.amdhsa_group_segment_fixed_size 0
		.amdhsa_private_segment_fixed_size 0
		.amdhsa_kernarg_size 3784
		.amdhsa_user_sgpr_count 15
		.amdhsa_user_sgpr_dispatch_ptr 0
		.amdhsa_user_sgpr_queue_ptr 0
		.amdhsa_user_sgpr_kernarg_segment_ptr 1
		.amdhsa_user_sgpr_dispatch_id 0
		.amdhsa_user_sgpr_private_segment_size 0
		.amdhsa_wavefront_size32 1
		.amdhsa_uses_dynamic_stack 0
		.amdhsa_enable_private_segment 0
		.amdhsa_system_sgpr_workgroup_id_x 1
		.amdhsa_system_sgpr_workgroup_id_y 0
		.amdhsa_system_sgpr_workgroup_id_z 0
		.amdhsa_system_sgpr_workgroup_info 0
		.amdhsa_system_vgpr_workitem_id 0
		.amdhsa_next_free_vgpr 17
		.amdhsa_next_free_sgpr 22
		.amdhsa_reserve_vcc 1
		.amdhsa_float_round_mode_32 0
		.amdhsa_float_round_mode_16_64 0
		.amdhsa_float_denorm_mode_32 3
		.amdhsa_float_denorm_mode_16_64 3
		.amdhsa_dx10_clamp 1
		.amdhsa_ieee_mode 1
		.amdhsa_fp16_overflow 0
		.amdhsa_workgroup_processor_mode 1
		.amdhsa_memory_ordered 1
		.amdhsa_forward_progress 0
		.amdhsa_shared_vgpr_count 0
		.amdhsa_exception_fp_ieee_invalid_op 0
		.amdhsa_exception_fp_denorm_src 0
		.amdhsa_exception_fp_ieee_div_zero 0
		.amdhsa_exception_fp_ieee_overflow 0
		.amdhsa_exception_fp_ieee_underflow 0
		.amdhsa_exception_fp_ieee_inexact 0
		.amdhsa_exception_int_div_zero 0
	.end_amdhsa_kernel
	.section	.text._ZN2at6native12_GLOBAL__N_125multi_tensor_apply_kernelINS1_28TensorListScalarListMetadataIfLi1EEENS1_25BinaryOpScalarListFunctorIfLi1ELi1ELi0EEEJSt10multipliesIfEEEEvT_T0_DpT1_,"axG",@progbits,_ZN2at6native12_GLOBAL__N_125multi_tensor_apply_kernelINS1_28TensorListScalarListMetadataIfLi1EEENS1_25BinaryOpScalarListFunctorIfLi1ELi1ELi0EEEJSt10multipliesIfEEEEvT_T0_DpT1_,comdat
.Lfunc_end30:
	.size	_ZN2at6native12_GLOBAL__N_125multi_tensor_apply_kernelINS1_28TensorListScalarListMetadataIfLi1EEENS1_25BinaryOpScalarListFunctorIfLi1ELi1ELi0EEEJSt10multipliesIfEEEEvT_T0_DpT1_, .Lfunc_end30-_ZN2at6native12_GLOBAL__N_125multi_tensor_apply_kernelINS1_28TensorListScalarListMetadataIfLi1EEENS1_25BinaryOpScalarListFunctorIfLi1ELi1ELi0EEEJSt10multipliesIfEEEEvT_T0_DpT1_
                                        ; -- End function
	.section	.AMDGPU.csdata,"",@progbits
; Kernel info:
; codeLenInByte = 1152
; NumSgprs: 24
; NumVgprs: 17
; ScratchSize: 0
; MemoryBound: 0
; FloatMode: 240
; IeeeMode: 1
; LDSByteSize: 0 bytes/workgroup (compile time only)
; SGPRBlocks: 2
; VGPRBlocks: 2
; NumSGPRsForWavesPerEU: 24
; NumVGPRsForWavesPerEU: 17
; Occupancy: 16
; WaveLimiterHint : 0
; COMPUTE_PGM_RSRC2:SCRATCH_EN: 0
; COMPUTE_PGM_RSRC2:USER_SGPR: 15
; COMPUTE_PGM_RSRC2:TRAP_HANDLER: 0
; COMPUTE_PGM_RSRC2:TGID_X_EN: 1
; COMPUTE_PGM_RSRC2:TGID_Y_EN: 0
; COMPUTE_PGM_RSRC2:TGID_Z_EN: 0
; COMPUTE_PGM_RSRC2:TIDIG_COMP_CNT: 0
	.section	.text._ZN2at6native12_GLOBAL__N_125multi_tensor_apply_kernelINS1_28TensorListScalarListMetadataIN3c107complexIdEELi1EEENS1_25BinaryOpScalarListFunctorIS6_Li1ELi1ELi0EEEJSt10multipliesIS6_EEEEvT_T0_DpT1_,"axG",@progbits,_ZN2at6native12_GLOBAL__N_125multi_tensor_apply_kernelINS1_28TensorListScalarListMetadataIN3c107complexIdEELi1EEENS1_25BinaryOpScalarListFunctorIS6_Li1ELi1ELi0EEEJSt10multipliesIS6_EEEEvT_T0_DpT1_,comdat
	.globl	_ZN2at6native12_GLOBAL__N_125multi_tensor_apply_kernelINS1_28TensorListScalarListMetadataIN3c107complexIdEELi1EEENS1_25BinaryOpScalarListFunctorIS6_Li1ELi1ELi0EEEJSt10multipliesIS6_EEEEvT_T0_DpT1_ ; -- Begin function _ZN2at6native12_GLOBAL__N_125multi_tensor_apply_kernelINS1_28TensorListScalarListMetadataIN3c107complexIdEELi1EEENS1_25BinaryOpScalarListFunctorIS6_Li1ELi1ELi0EEEJSt10multipliesIS6_EEEEvT_T0_DpT1_
	.p2align	8
	.type	_ZN2at6native12_GLOBAL__N_125multi_tensor_apply_kernelINS1_28TensorListScalarListMetadataIN3c107complexIdEELi1EEENS1_25BinaryOpScalarListFunctorIS6_Li1ELi1ELi0EEEJSt10multipliesIS6_EEEEvT_T0_DpT1_,@function
_ZN2at6native12_GLOBAL__N_125multi_tensor_apply_kernelINS1_28TensorListScalarListMetadataIN3c107complexIdEELi1EEENS1_25BinaryOpScalarListFunctorIS6_Li1ELi1ELi0EEEJSt10multipliesIS6_EEEEvT_T0_DpT1_: ; @_ZN2at6native12_GLOBAL__N_125multi_tensor_apply_kernelINS1_28TensorListScalarListMetadataIN3c107complexIdEELi1EEENS1_25BinaryOpScalarListFunctorIS6_Li1ELi1ELi0EEEJSt10multipliesIS6_EEEEvT_T0_DpT1_
; %bb.0:
	v_mov_b32_e32 v1, s15
	s_add_u32 s2, s0, s15
	s_mul_i32 s3, s15, 3
	s_mul_hi_u32 s4, s15, 3
	s_addc_u32 s5, s1, 0
	global_load_u8 v1, v1, s[0:1] offset:2304
	s_add_u32 s2, s2, s3
	s_addc_u32 s3, s5, s4
	s_load_b32 s2, s[2:3], 0xa40
	s_waitcnt vmcnt(0)
	v_readfirstlane_b32 s3, v1
	s_delay_alu instid0(VALU_DEP_1)
	s_lshl_b32 s8, s3, 3
	s_waitcnt lgkmcnt(0)
	s_ashr_i32 s3, s2, 31
	s_clause 0x1
	s_load_b64 s[12:13], s[0:1], s8 offset:0x0
	s_load_b64 s[4:5], s[0:1], s8 offset:0x240
	s_add_u32 s6, s0, s8
	s_addc_u32 s7, s1, 0
	s_lshl_b64 s[14:15], s[2:3], 20
	s_load_b128 s[8:11], s[6:7], s8 offset:0x480
	s_waitcnt lgkmcnt(0)
	s_add_u32 s20, s12, s14
	s_addc_u32 s21, s13, s15
	s_lshl_b64 s[2:3], s[2:3], 16
	s_and_b32 s16, s20, 63
	s_sub_u32 s6, s4, s2
	s_subb_u32 s7, s5, s3
	s_and_b32 s2, s4, 3
	s_mov_b32 s3, 0
	s_or_b32 s2, s16, s2
	s_delay_alu instid0(SALU_CYCLE_1)
	s_cmp_eq_u64 s[2:3], 0
	s_cbranch_scc1 .LBB31_21
; %bb.1:
	v_cmp_lt_i64_e64 s2, s[6:7], 1
	s_delay_alu instid0(VALU_DEP_1)
	s_and_b32 vcc_lo, exec_lo, s2
	s_cbranch_vccnz .LBB31_20
; %bb.2:
	s_load_b32 s2, s[0:1], 0xf54
	v_cmp_gt_u64_e64 s3, 0x10000, s[6:7]
	v_dual_mov_b32 v18, 0 :: v_dual_lshlrev_b32 v17, 4, v0
	s_mov_b64 s[18:19], 0
	s_waitcnt lgkmcnt(0)
	s_and_b32 s2, s2, 0xffff
	s_delay_alu instid0(VALU_DEP_2)
	s_and_b32 s3, s3, exec_lo
	v_add_co_u32 v21, s5, v0, s2
	v_mad_u64_u32 v[19:20], null, s2, 48, v[17:18]
	s_cselect_b32 s17, s7, 0
	s_cselect_b32 s16, s6, 0x10000
	v_add_co_ci_u32_e64 v22, null, 0, 0, s5
	s_lshl_b32 s5, s2, 5
	s_lshl_b32 s3, s2, 1
	v_add_co_u32 v1, s5, s5, v17
	s_mul_i32 s4, s2, 3
	v_add_co_u32 v27, s3, s3, v0
	v_add_co_u32 v18, s4, s4, v0
	s_delay_alu instid0(VALU_DEP_1)
	v_add_co_ci_u32_e64 v23, null, 0, 0, s4
	v_add_co_ci_u32_e64 v24, null, 0, 0, s5
	v_lshlrev_b32_e32 v25, 4, v21
	v_or_b32_e32 v26, 8, v1
	v_or_b32_e32 v19, 8, v19
	v_add_co_ci_u32_e64 v28, null, 0, 0, s3
	s_lshl_b32 s22, s2, 2
	s_lshl_b32 s23, s2, 6
	s_branch .LBB31_4
.LBB31_3:                               ;   in Loop: Header=BB31_4 Depth=1
	s_or_b32 exec_lo, exec_lo, s2
	s_add_u32 s18, s18, s22
	s_addc_u32 s19, s19, 0
	s_delay_alu instid0(SALU_CYCLE_1) | instskip(SKIP_1) | instid1(VALU_DEP_1)
	v_cmp_lt_i64_e64 s2, s[18:19], s[6:7]
	v_cmp_gt_u64_e64 s3, 0x10000, s[18:19]
	s_and_b32 s2, s2, s3
	s_add_u32 s20, s20, s23
	s_addc_u32 s21, s21, 0
	s_and_b32 vcc_lo, exec_lo, s2
	s_cbranch_vccz .LBB31_20
.LBB31_4:                               ; =>This Inner Loop Header: Depth=1
	s_waitcnt vmcnt(0)
	v_add_co_u32 v1, s2, v0, s18
	s_delay_alu instid0(VALU_DEP_1) | instskip(SKIP_2) | instid1(VALU_DEP_3)
	v_add_co_ci_u32_e64 v2, null, 0, s19, s2
	v_mov_b32_e32 v3, 0
	v_mov_b32_e32 v4, 0
	v_cmp_gt_u64_e32 vcc_lo, s[16:17], v[1:2]
	s_delay_alu instid0(VALU_DEP_2)
	v_dual_mov_b32 v12, v4 :: v_dual_mov_b32 v11, v3
	v_dual_mov_b32 v10, v4 :: v_dual_mov_b32 v9, v3
	s_and_saveexec_b32 s2, vcc_lo
	s_cbranch_execz .LBB31_6
; %bb.5:                                ;   in Loop: Header=BB31_4 Depth=1
	v_add_co_u32 v1, s3, s20, v17
	s_delay_alu instid0(VALU_DEP_1)
	v_add_co_ci_u32_e64 v2, null, s21, 0, s3
	global_load_b128 v[9:12], v[1:2], off
.LBB31_6:                               ;   in Loop: Header=BB31_4 Depth=1
	s_or_b32 exec_lo, exec_lo, s2
	v_add_co_u32 v1, s2, v21, s18
	s_delay_alu instid0(VALU_DEP_1) | instskip(NEXT) | instid1(VALU_DEP_1)
	v_add_co_ci_u32_e64 v2, s2, s19, v22, s2
	v_cmp_gt_u64_e64 s2, s[16:17], v[1:2]
	v_dual_mov_b32 v1, v3 :: v_dual_mov_b32 v2, v4
	s_delay_alu instid0(VALU_DEP_2)
	s_and_saveexec_b32 s3, s2
	s_cbranch_execz .LBB31_8
; %bb.7:                                ;   in Loop: Header=BB31_4 Depth=1
	v_add_co_u32 v1, s4, s20, v25
	s_delay_alu instid0(VALU_DEP_1)
	v_add_co_ci_u32_e64 v2, null, s21, 0, s4
	global_load_b128 v[1:4], v[1:2], off
.LBB31_8:                               ;   in Loop: Header=BB31_4 Depth=1
	s_or_b32 exec_lo, exec_lo, s3
	v_add_co_u32 v5, s3, v27, s18
	s_delay_alu instid0(VALU_DEP_1) | instskip(SKIP_2) | instid1(VALU_DEP_3)
	v_add_co_ci_u32_e64 v6, s3, s19, v28, s3
	v_mov_b32_e32 v7, 0
	v_mov_b32_e32 v8, 0
	v_cmp_gt_u64_e64 s3, s[16:17], v[5:6]
	s_delay_alu instid0(VALU_DEP_2) | instskip(SKIP_1) | instid1(VALU_DEP_3)
	v_dual_mov_b32 v16, v8 :: v_dual_mov_b32 v15, v7
	v_dual_mov_b32 v14, v8 :: v_dual_mov_b32 v13, v7
	s_and_saveexec_b32 s5, s3
	s_cbranch_execz .LBB31_10
; %bb.9:                                ;   in Loop: Header=BB31_4 Depth=1
	v_add_co_u32 v5, s4, s20, v26
	s_delay_alu instid0(VALU_DEP_1)
	v_add_co_ci_u32_e64 v6, s4, s21, v24, s4
	global_load_b128 v[13:16], v[5:6], off offset:-8
.LBB31_10:                              ;   in Loop: Header=BB31_4 Depth=1
	s_or_b32 exec_lo, exec_lo, s5
	v_add_co_u32 v5, s4, v18, s18
	s_delay_alu instid0(VALU_DEP_1) | instskip(NEXT) | instid1(VALU_DEP_1)
	v_add_co_ci_u32_e64 v6, s4, s19, v23, s4
	v_cmp_gt_u64_e64 s4, s[16:17], v[5:6]
	v_dual_mov_b32 v5, v7 :: v_dual_mov_b32 v6, v8
	s_delay_alu instid0(VALU_DEP_2)
	s_and_saveexec_b32 s24, s4
	s_cbranch_execnz .LBB31_15
; %bb.11:                               ;   in Loop: Header=BB31_4 Depth=1
	s_or_b32 exec_lo, exec_lo, s24
	s_and_saveexec_b32 s5, vcc_lo
	s_cbranch_execnz .LBB31_16
.LBB31_12:                              ;   in Loop: Header=BB31_4 Depth=1
	s_or_b32 exec_lo, exec_lo, s5
	s_and_saveexec_b32 s5, s2
	s_cbranch_execnz .LBB31_17
.LBB31_13:                              ;   in Loop: Header=BB31_4 Depth=1
	s_or_b32 exec_lo, exec_lo, s5
	s_and_saveexec_b32 s2, s3
	s_cbranch_execnz .LBB31_18
.LBB31_14:                              ;   in Loop: Header=BB31_4 Depth=1
	s_or_b32 exec_lo, exec_lo, s2
	s_and_saveexec_b32 s2, s4
	s_cbranch_execz .LBB31_3
	s_branch .LBB31_19
.LBB31_15:                              ;   in Loop: Header=BB31_4 Depth=1
	v_add_co_u32 v5, s5, s20, v19
	s_delay_alu instid0(VALU_DEP_1)
	v_add_co_ci_u32_e64 v6, s5, s21, v20, s5
	global_load_b128 v[5:8], v[5:6], off offset:-8
	s_or_b32 exec_lo, exec_lo, s24
	s_and_saveexec_b32 s5, vcc_lo
	s_cbranch_execz .LBB31_12
.LBB31_16:                              ;   in Loop: Header=BB31_4 Depth=1
	s_waitcnt vmcnt(0)
	v_mul_f64 v[29:30], s[10:11], v[9:10]
	v_mul_f64 v[31:32], s[10:11], v[11:12]
	s_delay_alu instid0(VALU_DEP_2) | instskip(NEXT) | instid1(VALU_DEP_2)
	v_fma_f64 v[11:12], s[8:9], v[11:12], v[29:30]
	v_fma_f64 v[9:10], s[8:9], v[9:10], -v[31:32]
	v_add_co_u32 v29, s24, s20, v17
	s_delay_alu instid0(VALU_DEP_1)
	v_add_co_ci_u32_e64 v30, null, s21, 0, s24
	global_store_b128 v[29:30], v[9:12], off
	s_or_b32 exec_lo, exec_lo, s5
	s_and_saveexec_b32 s5, s2
	s_cbranch_execz .LBB31_13
.LBB31_17:                              ;   in Loop: Header=BB31_4 Depth=1
	s_waitcnt vmcnt(0)
	v_mul_f64 v[9:10], s[10:11], v[3:4]
	v_mul_f64 v[11:12], s[10:11], v[1:2]
	s_delay_alu instid0(VALU_DEP_2) | instskip(NEXT) | instid1(VALU_DEP_2)
	v_fma_f64 v[1:2], s[8:9], v[1:2], -v[9:10]
	v_fma_f64 v[3:4], s[8:9], v[3:4], v[11:12]
	v_add_co_u32 v9, s2, s20, v25
	s_delay_alu instid0(VALU_DEP_1)
	v_add_co_ci_u32_e64 v10, null, s21, 0, s2
	global_store_b128 v[9:10], v[1:4], off
	s_or_b32 exec_lo, exec_lo, s5
	s_and_saveexec_b32 s2, s3
	s_cbranch_execz .LBB31_14
.LBB31_18:                              ;   in Loop: Header=BB31_4 Depth=1
	s_waitcnt vmcnt(0)
	v_mul_f64 v[1:2], s[10:11], v[15:16]
	v_mul_f64 v[3:4], s[10:11], v[13:14]
	v_add_co_u32 v9, vcc_lo, s20, v26
	v_add_co_ci_u32_e32 v10, vcc_lo, s21, v24, vcc_lo
	s_delay_alu instid0(VALU_DEP_4) | instskip(NEXT) | instid1(VALU_DEP_4)
	v_fma_f64 v[1:2], s[8:9], v[13:14], -v[1:2]
	v_fma_f64 v[3:4], s[8:9], v[15:16], v[3:4]
	global_store_b128 v[9:10], v[1:4], off offset:-8
	s_or_b32 exec_lo, exec_lo, s2
	s_and_saveexec_b32 s2, s4
	s_cbranch_execz .LBB31_3
.LBB31_19:                              ;   in Loop: Header=BB31_4 Depth=1
	s_waitcnt vmcnt(0)
	v_mul_f64 v[1:2], s[10:11], v[7:8]
	v_mul_f64 v[3:4], s[10:11], v[5:6]
	s_delay_alu instid0(VALU_DEP_2) | instskip(NEXT) | instid1(VALU_DEP_2)
	v_fma_f64 v[1:2], s[8:9], v[5:6], -v[1:2]
	v_fma_f64 v[3:4], s[8:9], v[7:8], v[3:4]
	v_add_co_u32 v5, vcc_lo, s20, v19
	v_add_co_ci_u32_e32 v6, vcc_lo, s21, v20, vcc_lo
	global_store_b128 v[5:6], v[1:4], off offset:-8
	s_branch .LBB31_3
.LBB31_20:
	s_cbranch_execz .LBB31_22
	s_branch .LBB31_25
.LBB31_21:
.LBB31_22:
	s_waitcnt vmcnt(0)
	v_dual_mov_b32 v2, 0 :: v_dual_lshlrev_b32 v1, 2, v0
	s_mov_b32 s2, 0
	s_mov_b32 s3, exec_lo
	s_delay_alu instid0(VALU_DEP_1)
	v_cmpx_gt_i64_e64 s[6:7], v[1:2]
	s_cbranch_execz .LBB31_25
; %bb.23:
	s_load_b32 s0, s[0:1], 0xf54
	v_lshlrev_b32_e32 v3, 6, v0
	s_waitcnt lgkmcnt(0)
	s_and_b32 s0, s0, 0xffff
	s_delay_alu instid0(SALU_CYCLE_1)
	s_lshl_b32 s3, s0, 2
	s_add_u32 s1, s12, s14
	s_addc_u32 s4, s13, s15
	v_add_co_u32 v3, s1, s1, v3
	v_add_lshl_u32 v1, v0, s0, 2
	v_add_co_ci_u32_e64 v4, null, s4, 0, s1
	s_lshl_b32 s4, s0, 6
.LBB31_24:                              ; =>This Inner Loop Header: Depth=1
	s_clause 0x3
	global_load_b128 v[5:8], v[3:4], off
	global_load_b128 v[9:12], v[3:4], off offset:16
	global_load_b128 v[13:16], v[3:4], off offset:32
	;; [unrolled: 1-line block ×3, first 2 shown]
	v_cmp_le_i64_e32 vcc_lo, s[6:7], v[1:2]
	v_cmp_lt_u64_e64 s0, 0xffff, v[1:2]
	v_add_co_u32 v1, s1, v1, s3
	s_delay_alu instid0(VALU_DEP_1) | instskip(NEXT) | instid1(VALU_DEP_3)
	v_add_co_ci_u32_e64 v2, s1, 0, v2, s1
	s_or_b32 s0, vcc_lo, s0
	s_delay_alu instid0(SALU_CYCLE_1) | instskip(NEXT) | instid1(SALU_CYCLE_1)
	s_and_b32 s0, exec_lo, s0
	s_or_b32 s2, s0, s2
	s_waitcnt vmcnt(3)
	v_mul_f64 v[21:22], s[10:11], v[7:8]
	v_mul_f64 v[7:8], s[8:9], v[7:8]
	s_waitcnt vmcnt(2)
	v_mul_f64 v[23:24], s[10:11], v[11:12]
	v_mul_f64 v[11:12], s[8:9], v[11:12]
	;; [unrolled: 3-line block ×4, first 2 shown]
	v_fma_f64 v[19:20], s[8:9], v[5:6], -v[21:22]
	v_fma_f64 v[21:22], s[10:11], v[5:6], v[7:8]
	v_fma_f64 v[5:6], s[8:9], v[9:10], -v[23:24]
	v_fma_f64 v[7:8], s[10:11], v[9:10], v[11:12]
	;; [unrolled: 2-line block ×4, first 2 shown]
	s_clause 0x3
	global_store_b128 v[3:4], v[19:22], off
	global_store_b128 v[3:4], v[5:8], off offset:16
	global_store_b128 v[3:4], v[9:12], off offset:32
	;; [unrolled: 1-line block ×3, first 2 shown]
	v_add_co_u32 v3, vcc_lo, v3, s4
	v_add_co_ci_u32_e32 v4, vcc_lo, 0, v4, vcc_lo
	s_and_not1_b32 exec_lo, exec_lo, s2
	s_cbranch_execnz .LBB31_24
.LBB31_25:
	s_nop 0
	s_sendmsg sendmsg(MSG_DEALLOC_VGPRS)
	s_endpgm
	.section	.rodata,"a",@progbits
	.p2align	6, 0x0
	.amdhsa_kernel _ZN2at6native12_GLOBAL__N_125multi_tensor_apply_kernelINS1_28TensorListScalarListMetadataIN3c107complexIdEELi1EEENS1_25BinaryOpScalarListFunctorIS6_Li1ELi1ELi0EEEJSt10multipliesIS6_EEEEvT_T0_DpT1_
		.amdhsa_group_segment_fixed_size 0
		.amdhsa_private_segment_fixed_size 0
		.amdhsa_kernarg_size 4168
		.amdhsa_user_sgpr_count 15
		.amdhsa_user_sgpr_dispatch_ptr 0
		.amdhsa_user_sgpr_queue_ptr 0
		.amdhsa_user_sgpr_kernarg_segment_ptr 1
		.amdhsa_user_sgpr_dispatch_id 0
		.amdhsa_user_sgpr_private_segment_size 0
		.amdhsa_wavefront_size32 1
		.amdhsa_uses_dynamic_stack 0
		.amdhsa_enable_private_segment 0
		.amdhsa_system_sgpr_workgroup_id_x 1
		.amdhsa_system_sgpr_workgroup_id_y 0
		.amdhsa_system_sgpr_workgroup_id_z 0
		.amdhsa_system_sgpr_workgroup_info 0
		.amdhsa_system_vgpr_workitem_id 0
		.amdhsa_next_free_vgpr 33
		.amdhsa_next_free_sgpr 25
		.amdhsa_reserve_vcc 1
		.amdhsa_float_round_mode_32 0
		.amdhsa_float_round_mode_16_64 0
		.amdhsa_float_denorm_mode_32 3
		.amdhsa_float_denorm_mode_16_64 3
		.amdhsa_dx10_clamp 1
		.amdhsa_ieee_mode 1
		.amdhsa_fp16_overflow 0
		.amdhsa_workgroup_processor_mode 1
		.amdhsa_memory_ordered 1
		.amdhsa_forward_progress 0
		.amdhsa_shared_vgpr_count 0
		.amdhsa_exception_fp_ieee_invalid_op 0
		.amdhsa_exception_fp_denorm_src 0
		.amdhsa_exception_fp_ieee_div_zero 0
		.amdhsa_exception_fp_ieee_overflow 0
		.amdhsa_exception_fp_ieee_underflow 0
		.amdhsa_exception_fp_ieee_inexact 0
		.amdhsa_exception_int_div_zero 0
	.end_amdhsa_kernel
	.section	.text._ZN2at6native12_GLOBAL__N_125multi_tensor_apply_kernelINS1_28TensorListScalarListMetadataIN3c107complexIdEELi1EEENS1_25BinaryOpScalarListFunctorIS6_Li1ELi1ELi0EEEJSt10multipliesIS6_EEEEvT_T0_DpT1_,"axG",@progbits,_ZN2at6native12_GLOBAL__N_125multi_tensor_apply_kernelINS1_28TensorListScalarListMetadataIN3c107complexIdEELi1EEENS1_25BinaryOpScalarListFunctorIS6_Li1ELi1ELi0EEEJSt10multipliesIS6_EEEEvT_T0_DpT1_,comdat
.Lfunc_end31:
	.size	_ZN2at6native12_GLOBAL__N_125multi_tensor_apply_kernelINS1_28TensorListScalarListMetadataIN3c107complexIdEELi1EEENS1_25BinaryOpScalarListFunctorIS6_Li1ELi1ELi0EEEJSt10multipliesIS6_EEEEvT_T0_DpT1_, .Lfunc_end31-_ZN2at6native12_GLOBAL__N_125multi_tensor_apply_kernelINS1_28TensorListScalarListMetadataIN3c107complexIdEELi1EEENS1_25BinaryOpScalarListFunctorIS6_Li1ELi1ELi0EEEJSt10multipliesIS6_EEEEvT_T0_DpT1_
                                        ; -- End function
	.section	.AMDGPU.csdata,"",@progbits
; Kernel info:
; codeLenInByte = 1532
; NumSgprs: 27
; NumVgprs: 33
; ScratchSize: 0
; MemoryBound: 1
; FloatMode: 240
; IeeeMode: 1
; LDSByteSize: 0 bytes/workgroup (compile time only)
; SGPRBlocks: 3
; VGPRBlocks: 4
; NumSGPRsForWavesPerEU: 27
; NumVGPRsForWavesPerEU: 33
; Occupancy: 16
; WaveLimiterHint : 0
; COMPUTE_PGM_RSRC2:SCRATCH_EN: 0
; COMPUTE_PGM_RSRC2:USER_SGPR: 15
; COMPUTE_PGM_RSRC2:TRAP_HANDLER: 0
; COMPUTE_PGM_RSRC2:TGID_X_EN: 1
; COMPUTE_PGM_RSRC2:TGID_Y_EN: 0
; COMPUTE_PGM_RSRC2:TGID_Z_EN: 0
; COMPUTE_PGM_RSRC2:TIDIG_COMP_CNT: 0
	.section	.text._ZN2at6native12_GLOBAL__N_125multi_tensor_apply_kernelINS1_28TensorListScalarListMetadataIN3c107complexIfEELi1EEENS1_25BinaryOpScalarListFunctorIS6_Li1ELi1ELi0EEEJSt10multipliesIS6_EEEEvT_T0_DpT1_,"axG",@progbits,_ZN2at6native12_GLOBAL__N_125multi_tensor_apply_kernelINS1_28TensorListScalarListMetadataIN3c107complexIfEELi1EEENS1_25BinaryOpScalarListFunctorIS6_Li1ELi1ELi0EEEJSt10multipliesIS6_EEEEvT_T0_DpT1_,comdat
	.globl	_ZN2at6native12_GLOBAL__N_125multi_tensor_apply_kernelINS1_28TensorListScalarListMetadataIN3c107complexIfEELi1EEENS1_25BinaryOpScalarListFunctorIS6_Li1ELi1ELi0EEEJSt10multipliesIS6_EEEEvT_T0_DpT1_ ; -- Begin function _ZN2at6native12_GLOBAL__N_125multi_tensor_apply_kernelINS1_28TensorListScalarListMetadataIN3c107complexIfEELi1EEENS1_25BinaryOpScalarListFunctorIS6_Li1ELi1ELi0EEEJSt10multipliesIS6_EEEEvT_T0_DpT1_
	.p2align	8
	.type	_ZN2at6native12_GLOBAL__N_125multi_tensor_apply_kernelINS1_28TensorListScalarListMetadataIN3c107complexIfEELi1EEENS1_25BinaryOpScalarListFunctorIS6_Li1ELi1ELi0EEEJSt10multipliesIS6_EEEEvT_T0_DpT1_,@function
_ZN2at6native12_GLOBAL__N_125multi_tensor_apply_kernelINS1_28TensorListScalarListMetadataIN3c107complexIfEELi1EEENS1_25BinaryOpScalarListFunctorIS6_Li1ELi1ELi0EEEJSt10multipliesIS6_EEEEvT_T0_DpT1_: ; @_ZN2at6native12_GLOBAL__N_125multi_tensor_apply_kernelINS1_28TensorListScalarListMetadataIN3c107complexIfEELi1EEENS1_25BinaryOpScalarListFunctorIS6_Li1ELi1ELi0EEEJSt10multipliesIS6_EEEEvT_T0_DpT1_
; %bb.0:
	v_mov_b32_e32 v1, s15
	s_load_b64 s[0:1], s[0:1], 0x4
	s_mul_i32 s4, s15, 3
	s_mul_hi_u32 s5, s15, 3
	v_and_b32_e32 v15, 0x3ff, v0
	global_load_u8 v1, v1, s[2:3] offset:2304
	v_bfe_u32 v2, v0, 10, 10
	v_bfe_u32 v0, v0, 20, 10
	s_mov_b32 s17, 0
	s_waitcnt lgkmcnt(0)
	s_lshr_b32 s0, s0, 16
	s_add_u32 s6, s2, s15
	s_addc_u32 s7, s3, 0
	s_add_u32 s4, s6, s4
	s_addc_u32 s5, s7, s5
	s_mul_i32 s0, s0, s1
	s_load_b32 s8, s[4:5], 0xa40
	s_waitcnt vmcnt(0)
	v_readfirstlane_b32 s9, v1
	v_mul_lo_u32 v1, s0, v15
	s_delay_alu instid0(VALU_DEP_2)
	s_lshl_b32 s4, s9, 3
	s_waitcnt lgkmcnt(0)
	s_ashr_i32 s9, s8, 31
	s_clause 0x2
	s_load_b64 s[6:7], s[2:3], s4 offset:0x600
	s_load_b64 s[10:11], s[2:3], s4 offset:0x0
	;; [unrolled: 1-line block ×3, first 2 shown]
	s_lshl_b64 s[12:13], s[8:9], 19
	v_mad_u32_u24 v1, v2, s1, v1
	s_delay_alu instid0(VALU_DEP_1)
	v_add_lshl_u32 v14, v1, v0, 3
	s_waitcnt lgkmcnt(0)
	s_add_u32 s5, s10, s12
	s_addc_u32 s18, s11, s13
	s_lshl_b64 s[0:1], s[8:9], 16
	s_and_b32 s16, s5, 31
	s_sub_u32 s8, s14, s0
	s_subb_u32 s9, s15, s1
	s_and_b32 s0, s14, 3
	s_mov_b32 s1, s17
	s_delay_alu instid0(SALU_CYCLE_1) | instskip(NEXT) | instid1(SALU_CYCLE_1)
	s_or_b64 s[0:1], s[16:17], s[0:1]
	s_cmp_eq_u64 s[0:1], 0
	s_cbranch_scc1 .LBB32_19
; %bb.1:
	v_cmp_lt_i64_e64 s0, s[8:9], 1
	s_delay_alu instid0(VALU_DEP_1)
	s_and_b32 vcc_lo, exec_lo, s0
	s_cbranch_vccnz .LBB32_18
; %bb.2:
	s_load_b32 s4, s[2:3], 0xf54
	v_cmp_gt_u64_e64 s14, 0x10000, s[8:9]
	s_mov_b64 s[0:1], src_shared_base
	v_dual_mov_b32 v1, 0 :: v_dual_lshlrev_b32 v0, 3, v15
	s_delay_alu instid0(VALU_DEP_1)
	v_dual_mov_b32 v16, s1 :: v_dual_mov_b32 v5, v1
	s_waitcnt lgkmcnt(0)
	s_and_b32 s0, s4, 0xffff
	s_and_b32 s1, s14, exec_lo
	v_add_co_u32 v17, s16, v15, s0
	s_cselect_b32 s15, s9, 0
	s_cselect_b32 s14, s8, 0x10000
	v_add_co_ci_u32_e64 v18, null, 0, 0, s16
	s_lshl_b32 s16, s0, 4
	s_lshl_b32 s1, s0, 1
	v_add_co_u32 v4, s16, s16, v0
	s_mul_i32 s4, s0, 3
	v_mad_u64_u32 v[2:3], null, s0, 24, v[0:1]
	v_add_co_u32 v19, s4, s4, v15
	v_add_co_u32 v23, s1, s1, v15
	v_add_co_ci_u32_e64 v20, null, 0, 0, s4
	v_add_co_ci_u32_e64 v21, null, 0, 0, s16
	v_or_b32_e32 v22, 4, v4
	v_add_co_ci_u32_e64 v24, null, 0, 0, s1
	v_lshl_or_b32 v25, v17, 3, 4
	v_mov_b32_e32 v4, v1
	s_lshl_b32 s19, s0, 2
	s_lshl_b32 s20, s0, 5
	s_mov_b64 s[16:17], 0
	s_branch .LBB32_4
.LBB32_3:                               ;   in Loop: Header=BB32_4 Depth=1
	s_or_b32 exec_lo, exec_lo, s0
	s_add_u32 s16, s16, s19
	s_addc_u32 s17, s17, 0
	s_delay_alu instid0(SALU_CYCLE_1) | instskip(SKIP_1) | instid1(VALU_DEP_1)
	v_cmp_lt_i64_e64 s0, s[16:17], s[8:9]
	v_cmp_gt_u64_e64 s1, 0x10000, s[16:17]
	s_and_b32 s0, s0, s1
	s_add_u32 s5, s5, s20
	s_addc_u32 s18, s18, 0
	s_and_b32 vcc_lo, exec_lo, s0
	s_cbranch_vccz .LBB32_18
.LBB32_4:                               ; =>This Inner Loop Header: Depth=1
	v_add_co_u32 v6, s0, v15, s16
	s_delay_alu instid0(VALU_DEP_1) | instskip(SKIP_1) | instid1(VALU_DEP_2)
	v_add_co_ci_u32_e64 v7, null, 0, s17, s0
	v_dual_mov_b32 v9, 0 :: v_dual_mov_b32 v8, 0
	v_cmp_gt_u64_e32 vcc_lo, s[14:15], v[6:7]
	s_and_saveexec_b32 s0, vcc_lo
	s_cbranch_execz .LBB32_6
; %bb.5:                                ;   in Loop: Header=BB32_4 Depth=1
	v_add_co_u32 v6, s1, s5, v0
	s_delay_alu instid0(VALU_DEP_1)
	v_add_co_ci_u32_e64 v7, null, s18, 0, s1
	global_load_b64 v[8:9], v[6:7], off
.LBB32_6:                               ;   in Loop: Header=BB32_4 Depth=1
	s_or_b32 exec_lo, exec_lo, s0
	v_add_co_u32 v10, s0, v17, s16
	s_delay_alu instid0(VALU_DEP_1) | instskip(SKIP_1) | instid1(VALU_DEP_2)
	v_add_co_ci_u32_e64 v11, s0, s17, v18, s0
	v_mov_b32_e32 v7, 0
	v_cmp_gt_u64_e64 s0, s[14:15], v[10:11]
	v_dual_mov_b32 v10, 0 :: v_dual_mov_b32 v11, 0
	s_delay_alu instid0(VALU_DEP_2)
	s_and_saveexec_b32 s1, s0
	s_cbranch_execz .LBB32_8
; %bb.7:                                ;   in Loop: Header=BB32_4 Depth=1
	v_add_co_u32 v10, s4, s5, v25
	s_delay_alu instid0(VALU_DEP_1)
	v_add_co_ci_u32_e64 v11, null, s18, 0, s4
	global_load_b64 v[10:11], v[10:11], off offset:-4
.LBB32_8:                               ;   in Loop: Header=BB32_4 Depth=1
	s_or_b32 exec_lo, exec_lo, s1
	v_add_co_u32 v12, s1, v23, s16
	s_delay_alu instid0(VALU_DEP_1) | instskip(SKIP_1) | instid1(VALU_DEP_2)
	v_add_co_ci_u32_e64 v13, s1, s17, v24, s1
	v_mov_b32_e32 v6, 0
	v_cmp_gt_u64_e64 s1, s[14:15], v[12:13]
	s_delay_alu instid0(VALU_DEP_1)
	s_and_saveexec_b32 s21, s1
	s_cbranch_execz .LBB32_10
; %bb.9:                                ;   in Loop: Header=BB32_4 Depth=1
	v_add_co_u32 v6, s4, s5, v22
	s_delay_alu instid0(VALU_DEP_1)
	v_add_co_ci_u32_e64 v7, s4, s18, v21, s4
	global_load_b64 v[6:7], v[6:7], off offset:-4
.LBB32_10:                              ;   in Loop: Header=BB32_4 Depth=1
	s_or_b32 exec_lo, exec_lo, s21
	v_add_co_u32 v26, s4, v19, s16
	s_delay_alu instid0(VALU_DEP_1) | instskip(SKIP_1) | instid1(VALU_DEP_1)
	v_add_co_ci_u32_e64 v27, s4, s17, v20, s4
	v_add_co_u32 v12, s4, s5, v2
	v_add_co_ci_u32_e64 v13, s4, s18, v3, s4
	s_delay_alu instid0(VALU_DEP_3)
	v_cmp_gt_u64_e64 s4, s[14:15], v[26:27]
	ds_store_b64 v14, v[4:5]
	v_cndmask_b32_e64 v27, v16, v13, s4
	v_cndmask_b32_e64 v26, v14, v12, s4
	flat_load_b64 v[26:27], v[26:27]
	s_waitcnt vmcnt(0) lgkmcnt(0)
	v_mul_f32_e32 v28, s6, v27
	s_delay_alu instid0(VALU_DEP_1) | instskip(NEXT) | instid1(VALU_DEP_1)
	v_dual_mul_f32 v1, s7, v27 :: v_dual_fmac_f32 v28, s7, v26
	v_fma_f32 v27, s6, v26, -v1
	ds_store_b64 v14, v[27:28]
	s_and_saveexec_b32 s21, vcc_lo
	s_cbranch_execnz .LBB32_14
; %bb.11:                               ;   in Loop: Header=BB32_4 Depth=1
	s_or_b32 exec_lo, exec_lo, s21
	s_and_saveexec_b32 s21, s0
	s_cbranch_execnz .LBB32_15
.LBB32_12:                              ;   in Loop: Header=BB32_4 Depth=1
	s_or_b32 exec_lo, exec_lo, s21
	s_and_saveexec_b32 s0, s1
	s_cbranch_execnz .LBB32_16
.LBB32_13:                              ;   in Loop: Header=BB32_4 Depth=1
	s_or_b32 exec_lo, exec_lo, s0
	s_and_saveexec_b32 s0, s4
	s_cbranch_execz .LBB32_3
	s_branch .LBB32_17
.LBB32_14:                              ;   in Loop: Header=BB32_4 Depth=1
	v_mul_f32_e32 v1, s7, v9
	v_mul_f32_e32 v27, s7, v8
	v_add_co_u32 v28, s22, s5, v0
	s_delay_alu instid0(VALU_DEP_1) | instskip(NEXT) | instid1(VALU_DEP_4)
	v_add_co_ci_u32_e64 v29, null, s18, 0, s22
	v_fma_f32 v26, v8, s6, -v1
	s_delay_alu instid0(VALU_DEP_4)
	v_fmac_f32_e32 v27, s6, v9
	global_store_b64 v[28:29], v[26:27], off
	s_or_b32 exec_lo, exec_lo, s21
	s_and_saveexec_b32 s21, s0
	s_cbranch_execz .LBB32_12
.LBB32_15:                              ;   in Loop: Header=BB32_4 Depth=1
	v_mul_f32_e32 v1, s7, v11
	v_mul_f32_e32 v9, s7, v10
	s_delay_alu instid0(VALU_DEP_2) | instskip(SKIP_1) | instid1(VALU_DEP_3)
	v_fma_f32 v8, v10, s6, -v1
	v_add_co_u32 v10, s0, s5, v25
	v_fmac_f32_e32 v9, s6, v11
	v_add_co_ci_u32_e64 v11, null, s18, 0, s0
	global_store_b64 v[10:11], v[8:9], off offset:-4
	s_or_b32 exec_lo, exec_lo, s21
	s_and_saveexec_b32 s0, s1
	s_cbranch_execz .LBB32_13
.LBB32_16:                              ;   in Loop: Header=BB32_4 Depth=1
	v_mul_f32_e32 v1, s7, v7
	v_mul_f32_e32 v9, s7, v6
	s_delay_alu instid0(VALU_DEP_2) | instskip(SKIP_1) | instid1(VALU_DEP_3)
	v_fma_f32 v8, v6, s6, -v1
	v_add_co_u32 v6, vcc_lo, s5, v22
	v_fmac_f32_e32 v9, s6, v7
	v_add_co_ci_u32_e32 v7, vcc_lo, s18, v21, vcc_lo
	global_store_b64 v[6:7], v[8:9], off offset:-4
	s_or_b32 exec_lo, exec_lo, s0
	s_and_saveexec_b32 s0, s4
	s_cbranch_execz .LBB32_3
.LBB32_17:                              ;   in Loop: Header=BB32_4 Depth=1
	ds_load_b64 v[6:7], v14
	s_waitcnt lgkmcnt(0)
	global_store_b64 v[12:13], v[6:7], off
	s_branch .LBB32_3
.LBB32_18:
	s_cbranch_execz .LBB32_20
	s_branch .LBB32_23
.LBB32_19:
.LBB32_20:
	v_dual_mov_b32 v1, 0 :: v_dual_lshlrev_b32 v0, 2, v15
	s_mov_b32 s4, 0
	s_mov_b32 s0, exec_lo
	s_delay_alu instid0(VALU_DEP_1)
	v_cmpx_gt_i64_e64 s[8:9], v[0:1]
	s_cbranch_execz .LBB32_23
; %bb.21:
	s_load_b32 s0, s[2:3], 0xf54
	v_lshlrev_b32_e32 v2, 5, v15
	s_waitcnt lgkmcnt(0)
	s_and_b32 s0, s0, 0xffff
	s_delay_alu instid0(SALU_CYCLE_1)
	s_lshl_b32 s2, s0, 2
	s_add_u32 s1, s10, s12
	s_addc_u32 s3, s11, s13
	v_add_co_u32 v2, s1, s1, v2
	v_add_lshl_u32 v0, v15, s0, 2
	v_add_co_ci_u32_e64 v3, null, s3, 0, s1
	s_lshl_b32 s3, s0, 5
	s_set_inst_prefetch_distance 0x1
	.p2align	6
.LBB32_22:                              ; =>This Inner Loop Header: Depth=1
	s_clause 0x1
	global_load_b128 v[4:7], v[2:3], off
	global_load_b128 v[8:11], v[2:3], off offset:16
	v_cmp_le_i64_e32 vcc_lo, s[8:9], v[0:1]
	v_cmp_lt_u64_e64 s0, 0xffff, v[0:1]
	v_add_co_u32 v0, s1, v0, s2
	s_delay_alu instid0(VALU_DEP_1) | instskip(NEXT) | instid1(VALU_DEP_3)
	v_add_co_ci_u32_e64 v1, s1, 0, v1, s1
	s_or_b32 s0, vcc_lo, s0
	s_delay_alu instid0(SALU_CYCLE_1) | instskip(NEXT) | instid1(SALU_CYCLE_1)
	s_and_b32 s0, exec_lo, s0
	s_or_b32 s4, s0, s4
	s_waitcnt vmcnt(1)
	v_dual_mul_f32 v12, s7, v5 :: v_dual_mul_f32 v13, s7, v7
	v_mul_f32_e32 v16, s6, v5
	s_waitcnt vmcnt(0)
	v_dual_mul_f32 v18, s6, v7 :: v_dual_mul_f32 v19, s7, v9
	v_mul_f32_e32 v5, s6, v9
	s_delay_alu instid0(VALU_DEP_3) | instskip(NEXT) | instid1(VALU_DEP_3)
	v_dual_mul_f32 v9, s7, v11 :: v_dual_fmac_f32 v16, s7, v4
	v_dual_mul_f32 v7, s6, v11 :: v_dual_fmac_f32 v18, s7, v6
	v_fma_f32 v15, v4, s6, -v12
	v_fma_f32 v17, v6, s6, -v13
	;; [unrolled: 1-line block ×3, first 2 shown]
	v_fmac_f32_e32 v5, s7, v8
	v_fma_f32 v6, s6, v10, -v9
	v_fmac_f32_e32 v7, s7, v10
	s_clause 0x1
	global_store_b128 v[2:3], v[15:18], off
	global_store_b128 v[2:3], v[4:7], off offset:16
	v_add_co_u32 v2, vcc_lo, v2, s3
	v_add_co_ci_u32_e32 v3, vcc_lo, 0, v3, vcc_lo
	ds_store_b64 v14, v[6:7]
	s_and_not1_b32 exec_lo, exec_lo, s4
	s_cbranch_execnz .LBB32_22
.LBB32_23:
	s_set_inst_prefetch_distance 0x2
	s_nop 0
	s_sendmsg sendmsg(MSG_DEALLOC_VGPRS)
	s_endpgm
	.section	.rodata,"a",@progbits
	.p2align	6, 0x0
	.amdhsa_kernel _ZN2at6native12_GLOBAL__N_125multi_tensor_apply_kernelINS1_28TensorListScalarListMetadataIN3c107complexIfEELi1EEENS1_25BinaryOpScalarListFunctorIS6_Li1ELi1ELi0EEEJSt10multipliesIS6_EEEEvT_T0_DpT1_
		.amdhsa_group_segment_fixed_size 4096
		.amdhsa_private_segment_fixed_size 0
		.amdhsa_kernarg_size 4168
		.amdhsa_user_sgpr_count 15
		.amdhsa_user_sgpr_dispatch_ptr 1
		.amdhsa_user_sgpr_queue_ptr 0
		.amdhsa_user_sgpr_kernarg_segment_ptr 1
		.amdhsa_user_sgpr_dispatch_id 0
		.amdhsa_user_sgpr_private_segment_size 0
		.amdhsa_wavefront_size32 1
		.amdhsa_uses_dynamic_stack 0
		.amdhsa_enable_private_segment 0
		.amdhsa_system_sgpr_workgroup_id_x 1
		.amdhsa_system_sgpr_workgroup_id_y 0
		.amdhsa_system_sgpr_workgroup_id_z 0
		.amdhsa_system_sgpr_workgroup_info 0
		.amdhsa_system_vgpr_workitem_id 2
		.amdhsa_next_free_vgpr 30
		.amdhsa_next_free_sgpr 23
		.amdhsa_reserve_vcc 1
		.amdhsa_float_round_mode_32 0
		.amdhsa_float_round_mode_16_64 0
		.amdhsa_float_denorm_mode_32 3
		.amdhsa_float_denorm_mode_16_64 3
		.amdhsa_dx10_clamp 1
		.amdhsa_ieee_mode 1
		.amdhsa_fp16_overflow 0
		.amdhsa_workgroup_processor_mode 1
		.amdhsa_memory_ordered 1
		.amdhsa_forward_progress 0
		.amdhsa_shared_vgpr_count 0
		.amdhsa_exception_fp_ieee_invalid_op 0
		.amdhsa_exception_fp_denorm_src 0
		.amdhsa_exception_fp_ieee_div_zero 0
		.amdhsa_exception_fp_ieee_overflow 0
		.amdhsa_exception_fp_ieee_underflow 0
		.amdhsa_exception_fp_ieee_inexact 0
		.amdhsa_exception_int_div_zero 0
	.end_amdhsa_kernel
	.section	.text._ZN2at6native12_GLOBAL__N_125multi_tensor_apply_kernelINS1_28TensorListScalarListMetadataIN3c107complexIfEELi1EEENS1_25BinaryOpScalarListFunctorIS6_Li1ELi1ELi0EEEJSt10multipliesIS6_EEEEvT_T0_DpT1_,"axG",@progbits,_ZN2at6native12_GLOBAL__N_125multi_tensor_apply_kernelINS1_28TensorListScalarListMetadataIN3c107complexIfEELi1EEENS1_25BinaryOpScalarListFunctorIS6_Li1ELi1ELi0EEEJSt10multipliesIS6_EEEEvT_T0_DpT1_,comdat
.Lfunc_end32:
	.size	_ZN2at6native12_GLOBAL__N_125multi_tensor_apply_kernelINS1_28TensorListScalarListMetadataIN3c107complexIfEELi1EEENS1_25BinaryOpScalarListFunctorIS6_Li1ELi1ELi0EEEJSt10multipliesIS6_EEEEvT_T0_DpT1_, .Lfunc_end32-_ZN2at6native12_GLOBAL__N_125multi_tensor_apply_kernelINS1_28TensorListScalarListMetadataIN3c107complexIfEELi1EEENS1_25BinaryOpScalarListFunctorIS6_Li1ELi1ELi0EEEJSt10multipliesIS6_EEEEvT_T0_DpT1_
                                        ; -- End function
	.section	.AMDGPU.csdata,"",@progbits
; Kernel info:
; codeLenInByte = 1432
; NumSgprs: 25
; NumVgprs: 30
; ScratchSize: 0
; MemoryBound: 0
; FloatMode: 240
; IeeeMode: 1
; LDSByteSize: 4096 bytes/workgroup (compile time only)
; SGPRBlocks: 3
; VGPRBlocks: 3
; NumSGPRsForWavesPerEU: 25
; NumVGPRsForWavesPerEU: 30
; Occupancy: 16
; WaveLimiterHint : 1
; COMPUTE_PGM_RSRC2:SCRATCH_EN: 0
; COMPUTE_PGM_RSRC2:USER_SGPR: 15
; COMPUTE_PGM_RSRC2:TRAP_HANDLER: 0
; COMPUTE_PGM_RSRC2:TGID_X_EN: 1
; COMPUTE_PGM_RSRC2:TGID_Y_EN: 0
; COMPUTE_PGM_RSRC2:TGID_Z_EN: 0
; COMPUTE_PGM_RSRC2:TIDIG_COMP_CNT: 2
	.section	.text._ZN2at6native12_GLOBAL__N_125multi_tensor_apply_kernelINS1_28TensorListScalarListMetadataIbLi1EEENS1_25BinaryOpScalarListFunctorIbLi1ELi1ELi0EEEJSt10multipliesIbEEEEvT_T0_DpT1_,"axG",@progbits,_ZN2at6native12_GLOBAL__N_125multi_tensor_apply_kernelINS1_28TensorListScalarListMetadataIbLi1EEENS1_25BinaryOpScalarListFunctorIbLi1ELi1ELi0EEEJSt10multipliesIbEEEEvT_T0_DpT1_,comdat
	.globl	_ZN2at6native12_GLOBAL__N_125multi_tensor_apply_kernelINS1_28TensorListScalarListMetadataIbLi1EEENS1_25BinaryOpScalarListFunctorIbLi1ELi1ELi0EEEJSt10multipliesIbEEEEvT_T0_DpT1_ ; -- Begin function _ZN2at6native12_GLOBAL__N_125multi_tensor_apply_kernelINS1_28TensorListScalarListMetadataIbLi1EEENS1_25BinaryOpScalarListFunctorIbLi1ELi1ELi0EEEJSt10multipliesIbEEEEvT_T0_DpT1_
	.p2align	8
	.type	_ZN2at6native12_GLOBAL__N_125multi_tensor_apply_kernelINS1_28TensorListScalarListMetadataIbLi1EEENS1_25BinaryOpScalarListFunctorIbLi1ELi1ELi0EEEJSt10multipliesIbEEEEvT_T0_DpT1_,@function
_ZN2at6native12_GLOBAL__N_125multi_tensor_apply_kernelINS1_28TensorListScalarListMetadataIbLi1EEENS1_25BinaryOpScalarListFunctorIbLi1ELi1ELi0EEEJSt10multipliesIbEEEEvT_T0_DpT1_: ; @_ZN2at6native12_GLOBAL__N_125multi_tensor_apply_kernelINS1_28TensorListScalarListMetadataIbLi1EEENS1_25BinaryOpScalarListFunctorIbLi1ELi1ELi0EEEJSt10multipliesIbEEEEvT_T0_DpT1_
; %bb.0:
	v_mov_b32_e32 v1, s15
	s_mul_i32 s3, s15, 3
	s_mul_hi_u32 s4, s15, 3
	global_load_u8 v3, v1, s[0:1] offset:1632
	s_waitcnt vmcnt(0)
	v_add_co_u32 v1, s2, s0, v3
	s_delay_alu instid0(VALU_DEP_1)
	v_add_co_ci_u32_e64 v2, null, s1, 0, s2
	s_add_u32 s2, s0, s15
	s_addc_u32 s5, s1, 0
	s_add_u32 s2, s2, s3
	global_load_u8 v1, v[1:2], off offset:1536
	v_readfirstlane_b32 s6, v3
	s_addc_u32 s3, s5, s4
	s_load_b32 s4, s[2:3], 0x7a0
	s_delay_alu instid0(VALU_DEP_1)
	s_lshl_b32 s5, s6, 3
	s_clause 0x1
	s_load_b64 s[2:3], s[0:1], s5 offset:0x0
	s_load_b64 s[8:9], s[0:1], s5 offset:0x300
	s_waitcnt lgkmcnt(0)
	s_ashr_i32 s5, s4, 31
	s_delay_alu instid0(SALU_CYCLE_1) | instskip(NEXT) | instid1(SALU_CYCLE_1)
	s_lshl_b64 s[4:5], s[4:5], 16
	s_add_u32 s12, s2, s4
	s_addc_u32 s13, s3, s5
	s_waitcnt vmcnt(0)
	v_readfirstlane_b32 s6, v1
	s_delay_alu instid0(VALU_DEP_1) | instskip(SKIP_4) | instid1(SALU_CYCLE_1)
	s_bitcmp1_b32 s6, 0
	s_cselect_b32 s14, -1, 0
	s_sub_u32 s6, s8, s4
	s_subb_u32 s7, s9, s5
	s_or_b32 s8, s8, s12
	s_and_b32 s8, s8, 3
	s_delay_alu instid0(SALU_CYCLE_1)
	s_cmp_eq_u32 s8, 0
	s_cbranch_scc1 .LBB33_21
; %bb.1:
	v_cmp_lt_i64_e64 s8, s[6:7], 1
	s_delay_alu instid0(VALU_DEP_1)
	s_and_b32 vcc_lo, exec_lo, s8
	s_cbranch_vccnz .LBB33_20
; %bb.2:
	s_load_b32 s8, s[0:1], 0xcb4
	v_add_co_u32 v11, s9, s4, v0
	s_delay_alu instid0(VALU_DEP_1) | instskip(SKIP_1) | instid1(VALU_DEP_3)
	v_add_co_ci_u32_e64 v12, null, s5, 0, s9
	v_cmp_gt_u64_e64 s9, 0x10000, s[6:7]
	v_add_co_u32 v1, vcc_lo, s2, v11
	s_delay_alu instid0(VALU_DEP_3) | instskip(SKIP_2) | instid1(VALU_DEP_3)
	v_add_co_ci_u32_e32 v2, vcc_lo, s3, v12, vcc_lo
	s_waitcnt lgkmcnt(0)
	s_and_b32 s10, s8, 0xffff
	s_and_b32 s8, s9, exec_lo
	s_mul_i32 s16, s10, 3
	s_cselect_b32 s9, s7, 0
	s_cselect_b32 s8, s6, 0x10000
	s_lshl_b32 s11, s10, 1
	s_lshl_b32 s15, s10, 2
	s_add_u32 s17, s4, s16
	v_add_co_u32 v3, s16, s16, v0
	s_delay_alu instid0(VALU_DEP_1)
	v_add_co_ci_u32_e64 v4, null, 0, 0, s16
	s_addc_u32 s16, s5, 0
	s_add_u32 s17, s2, s17
	s_addc_u32 s16, s3, s16
	s_add_u32 s4, s4, s11
	;; [unrolled: 2-line block ×3, first 2 shown]
	s_addc_u32 s5, s3, s5
	v_add_co_u32 v7, s4, s4, v0
	s_add_u32 s2, s2, s10
	v_add_co_u32 v5, s17, s17, v0
	v_add_co_ci_u32_e64 v8, null, s5, 0, s4
	v_add_co_u32 v9, s4, s11, v0
	s_addc_u32 s3, s3, 0
	v_add_co_u32 v11, vcc_lo, s2, v11
	v_add_co_u32 v13, s2, v0, s10
	v_add_co_ci_u32_e64 v6, null, s16, 0, s17
	v_add_co_ci_u32_e64 v10, null, 0, 0, s4
	v_add_co_ci_u32_e32 v12, vcc_lo, s3, v12, vcc_lo
	v_add_co_ci_u32_e64 v14, null, 0, 0, s2
	s_mov_b64 s[10:11], 0
	s_branch .LBB33_4
.LBB33_3:                               ;   in Loop: Header=BB33_4 Depth=1
	s_or_b32 exec_lo, exec_lo, s2
	s_add_u32 s10, s10, s15
	s_addc_u32 s11, s11, 0
	s_delay_alu instid0(SALU_CYCLE_1) | instskip(SKIP_1) | instid1(VALU_DEP_1)
	v_cmp_lt_i64_e64 s2, s[10:11], s[6:7]
	v_cmp_gt_u64_e64 s3, 0x10000, s[10:11]
	s_and_b32 s2, s2, s3
	s_delay_alu instid0(SALU_CYCLE_1)
	s_and_b32 vcc_lo, exec_lo, s2
	s_cbranch_vccz .LBB33_20
.LBB33_4:                               ; =>This Inner Loop Header: Depth=1
	s_waitcnt vmcnt(0)
	v_add_co_u32 v15, s2, v0, s10
	s_delay_alu instid0(VALU_DEP_1) | instskip(NEXT) | instid1(VALU_DEP_1)
	v_add_co_ci_u32_e64 v16, null, 0, s11, s2
	v_cmp_gt_u64_e32 vcc_lo, s[8:9], v[15:16]
	v_mov_b32_e32 v16, 0
	s_and_saveexec_b32 s3, vcc_lo
	s_cbranch_execz .LBB33_6
; %bb.5:                                ;   in Loop: Header=BB33_4 Depth=1
	v_add_co_u32 v15, s2, v1, s10
	s_delay_alu instid0(VALU_DEP_1)
	v_add_co_ci_u32_e64 v16, s2, s11, v2, s2
	global_load_u8 v16, v[15:16], off
.LBB33_6:                               ;   in Loop: Header=BB33_4 Depth=1
	s_or_b32 exec_lo, exec_lo, s3
	v_add_co_u32 v17, s2, v13, s10
	s_delay_alu instid0(VALU_DEP_1) | instskip(NEXT) | instid1(VALU_DEP_1)
	v_add_co_ci_u32_e64 v18, s2, s11, v14, s2
	v_cmp_gt_u64_e64 s2, s[8:9], v[17:18]
	v_mov_b32_e32 v17, 0
	s_delay_alu instid0(VALU_DEP_2)
	s_and_saveexec_b32 s4, s2
	s_cbranch_execz .LBB33_8
; %bb.7:                                ;   in Loop: Header=BB33_4 Depth=1
	v_add_co_u32 v17, s3, v11, s10
	s_delay_alu instid0(VALU_DEP_1)
	v_add_co_ci_u32_e64 v18, s3, s11, v12, s3
	global_load_u8 v17, v[17:18], off
.LBB33_8:                               ;   in Loop: Header=BB33_4 Depth=1
	s_or_b32 exec_lo, exec_lo, s4
	v_add_co_u32 v18, s3, v9, s10
	s_delay_alu instid0(VALU_DEP_1) | instskip(SKIP_1) | instid1(VALU_DEP_2)
	v_add_co_ci_u32_e64 v19, s3, s11, v10, s3
	v_mov_b32_e32 v15, 0
	v_cmp_gt_u64_e64 s3, s[8:9], v[18:19]
	v_mov_b32_e32 v18, 0
	s_delay_alu instid0(VALU_DEP_2)
	s_and_saveexec_b32 s5, s3
	s_cbranch_execz .LBB33_10
; %bb.9:                                ;   in Loop: Header=BB33_4 Depth=1
	v_add_co_u32 v18, s4, v7, s10
	s_delay_alu instid0(VALU_DEP_1)
	v_add_co_ci_u32_e64 v19, s4, s11, v8, s4
	global_load_u8 v18, v[18:19], off
.LBB33_10:                              ;   in Loop: Header=BB33_4 Depth=1
	s_or_b32 exec_lo, exec_lo, s5
	v_add_co_u32 v19, s4, v3, s10
	s_delay_alu instid0(VALU_DEP_1) | instskip(NEXT) | instid1(VALU_DEP_1)
	v_add_co_ci_u32_e64 v20, s4, s11, v4, s4
	v_cmp_gt_u64_e64 s4, s[8:9], v[19:20]
	s_delay_alu instid0(VALU_DEP_1)
	s_and_saveexec_b32 s16, s4
	s_cbranch_execnz .LBB33_15
; %bb.11:                               ;   in Loop: Header=BB33_4 Depth=1
	s_or_b32 exec_lo, exec_lo, s16
	s_and_saveexec_b32 s5, vcc_lo
	s_cbranch_execnz .LBB33_16
.LBB33_12:                              ;   in Loop: Header=BB33_4 Depth=1
	s_or_b32 exec_lo, exec_lo, s5
	s_and_saveexec_b32 s5, s2
	s_cbranch_execnz .LBB33_17
.LBB33_13:                              ;   in Loop: Header=BB33_4 Depth=1
	s_or_b32 exec_lo, exec_lo, s5
	s_and_saveexec_b32 s2, s3
	s_cbranch_execnz .LBB33_18
.LBB33_14:                              ;   in Loop: Header=BB33_4 Depth=1
	s_or_b32 exec_lo, exec_lo, s2
	s_and_saveexec_b32 s2, s4
	s_cbranch_execz .LBB33_3
	s_branch .LBB33_19
.LBB33_15:                              ;   in Loop: Header=BB33_4 Depth=1
	v_add_co_u32 v19, s5, v5, s10
	s_delay_alu instid0(VALU_DEP_1)
	v_add_co_ci_u32_e64 v20, s5, s11, v6, s5
	global_load_u8 v15, v[19:20], off
	s_or_b32 exec_lo, exec_lo, s16
	s_and_saveexec_b32 s5, vcc_lo
	s_cbranch_execz .LBB33_12
.LBB33_16:                              ;   in Loop: Header=BB33_4 Depth=1
	s_waitcnt vmcnt(0)
	v_and_b32_e32 v16, 0xff, v16
	s_delay_alu instid0(VALU_DEP_1)
	v_cmp_ne_u16_e32 vcc_lo, 0, v16
	s_and_b32 s16, vcc_lo, s14
	v_add_co_u32 v19, vcc_lo, v1, s10
	v_cndmask_b32_e64 v16, 0, 1, s16
	v_add_co_ci_u32_e32 v20, vcc_lo, s11, v2, vcc_lo
	global_store_b8 v[19:20], v16, off
	s_or_b32 exec_lo, exec_lo, s5
	s_and_saveexec_b32 s5, s2
	s_cbranch_execz .LBB33_13
.LBB33_17:                              ;   in Loop: Header=BB33_4 Depth=1
	s_waitcnt vmcnt(0)
	v_and_b32_e32 v16, 0xff, v17
	s_delay_alu instid0(VALU_DEP_1)
	v_cmp_ne_u16_e32 vcc_lo, 0, v16
	s_and_b32 s2, vcc_lo, s14
	v_add_co_u32 v16, vcc_lo, v11, s10
	v_cndmask_b32_e64 v19, 0, 1, s2
	v_add_co_ci_u32_e32 v17, vcc_lo, s11, v12, vcc_lo
	global_store_b8 v[16:17], v19, off
	s_or_b32 exec_lo, exec_lo, s5
	s_and_saveexec_b32 s2, s3
	s_cbranch_execz .LBB33_14
.LBB33_18:                              ;   in Loop: Header=BB33_4 Depth=1
	s_waitcnt vmcnt(0)
	v_and_b32_e32 v16, 0xff, v18
	s_delay_alu instid0(VALU_DEP_1)
	v_cmp_ne_u16_e32 vcc_lo, 0, v16
	s_and_b32 s3, vcc_lo, s14
	v_add_co_u32 v16, vcc_lo, v7, s10
	v_cndmask_b32_e64 v18, 0, 1, s3
	v_add_co_ci_u32_e32 v17, vcc_lo, s11, v8, vcc_lo
	global_store_b8 v[16:17], v18, off
	s_or_b32 exec_lo, exec_lo, s2
	s_and_saveexec_b32 s2, s4
	s_cbranch_execz .LBB33_3
.LBB33_19:                              ;   in Loop: Header=BB33_4 Depth=1
	s_waitcnt vmcnt(0)
	v_and_b32_e32 v15, 0xff, v15
	s_delay_alu instid0(VALU_DEP_1)
	v_cmp_ne_u16_e32 vcc_lo, 0, v15
	s_and_b32 s3, vcc_lo, s14
	v_add_co_u32 v15, vcc_lo, v5, s10
	v_cndmask_b32_e64 v17, 0, 1, s3
	v_add_co_ci_u32_e32 v16, vcc_lo, s11, v6, vcc_lo
	global_store_b8 v[15:16], v17, off
	s_branch .LBB33_3
.LBB33_20:
	s_cbranch_execz .LBB33_22
	s_branch .LBB33_25
.LBB33_21:
.LBB33_22:
	v_dual_mov_b32 v1, 0 :: v_dual_lshlrev_b32 v0, 2, v0
	s_mov_b32 s2, exec_lo
	s_delay_alu instid0(VALU_DEP_1)
	v_cmpx_gt_i64_e64 s[6:7], v[0:1]
	s_cbranch_execz .LBB33_25
; %bb.23:
	s_load_b32 s0, s[0:1], 0xcb4
	s_mov_b32 s8, 0
	s_waitcnt lgkmcnt(0)
	s_and_b32 s0, s0, 0xffff
	s_delay_alu instid0(SALU_CYCLE_1)
	s_lshl_b32 s5, s0, 2
.LBB33_24:                              ; =>This Inner Loop Header: Depth=1
	v_add_co_u32 v2, vcc_lo, s12, v0
	v_add_co_ci_u32_e32 v3, vcc_lo, s13, v1, vcc_lo
	v_add_co_u32 v0, vcc_lo, s5, v0
	v_add_co_ci_u32_e32 v1, vcc_lo, 0, v1, vcc_lo
	global_load_b32 v4, v[2:3], off
	v_cmp_le_i64_e32 vcc_lo, s[6:7], v[0:1]
	v_cmp_lt_u64_e64 s0, 0xffff, v[0:1]
	s_delay_alu instid0(VALU_DEP_1)
	s_or_b32 s0, vcc_lo, s0
	s_waitcnt vmcnt(0)
	v_and_b32_e32 v5, 0xff0000, v4
	v_and_b32_e32 v7, 0xff00, v4
	v_cmp_lt_u32_e64 s1, 0xffffff, v4
	v_and_b32_e32 v6, 0xff, v4
	s_delay_alu instid0(VALU_DEP_4) | instskip(NEXT) | instid1(VALU_DEP_4)
	v_cmp_ne_u32_e64 s2, 0, v5
	v_cmp_ne_u32_e64 s4, 0, v7
	s_delay_alu instid0(VALU_DEP_4) | instskip(NEXT) | instid1(VALU_DEP_3)
	s_and_b32 s1, s1, s14
	v_cmp_ne_u32_e64 s3, 0, v6
	v_cndmask_b32_e64 v4, 0, 0x1000000, s1
	s_and_b32 s1, s2, s14
	s_delay_alu instid0(SALU_CYCLE_1) | instskip(SKIP_1) | instid1(SALU_CYCLE_1)
	v_cndmask_b32_e64 v5, 0, 0x10000, s1
	s_and_b32 s1, s4, s14
	v_cndmask_b32_e64 v6, 0, 0x100, s1
	s_and_b32 s1, s3, s14
	s_delay_alu instid0(VALU_DEP_2) | instskip(SKIP_2) | instid1(SALU_CYCLE_1)
	v_or_b32_e32 v4, v5, v4
	v_cndmask_b32_e64 v7, 0, 1, s1
	s_and_b32 s0, exec_lo, s0
	s_or_b32 s8, s0, s8
	s_delay_alu instid0(VALU_DEP_1)
	v_or3_b32 v4, v4, v6, v7
	global_store_b32 v[2:3], v4, off
	s_and_not1_b32 exec_lo, exec_lo, s8
	s_cbranch_execnz .LBB33_24
.LBB33_25:
	s_nop 0
	s_sendmsg sendmsg(MSG_DEALLOC_VGPRS)
	s_endpgm
	.section	.rodata,"a",@progbits
	.p2align	6, 0x0
	.amdhsa_kernel _ZN2at6native12_GLOBAL__N_125multi_tensor_apply_kernelINS1_28TensorListScalarListMetadataIbLi1EEENS1_25BinaryOpScalarListFunctorIbLi1ELi1ELi0EEEJSt10multipliesIbEEEEvT_T0_DpT1_
		.amdhsa_group_segment_fixed_size 0
		.amdhsa_private_segment_fixed_size 0
		.amdhsa_kernarg_size 3496
		.amdhsa_user_sgpr_count 15
		.amdhsa_user_sgpr_dispatch_ptr 0
		.amdhsa_user_sgpr_queue_ptr 0
		.amdhsa_user_sgpr_kernarg_segment_ptr 1
		.amdhsa_user_sgpr_dispatch_id 0
		.amdhsa_user_sgpr_private_segment_size 0
		.amdhsa_wavefront_size32 1
		.amdhsa_uses_dynamic_stack 0
		.amdhsa_enable_private_segment 0
		.amdhsa_system_sgpr_workgroup_id_x 1
		.amdhsa_system_sgpr_workgroup_id_y 0
		.amdhsa_system_sgpr_workgroup_id_z 0
		.amdhsa_system_sgpr_workgroup_info 0
		.amdhsa_system_vgpr_workitem_id 0
		.amdhsa_next_free_vgpr 21
		.amdhsa_next_free_sgpr 18
		.amdhsa_reserve_vcc 1
		.amdhsa_float_round_mode_32 0
		.amdhsa_float_round_mode_16_64 0
		.amdhsa_float_denorm_mode_32 3
		.amdhsa_float_denorm_mode_16_64 3
		.amdhsa_dx10_clamp 1
		.amdhsa_ieee_mode 1
		.amdhsa_fp16_overflow 0
		.amdhsa_workgroup_processor_mode 1
		.amdhsa_memory_ordered 1
		.amdhsa_forward_progress 0
		.amdhsa_shared_vgpr_count 0
		.amdhsa_exception_fp_ieee_invalid_op 0
		.amdhsa_exception_fp_denorm_src 0
		.amdhsa_exception_fp_ieee_div_zero 0
		.amdhsa_exception_fp_ieee_overflow 0
		.amdhsa_exception_fp_ieee_underflow 0
		.amdhsa_exception_fp_ieee_inexact 0
		.amdhsa_exception_int_div_zero 0
	.end_amdhsa_kernel
	.section	.text._ZN2at6native12_GLOBAL__N_125multi_tensor_apply_kernelINS1_28TensorListScalarListMetadataIbLi1EEENS1_25BinaryOpScalarListFunctorIbLi1ELi1ELi0EEEJSt10multipliesIbEEEEvT_T0_DpT1_,"axG",@progbits,_ZN2at6native12_GLOBAL__N_125multi_tensor_apply_kernelINS1_28TensorListScalarListMetadataIbLi1EEENS1_25BinaryOpScalarListFunctorIbLi1ELi1ELi0EEEJSt10multipliesIbEEEEvT_T0_DpT1_,comdat
.Lfunc_end33:
	.size	_ZN2at6native12_GLOBAL__N_125multi_tensor_apply_kernelINS1_28TensorListScalarListMetadataIbLi1EEENS1_25BinaryOpScalarListFunctorIbLi1ELi1ELi0EEEJSt10multipliesIbEEEEvT_T0_DpT1_, .Lfunc_end33-_ZN2at6native12_GLOBAL__N_125multi_tensor_apply_kernelINS1_28TensorListScalarListMetadataIbLi1EEENS1_25BinaryOpScalarListFunctorIbLi1ELi1ELi0EEEJSt10multipliesIbEEEEvT_T0_DpT1_
                                        ; -- End function
	.section	.AMDGPU.csdata,"",@progbits
; Kernel info:
; codeLenInByte = 1416
; NumSgprs: 20
; NumVgprs: 21
; ScratchSize: 0
; MemoryBound: 0
; FloatMode: 240
; IeeeMode: 1
; LDSByteSize: 0 bytes/workgroup (compile time only)
; SGPRBlocks: 2
; VGPRBlocks: 2
; NumSGPRsForWavesPerEU: 20
; NumVGPRsForWavesPerEU: 21
; Occupancy: 16
; WaveLimiterHint : 0
; COMPUTE_PGM_RSRC2:SCRATCH_EN: 0
; COMPUTE_PGM_RSRC2:USER_SGPR: 15
; COMPUTE_PGM_RSRC2:TRAP_HANDLER: 0
; COMPUTE_PGM_RSRC2:TGID_X_EN: 1
; COMPUTE_PGM_RSRC2:TGID_Y_EN: 0
; COMPUTE_PGM_RSRC2:TGID_Z_EN: 0
; COMPUTE_PGM_RSRC2:TIDIG_COMP_CNT: 0
	.section	.text._ZN2at6native12_GLOBAL__N_125multi_tensor_apply_kernelINS1_28TensorListScalarListMetadataIfLi1EEENS1_25BinaryOpScalarListFunctorIN3c104HalfELi1ELi1ELi0EEEJSt10multipliesIfEEEEvT_T0_DpT1_,"axG",@progbits,_ZN2at6native12_GLOBAL__N_125multi_tensor_apply_kernelINS1_28TensorListScalarListMetadataIfLi1EEENS1_25BinaryOpScalarListFunctorIN3c104HalfELi1ELi1ELi0EEEJSt10multipliesIfEEEEvT_T0_DpT1_,comdat
	.globl	_ZN2at6native12_GLOBAL__N_125multi_tensor_apply_kernelINS1_28TensorListScalarListMetadataIfLi1EEENS1_25BinaryOpScalarListFunctorIN3c104HalfELi1ELi1ELi0EEEJSt10multipliesIfEEEEvT_T0_DpT1_ ; -- Begin function _ZN2at6native12_GLOBAL__N_125multi_tensor_apply_kernelINS1_28TensorListScalarListMetadataIfLi1EEENS1_25BinaryOpScalarListFunctorIN3c104HalfELi1ELi1ELi0EEEJSt10multipliesIfEEEEvT_T0_DpT1_
	.p2align	8
	.type	_ZN2at6native12_GLOBAL__N_125multi_tensor_apply_kernelINS1_28TensorListScalarListMetadataIfLi1EEENS1_25BinaryOpScalarListFunctorIN3c104HalfELi1ELi1ELi0EEEJSt10multipliesIfEEEEvT_T0_DpT1_,@function
_ZN2at6native12_GLOBAL__N_125multi_tensor_apply_kernelINS1_28TensorListScalarListMetadataIfLi1EEENS1_25BinaryOpScalarListFunctorIN3c104HalfELi1ELi1ELi0EEEJSt10multipliesIfEEEEvT_T0_DpT1_: ; @_ZN2at6native12_GLOBAL__N_125multi_tensor_apply_kernelINS1_28TensorListScalarListMetadataIfLi1EEENS1_25BinaryOpScalarListFunctorIN3c104HalfELi1ELi1ELi0EEEJSt10multipliesIfEEEEvT_T0_DpT1_
; %bb.0:
	v_mov_b32_e32 v1, s15
	s_add_u32 s2, s0, s15
	s_mul_i32 s3, s15, 3
	s_mul_hi_u32 s4, s15, 3
	s_addc_u32 s5, s1, 0
	global_load_u8 v1, v1, s[0:1] offset:1920
	s_add_u32 s2, s2, s3
	s_addc_u32 s3, s5, s4
	s_load_b32 s2, s[2:3], 0x8c0
	s_waitcnt vmcnt(0)
	v_readfirstlane_b32 s3, v1
	v_lshlrev_b32_e32 v1, 2, v1
	s_delay_alu instid0(VALU_DEP_2)
	s_lshl_b32 s6, s3, 3
	s_waitcnt lgkmcnt(0)
	s_ashr_i32 s3, s2, 31
	s_clause 0x1
	s_load_b64 s[4:5], s[0:1], s6 offset:0x300
	s_load_b64 s[8:9], s[0:1], s6 offset:0x0
	s_add_u32 s6, s0, s6
	s_addc_u32 s7, s1, 0
	v_sub_co_u32 v1, s6, s6, v1
	s_delay_alu instid0(VALU_DEP_1) | instskip(SKIP_1) | instid1(VALU_DEP_2)
	v_sub_co_ci_u32_e64 v2, null, s7, 0, s6
	s_lshl_b64 s[10:11], s[2:3], 17
	v_readfirstlane_b32 s6, v1
	s_lshl_b64 s[2:3], s[2:3], 16
	s_delay_alu instid0(VALU_DEP_2)
	v_readfirstlane_b32 s7, v2
	s_load_b32 s16, s[6:7], 0x600
	s_waitcnt lgkmcnt(0)
	s_and_b32 s12, s8, 7
	s_sub_u32 s6, s4, s2
	s_subb_u32 s7, s5, s3
	s_and_b32 s2, s4, 3
	s_mov_b32 s3, 0
	s_or_b32 s2, s12, s2
	s_delay_alu instid0(SALU_CYCLE_1)
	s_cmp_eq_u64 s[2:3], 0
	s_cbranch_scc1 .LBB34_21
; %bb.1:
	v_cmp_lt_i64_e64 s2, s[6:7], 1
	s_delay_alu instid0(VALU_DEP_1)
	s_and_b32 vcc_lo, exec_lo, s2
	s_cbranch_vccnz .LBB34_20
; %bb.2:
	s_load_b32 s2, s[0:1], 0xdd4
	v_cmp_gt_u64_e64 s3, 0x10000, s[6:7]
	v_lshlrev_b32_e32 v1, 1, v0
	s_waitcnt lgkmcnt(0)
	s_and_b32 s2, s2, 0xffff
	s_delay_alu instid0(VALU_DEP_2)
	s_and_b32 s3, s3, exec_lo
	v_add_co_u32 v5, s5, v0, s2
	s_cselect_b32 s13, s7, 0
	s_cselect_b32 s12, s6, 0x10000
	s_lshl_b32 s3, s2, 1
	s_lshl_b32 s17, s2, 2
	v_lshlrev_b32_e32 v3, 1, v5
	v_add_co_ci_u32_e64 v6, null, 0, 0, s5
	s_add_u32 s5, s8, s10
	v_add_co_u32 v9, s3, s3, v0
	s_mul_i32 s4, s2, 3
	s_addc_u32 s14, s9, s11
	v_add_co_ci_u32_e64 v10, null, 0, 0, s3
	v_add_co_u32 v1, s3, s5, v1
	v_add_co_u32 v7, s4, s4, v0
	v_add_co_ci_u32_e64 v2, null, s14, 0, s3
	v_add_co_u32 v3, s3, s5, v3
	v_add_co_ci_u32_e64 v8, null, 0, 0, s4
	v_add_co_ci_u32_e64 v4, null, s14, 0, s3
	s_lshl_b32 s18, s2, 3
	s_mul_i32 s19, s2, 6
	s_mov_b64 s[14:15], 0
	s_branch .LBB34_4
.LBB34_3:                               ;   in Loop: Header=BB34_4 Depth=1
	s_or_b32 exec_lo, exec_lo, s2
	s_add_u32 s14, s14, s17
	s_addc_u32 s15, s15, 0
	v_add_co_u32 v1, vcc_lo, v1, s18
	v_cmp_lt_i64_e64 s2, s[14:15], s[6:7]
	v_cmp_gt_u64_e64 s3, 0x10000, s[14:15]
	v_add_co_ci_u32_e32 v2, vcc_lo, 0, v2, vcc_lo
	v_add_co_u32 v3, vcc_lo, v3, s18
	v_add_co_ci_u32_e32 v4, vcc_lo, 0, v4, vcc_lo
	s_delay_alu instid0(VALU_DEP_4) | instskip(NEXT) | instid1(SALU_CYCLE_1)
	s_and_b32 s2, s2, s3
	s_and_b32 vcc_lo, exec_lo, s2
	s_cbranch_vccz .LBB34_20
.LBB34_4:                               ; =>This Inner Loop Header: Depth=1
	s_waitcnt vmcnt(0)
	v_add_co_u32 v11, s2, v0, s14
	s_delay_alu instid0(VALU_DEP_1) | instskip(NEXT) | instid1(VALU_DEP_1)
	v_add_co_ci_u32_e64 v12, null, 0, s15, s2
	v_cmp_gt_u64_e32 vcc_lo, s[12:13], v[11:12]
	v_mov_b32_e32 v11, 0
	s_and_saveexec_b32 s2, vcc_lo
	s_cbranch_execz .LBB34_6
; %bb.5:                                ;   in Loop: Header=BB34_4 Depth=1
	global_load_u16 v11, v[1:2], off
.LBB34_6:                               ;   in Loop: Header=BB34_4 Depth=1
	s_or_b32 exec_lo, exec_lo, s2
	v_add_co_u32 v12, s2, v5, s14
	s_delay_alu instid0(VALU_DEP_1) | instskip(NEXT) | instid1(VALU_DEP_1)
	v_add_co_ci_u32_e64 v13, s2, s15, v6, s2
	v_cmp_gt_u64_e64 s2, s[12:13], v[12:13]
	v_mov_b32_e32 v13, 0
	s_delay_alu instid0(VALU_DEP_2)
	s_and_saveexec_b32 s3, s2
	s_cbranch_execz .LBB34_8
; %bb.7:                                ;   in Loop: Header=BB34_4 Depth=1
	global_load_u16 v13, v[3:4], off
.LBB34_8:                               ;   in Loop: Header=BB34_4 Depth=1
	s_or_b32 exec_lo, exec_lo, s3
	v_add_co_u32 v14, s3, v9, s14
	s_delay_alu instid0(VALU_DEP_1) | instskip(SKIP_1) | instid1(VALU_DEP_2)
	v_add_co_ci_u32_e64 v15, s3, s15, v10, s3
	v_mov_b32_e32 v12, 0
	v_cmp_gt_u64_e64 s3, s[12:13], v[14:15]
	v_mov_b32_e32 v14, 0
	s_delay_alu instid0(VALU_DEP_2)
	s_and_saveexec_b32 s5, s3
	s_cbranch_execz .LBB34_10
; %bb.9:                                ;   in Loop: Header=BB34_4 Depth=1
	v_add_co_u32 v14, s4, v1, s17
	s_delay_alu instid0(VALU_DEP_1)
	v_add_co_ci_u32_e64 v15, s4, 0, v2, s4
	global_load_u16 v14, v[14:15], off
.LBB34_10:                              ;   in Loop: Header=BB34_4 Depth=1
	s_or_b32 exec_lo, exec_lo, s5
	v_add_co_u32 v15, s4, v7, s14
	s_delay_alu instid0(VALU_DEP_1) | instskip(NEXT) | instid1(VALU_DEP_1)
	v_add_co_ci_u32_e64 v16, s4, s15, v8, s4
	v_cmp_gt_u64_e64 s4, s[12:13], v[15:16]
	s_delay_alu instid0(VALU_DEP_1)
	s_and_saveexec_b32 s20, s4
	s_cbranch_execnz .LBB34_15
; %bb.11:                               ;   in Loop: Header=BB34_4 Depth=1
	s_or_b32 exec_lo, exec_lo, s20
	s_and_saveexec_b32 s5, vcc_lo
	s_cbranch_execnz .LBB34_16
.LBB34_12:                              ;   in Loop: Header=BB34_4 Depth=1
	s_or_b32 exec_lo, exec_lo, s5
	s_and_saveexec_b32 s5, s2
	s_cbranch_execnz .LBB34_17
.LBB34_13:                              ;   in Loop: Header=BB34_4 Depth=1
	s_or_b32 exec_lo, exec_lo, s5
	s_and_saveexec_b32 s2, s3
	s_cbranch_execnz .LBB34_18
.LBB34_14:                              ;   in Loop: Header=BB34_4 Depth=1
	s_or_b32 exec_lo, exec_lo, s2
	s_and_saveexec_b32 s2, s4
	s_cbranch_execz .LBB34_3
	s_branch .LBB34_19
.LBB34_15:                              ;   in Loop: Header=BB34_4 Depth=1
	v_add_co_u32 v15, s5, v1, s19
	s_delay_alu instid0(VALU_DEP_1)
	v_add_co_ci_u32_e64 v16, s5, 0, v2, s5
	global_load_u16 v12, v[15:16], off
	s_or_b32 exec_lo, exec_lo, s20
	s_and_saveexec_b32 s5, vcc_lo
	s_cbranch_execz .LBB34_12
.LBB34_16:                              ;   in Loop: Header=BB34_4 Depth=1
	s_waitcnt vmcnt(0)
	v_fma_mixlo_f16 v11, s16, v11, 0 op_sel_hi:[0,1,0]
	global_store_b16 v[1:2], v11, off
	s_or_b32 exec_lo, exec_lo, s5
	s_and_saveexec_b32 s5, s2
	s_cbranch_execz .LBB34_13
.LBB34_17:                              ;   in Loop: Header=BB34_4 Depth=1
	s_waitcnt vmcnt(0)
	v_fma_mixlo_f16 v11, s16, v13, 0 op_sel_hi:[0,1,0]
	global_store_b16 v[3:4], v11, off
	s_or_b32 exec_lo, exec_lo, s5
	s_and_saveexec_b32 s2, s3
	s_cbranch_execz .LBB34_14
.LBB34_18:                              ;   in Loop: Header=BB34_4 Depth=1
	s_waitcnt vmcnt(0)
	v_add_co_u32 v13, vcc_lo, v1, s17
	v_fma_mixlo_f16 v11, s16, v14, 0 op_sel_hi:[0,1,0]
	v_add_co_ci_u32_e32 v14, vcc_lo, 0, v2, vcc_lo
	global_store_b16 v[13:14], v11, off
	s_or_b32 exec_lo, exec_lo, s2
	s_and_saveexec_b32 s2, s4
	s_cbranch_execz .LBB34_3
.LBB34_19:                              ;   in Loop: Header=BB34_4 Depth=1
	s_waitcnt vmcnt(0)
	v_add_co_u32 v11, vcc_lo, v1, s19
	v_fma_mixlo_f16 v13, s16, v12, 0 op_sel_hi:[0,1,0]
	v_add_co_ci_u32_e32 v12, vcc_lo, 0, v2, vcc_lo
	global_store_b16 v[11:12], v13, off
	s_branch .LBB34_3
.LBB34_20:
	s_cbranch_execz .LBB34_22
	s_branch .LBB34_25
.LBB34_21:
.LBB34_22:
	v_dual_mov_b32 v2, 0 :: v_dual_lshlrev_b32 v1, 2, v0
	s_mov_b32 s2, 0
	s_mov_b32 s3, exec_lo
	s_delay_alu instid0(VALU_DEP_1)
	v_cmpx_gt_i64_e64 s[6:7], v[1:2]
	s_cbranch_execz .LBB34_25
; %bb.23:
	s_load_b32 s0, s[0:1], 0xdd4
	v_lshlrev_b32_e32 v1, 3, v0
	s_waitcnt lgkmcnt(0)
	s_and_b32 s0, s0, 0xffff
	s_add_u32 s1, s8, s10
	s_addc_u32 s3, s9, s11
	v_add_co_u32 v1, s1, s1, v1
	s_delay_alu instid0(VALU_DEP_1) | instskip(SKIP_1) | instid1(VALU_DEP_2)
	v_add_co_ci_u32_e64 v4, null, s3, 0, s1
	s_mov_b32 s3, s16
	v_add_co_u32 v3, vcc_lo, v1, 4
	s_delay_alu instid0(VALU_DEP_2)
	v_add_co_ci_u32_e32 v4, vcc_lo, 0, v4, vcc_lo
	v_add_lshl_u32 v1, v0, s0, 2
	s_lshl_b32 s4, s0, 3
	s_lshl_b32 s5, s0, 2
	.p2align	6
.LBB34_24:                              ; =>This Inner Loop Header: Depth=1
	global_load_b64 v[5:6], v[3:4], off offset:-4
	v_cmp_le_i64_e32 vcc_lo, s[6:7], v[1:2]
	v_cmp_lt_u64_e64 s0, 0xffff, v[1:2]
	v_add_co_u32 v1, s1, v1, s5
	s_delay_alu instid0(VALU_DEP_1) | instskip(NEXT) | instid1(VALU_DEP_3)
	v_add_co_ci_u32_e64 v2, s1, 0, v2, s1
	s_or_b32 s0, vcc_lo, s0
	s_delay_alu instid0(SALU_CYCLE_1) | instskip(NEXT) | instid1(SALU_CYCLE_1)
	s_and_b32 s0, exec_lo, s0
	s_or_b32 s2, s0, s2
	s_waitcnt vmcnt(0)
	v_fma_mixlo_f16 v7, s16, v5, 0 op_sel_hi:[0,1,0]
	v_fma_mixlo_f16 v8, s16, v6, 0 op_sel_hi:[0,1,0]
	s_delay_alu instid0(VALU_DEP_2) | instskip(NEXT) | instid1(VALU_DEP_2)
	v_fma_mixhi_f16 v7, s3, v5, 0 op_sel:[0,1,0] op_sel_hi:[0,1,0]
	v_fma_mixhi_f16 v8, s3, v6, 0 op_sel:[0,1,0] op_sel_hi:[0,1,0]
	global_store_b64 v[3:4], v[7:8], off offset:-4
	v_add_co_u32 v3, vcc_lo, v3, s4
	v_add_co_ci_u32_e32 v4, vcc_lo, 0, v4, vcc_lo
	s_and_not1_b32 exec_lo, exec_lo, s2
	s_cbranch_execnz .LBB34_24
.LBB34_25:
	s_nop 0
	s_sendmsg sendmsg(MSG_DEALLOC_VGPRS)
	s_endpgm
	.section	.rodata,"a",@progbits
	.p2align	6, 0x0
	.amdhsa_kernel _ZN2at6native12_GLOBAL__N_125multi_tensor_apply_kernelINS1_28TensorListScalarListMetadataIfLi1EEENS1_25BinaryOpScalarListFunctorIN3c104HalfELi1ELi1ELi0EEEJSt10multipliesIfEEEEvT_T0_DpT1_
		.amdhsa_group_segment_fixed_size 0
		.amdhsa_private_segment_fixed_size 0
		.amdhsa_kernarg_size 3784
		.amdhsa_user_sgpr_count 15
		.amdhsa_user_sgpr_dispatch_ptr 0
		.amdhsa_user_sgpr_queue_ptr 0
		.amdhsa_user_sgpr_kernarg_segment_ptr 1
		.amdhsa_user_sgpr_dispatch_id 0
		.amdhsa_user_sgpr_private_segment_size 0
		.amdhsa_wavefront_size32 1
		.amdhsa_uses_dynamic_stack 0
		.amdhsa_enable_private_segment 0
		.amdhsa_system_sgpr_workgroup_id_x 1
		.amdhsa_system_sgpr_workgroup_id_y 0
		.amdhsa_system_sgpr_workgroup_id_z 0
		.amdhsa_system_sgpr_workgroup_info 0
		.amdhsa_system_vgpr_workitem_id 0
		.amdhsa_next_free_vgpr 17
		.amdhsa_next_free_sgpr 21
		.amdhsa_reserve_vcc 1
		.amdhsa_float_round_mode_32 0
		.amdhsa_float_round_mode_16_64 0
		.amdhsa_float_denorm_mode_32 3
		.amdhsa_float_denorm_mode_16_64 3
		.amdhsa_dx10_clamp 1
		.amdhsa_ieee_mode 1
		.amdhsa_fp16_overflow 0
		.amdhsa_workgroup_processor_mode 1
		.amdhsa_memory_ordered 1
		.amdhsa_forward_progress 0
		.amdhsa_shared_vgpr_count 0
		.amdhsa_exception_fp_ieee_invalid_op 0
		.amdhsa_exception_fp_denorm_src 0
		.amdhsa_exception_fp_ieee_div_zero 0
		.amdhsa_exception_fp_ieee_overflow 0
		.amdhsa_exception_fp_ieee_underflow 0
		.amdhsa_exception_fp_ieee_inexact 0
		.amdhsa_exception_int_div_zero 0
	.end_amdhsa_kernel
	.section	.text._ZN2at6native12_GLOBAL__N_125multi_tensor_apply_kernelINS1_28TensorListScalarListMetadataIfLi1EEENS1_25BinaryOpScalarListFunctorIN3c104HalfELi1ELi1ELi0EEEJSt10multipliesIfEEEEvT_T0_DpT1_,"axG",@progbits,_ZN2at6native12_GLOBAL__N_125multi_tensor_apply_kernelINS1_28TensorListScalarListMetadataIfLi1EEENS1_25BinaryOpScalarListFunctorIN3c104HalfELi1ELi1ELi0EEEJSt10multipliesIfEEEEvT_T0_DpT1_,comdat
.Lfunc_end34:
	.size	_ZN2at6native12_GLOBAL__N_125multi_tensor_apply_kernelINS1_28TensorListScalarListMetadataIfLi1EEENS1_25BinaryOpScalarListFunctorIN3c104HalfELi1ELi1ELi0EEEJSt10multipliesIfEEEEvT_T0_DpT1_, .Lfunc_end34-_ZN2at6native12_GLOBAL__N_125multi_tensor_apply_kernelINS1_28TensorListScalarListMetadataIfLi1EEENS1_25BinaryOpScalarListFunctorIN3c104HalfELi1ELi1ELi0EEEJSt10multipliesIfEEEEvT_T0_DpT1_
                                        ; -- End function
	.section	.AMDGPU.csdata,"",@progbits
; Kernel info:
; codeLenInByte = 1188
; NumSgprs: 23
; NumVgprs: 17
; ScratchSize: 0
; MemoryBound: 0
; FloatMode: 240
; IeeeMode: 1
; LDSByteSize: 0 bytes/workgroup (compile time only)
; SGPRBlocks: 2
; VGPRBlocks: 2
; NumSGPRsForWavesPerEU: 23
; NumVGPRsForWavesPerEU: 17
; Occupancy: 16
; WaveLimiterHint : 0
; COMPUTE_PGM_RSRC2:SCRATCH_EN: 0
; COMPUTE_PGM_RSRC2:USER_SGPR: 15
; COMPUTE_PGM_RSRC2:TRAP_HANDLER: 0
; COMPUTE_PGM_RSRC2:TGID_X_EN: 1
; COMPUTE_PGM_RSRC2:TGID_Y_EN: 0
; COMPUTE_PGM_RSRC2:TGID_Z_EN: 0
; COMPUTE_PGM_RSRC2:TIDIG_COMP_CNT: 0
	.section	.text._ZN2at6native12_GLOBAL__N_125multi_tensor_apply_kernelINS1_28TensorListScalarListMetadataIfLi1EEENS1_25BinaryOpScalarListFunctorIN3c108BFloat16ELi1ELi1ELi0EEEJSt10multipliesIfEEEEvT_T0_DpT1_,"axG",@progbits,_ZN2at6native12_GLOBAL__N_125multi_tensor_apply_kernelINS1_28TensorListScalarListMetadataIfLi1EEENS1_25BinaryOpScalarListFunctorIN3c108BFloat16ELi1ELi1ELi0EEEJSt10multipliesIfEEEEvT_T0_DpT1_,comdat
	.globl	_ZN2at6native12_GLOBAL__N_125multi_tensor_apply_kernelINS1_28TensorListScalarListMetadataIfLi1EEENS1_25BinaryOpScalarListFunctorIN3c108BFloat16ELi1ELi1ELi0EEEJSt10multipliesIfEEEEvT_T0_DpT1_ ; -- Begin function _ZN2at6native12_GLOBAL__N_125multi_tensor_apply_kernelINS1_28TensorListScalarListMetadataIfLi1EEENS1_25BinaryOpScalarListFunctorIN3c108BFloat16ELi1ELi1ELi0EEEJSt10multipliesIfEEEEvT_T0_DpT1_
	.p2align	8
	.type	_ZN2at6native12_GLOBAL__N_125multi_tensor_apply_kernelINS1_28TensorListScalarListMetadataIfLi1EEENS1_25BinaryOpScalarListFunctorIN3c108BFloat16ELi1ELi1ELi0EEEJSt10multipliesIfEEEEvT_T0_DpT1_,@function
_ZN2at6native12_GLOBAL__N_125multi_tensor_apply_kernelINS1_28TensorListScalarListMetadataIfLi1EEENS1_25BinaryOpScalarListFunctorIN3c108BFloat16ELi1ELi1ELi0EEEJSt10multipliesIfEEEEvT_T0_DpT1_: ; @_ZN2at6native12_GLOBAL__N_125multi_tensor_apply_kernelINS1_28TensorListScalarListMetadataIfLi1EEENS1_25BinaryOpScalarListFunctorIN3c108BFloat16ELi1ELi1ELi0EEEJSt10multipliesIfEEEEvT_T0_DpT1_
; %bb.0:
	v_mov_b32_e32 v1, s15
	s_add_u32 s2, s0, s15
	s_mul_i32 s3, s15, 3
	s_mul_hi_u32 s4, s15, 3
	s_addc_u32 s5, s1, 0
	global_load_u8 v1, v1, s[0:1] offset:1920
	s_add_u32 s2, s2, s3
	s_addc_u32 s3, s5, s4
	s_load_b32 s2, s[2:3], 0x8c0
	s_waitcnt vmcnt(0)
	v_readfirstlane_b32 s3, v1
	v_lshlrev_b32_e32 v1, 2, v1
	s_delay_alu instid0(VALU_DEP_2)
	s_lshl_b32 s6, s3, 3
	s_waitcnt lgkmcnt(0)
	s_ashr_i32 s3, s2, 31
	s_clause 0x1
	s_load_b64 s[4:5], s[0:1], s6 offset:0x300
	s_load_b64 s[8:9], s[0:1], s6 offset:0x0
	s_add_u32 s6, s0, s6
	s_addc_u32 s7, s1, 0
	v_sub_co_u32 v1, s6, s6, v1
	s_delay_alu instid0(VALU_DEP_1) | instskip(SKIP_1) | instid1(VALU_DEP_2)
	v_sub_co_ci_u32_e64 v2, null, s7, 0, s6
	s_lshl_b64 s[10:11], s[2:3], 17
	v_readfirstlane_b32 s6, v1
	s_lshl_b64 s[2:3], s[2:3], 16
	s_delay_alu instid0(VALU_DEP_2)
	v_readfirstlane_b32 s7, v2
	s_load_b32 s16, s[6:7], 0x600
	s_waitcnt lgkmcnt(0)
	s_and_b32 s12, s8, 7
	s_sub_u32 s6, s4, s2
	s_subb_u32 s7, s5, s3
	s_and_b32 s2, s4, 3
	s_mov_b32 s3, 0
	s_or_b32 s2, s12, s2
	s_delay_alu instid0(SALU_CYCLE_1)
	s_cmp_eq_u64 s[2:3], 0
	s_cbranch_scc1 .LBB35_21
; %bb.1:
	v_cmp_lt_i64_e64 s2, s[6:7], 1
	s_delay_alu instid0(VALU_DEP_1)
	s_and_b32 vcc_lo, exec_lo, s2
	s_cbranch_vccnz .LBB35_20
; %bb.2:
	s_load_b32 s2, s[0:1], 0xdd4
	v_cmp_gt_u64_e64 s3, 0x10000, s[6:7]
	v_lshlrev_b32_e32 v1, 1, v0
	s_waitcnt lgkmcnt(0)
	s_and_b32 s2, s2, 0xffff
	s_delay_alu instid0(VALU_DEP_2)
	s_and_b32 s3, s3, exec_lo
	v_add_co_u32 v5, s5, v0, s2
	s_cselect_b32 s13, s7, 0
	s_cselect_b32 s12, s6, 0x10000
	s_lshl_b32 s3, s2, 1
	s_lshl_b32 s17, s2, 2
	v_lshlrev_b32_e32 v3, 1, v5
	v_add_co_ci_u32_e64 v6, null, 0, 0, s5
	s_add_u32 s5, s8, s10
	v_add_co_u32 v9, s3, s3, v0
	s_mul_i32 s4, s2, 3
	s_addc_u32 s14, s9, s11
	v_add_co_ci_u32_e64 v10, null, 0, 0, s3
	v_add_co_u32 v1, s3, s5, v1
	v_add_co_u32 v7, s4, s4, v0
	v_add_co_ci_u32_e64 v2, null, s14, 0, s3
	v_add_co_u32 v3, s3, s5, v3
	v_add_co_ci_u32_e64 v8, null, 0, 0, s4
	v_add_co_ci_u32_e64 v4, null, s14, 0, s3
	s_lshl_b32 s18, s2, 3
	s_mul_i32 s19, s2, 6
	s_mov_b64 s[14:15], 0
	s_branch .LBB35_4
.LBB35_3:                               ;   in Loop: Header=BB35_4 Depth=1
	s_or_b32 exec_lo, exec_lo, s2
	s_add_u32 s14, s14, s17
	s_addc_u32 s15, s15, 0
	v_add_co_u32 v1, vcc_lo, v1, s18
	v_cmp_lt_i64_e64 s2, s[14:15], s[6:7]
	v_cmp_gt_u64_e64 s3, 0x10000, s[14:15]
	v_add_co_ci_u32_e32 v2, vcc_lo, 0, v2, vcc_lo
	v_add_co_u32 v3, vcc_lo, v3, s18
	v_add_co_ci_u32_e32 v4, vcc_lo, 0, v4, vcc_lo
	s_delay_alu instid0(VALU_DEP_4) | instskip(NEXT) | instid1(SALU_CYCLE_1)
	s_and_b32 s2, s2, s3
	s_and_b32 vcc_lo, exec_lo, s2
	s_cbranch_vccz .LBB35_20
.LBB35_4:                               ; =>This Inner Loop Header: Depth=1
	s_waitcnt vmcnt(0)
	v_add_co_u32 v11, s2, v0, s14
	s_delay_alu instid0(VALU_DEP_1) | instskip(NEXT) | instid1(VALU_DEP_1)
	v_add_co_ci_u32_e64 v12, null, 0, s15, s2
	v_cmp_gt_u64_e32 vcc_lo, s[12:13], v[11:12]
	v_mov_b32_e32 v12, 0
	s_and_saveexec_b32 s2, vcc_lo
	s_cbranch_execz .LBB35_6
; %bb.5:                                ;   in Loop: Header=BB35_4 Depth=1
	global_load_u16 v12, v[1:2], off
.LBB35_6:                               ;   in Loop: Header=BB35_4 Depth=1
	s_or_b32 exec_lo, exec_lo, s2
	v_add_co_u32 v13, s2, v5, s14
	s_delay_alu instid0(VALU_DEP_1) | instskip(NEXT) | instid1(VALU_DEP_1)
	v_add_co_ci_u32_e64 v14, s2, s15, v6, s2
	v_cmp_gt_u64_e64 s2, s[12:13], v[13:14]
	v_mov_b32_e32 v13, 0
	s_delay_alu instid0(VALU_DEP_2)
	s_and_saveexec_b32 s3, s2
	s_cbranch_execz .LBB35_8
; %bb.7:                                ;   in Loop: Header=BB35_4 Depth=1
	global_load_u16 v13, v[3:4], off
.LBB35_8:                               ;   in Loop: Header=BB35_4 Depth=1
	s_or_b32 exec_lo, exec_lo, s3
	v_add_co_u32 v14, s3, v9, s14
	s_delay_alu instid0(VALU_DEP_1) | instskip(SKIP_1) | instid1(VALU_DEP_2)
	v_add_co_ci_u32_e64 v15, s3, s15, v10, s3
	v_mov_b32_e32 v11, 0
	v_cmp_gt_u64_e64 s3, s[12:13], v[14:15]
	v_mov_b32_e32 v14, 0
	s_delay_alu instid0(VALU_DEP_2)
	s_and_saveexec_b32 s5, s3
	s_cbranch_execz .LBB35_10
; %bb.9:                                ;   in Loop: Header=BB35_4 Depth=1
	v_add_co_u32 v14, s4, v1, s17
	s_delay_alu instid0(VALU_DEP_1)
	v_add_co_ci_u32_e64 v15, s4, 0, v2, s4
	global_load_u16 v14, v[14:15], off
.LBB35_10:                              ;   in Loop: Header=BB35_4 Depth=1
	s_or_b32 exec_lo, exec_lo, s5
	v_add_co_u32 v15, s4, v7, s14
	s_delay_alu instid0(VALU_DEP_1) | instskip(NEXT) | instid1(VALU_DEP_1)
	v_add_co_ci_u32_e64 v16, s4, s15, v8, s4
	v_cmp_gt_u64_e64 s4, s[12:13], v[15:16]
	s_delay_alu instid0(VALU_DEP_1)
	s_and_saveexec_b32 s20, s4
	s_cbranch_execnz .LBB35_15
; %bb.11:                               ;   in Loop: Header=BB35_4 Depth=1
	s_or_b32 exec_lo, exec_lo, s20
	s_and_saveexec_b32 s5, vcc_lo
	s_cbranch_execnz .LBB35_16
.LBB35_12:                              ;   in Loop: Header=BB35_4 Depth=1
	s_or_b32 exec_lo, exec_lo, s5
	s_and_saveexec_b32 s5, s2
	s_cbranch_execnz .LBB35_17
.LBB35_13:                              ;   in Loop: Header=BB35_4 Depth=1
	s_or_b32 exec_lo, exec_lo, s5
	s_and_saveexec_b32 s2, s3
	s_cbranch_execnz .LBB35_18
.LBB35_14:                              ;   in Loop: Header=BB35_4 Depth=1
	s_or_b32 exec_lo, exec_lo, s2
	s_and_saveexec_b32 s2, s4
	s_cbranch_execz .LBB35_3
	s_branch .LBB35_19
.LBB35_15:                              ;   in Loop: Header=BB35_4 Depth=1
	v_add_co_u32 v15, s5, v1, s19
	s_delay_alu instid0(VALU_DEP_1)
	v_add_co_ci_u32_e64 v16, s5, 0, v2, s5
	global_load_u16 v11, v[15:16], off
	s_or_b32 exec_lo, exec_lo, s20
	s_and_saveexec_b32 s5, vcc_lo
	s_cbranch_execz .LBB35_12
.LBB35_16:                              ;   in Loop: Header=BB35_4 Depth=1
	s_waitcnt vmcnt(0)
	v_lshlrev_b32_e32 v12, 16, v12
	s_delay_alu instid0(VALU_DEP_1) | instskip(NEXT) | instid1(VALU_DEP_1)
	v_mul_f32_e32 v12, s16, v12
	v_bfe_u32 v15, v12, 16, 1
	v_cmp_o_f32_e32 vcc_lo, v12, v12
	s_delay_alu instid0(VALU_DEP_2) | instskip(NEXT) | instid1(VALU_DEP_1)
	v_add3_u32 v15, v12, v15, 0x7fff
	v_lshrrev_b32_e32 v15, 16, v15
	s_delay_alu instid0(VALU_DEP_1)
	v_cndmask_b32_e32 v12, 0x7fc0, v15, vcc_lo
	global_store_b16 v[1:2], v12, off
	s_or_b32 exec_lo, exec_lo, s5
	s_and_saveexec_b32 s5, s2
	s_cbranch_execz .LBB35_13
.LBB35_17:                              ;   in Loop: Header=BB35_4 Depth=1
	s_waitcnt vmcnt(0)
	v_lshlrev_b32_e32 v12, 16, v13
	s_delay_alu instid0(VALU_DEP_1) | instskip(NEXT) | instid1(VALU_DEP_1)
	v_mul_f32_e32 v12, s16, v12
	v_bfe_u32 v13, v12, 16, 1
	v_cmp_o_f32_e32 vcc_lo, v12, v12
	s_delay_alu instid0(VALU_DEP_2) | instskip(NEXT) | instid1(VALU_DEP_1)
	v_add3_u32 v13, v12, v13, 0x7fff
	v_lshrrev_b32_e32 v13, 16, v13
	s_delay_alu instid0(VALU_DEP_1)
	v_cndmask_b32_e32 v12, 0x7fc0, v13, vcc_lo
	global_store_b16 v[3:4], v12, off
	s_or_b32 exec_lo, exec_lo, s5
	s_and_saveexec_b32 s2, s3
	s_cbranch_execz .LBB35_14
.LBB35_18:                              ;   in Loop: Header=BB35_4 Depth=1
	s_waitcnt vmcnt(0)
	v_lshlrev_b32_e32 v12, 16, v14
	s_delay_alu instid0(VALU_DEP_1) | instskip(NEXT) | instid1(VALU_DEP_1)
	v_mul_f32_e32 v12, s16, v12
	v_bfe_u32 v13, v12, 16, 1
	v_cmp_o_f32_e32 vcc_lo, v12, v12
	s_delay_alu instid0(VALU_DEP_2) | instskip(NEXT) | instid1(VALU_DEP_1)
	v_add3_u32 v13, v12, v13, 0x7fff
	v_lshrrev_b32_e32 v13, 16, v13
	s_delay_alu instid0(VALU_DEP_1)
	v_cndmask_b32_e32 v14, 0x7fc0, v13, vcc_lo
	v_add_co_u32 v12, vcc_lo, v1, s17
	v_add_co_ci_u32_e32 v13, vcc_lo, 0, v2, vcc_lo
	global_store_b16 v[12:13], v14, off
	s_or_b32 exec_lo, exec_lo, s2
	s_and_saveexec_b32 s2, s4
	s_cbranch_execz .LBB35_3
.LBB35_19:                              ;   in Loop: Header=BB35_4 Depth=1
	s_waitcnt vmcnt(0)
	v_lshlrev_b32_e32 v11, 16, v11
	s_delay_alu instid0(VALU_DEP_1) | instskip(NEXT) | instid1(VALU_DEP_1)
	v_mul_f32_e32 v11, s16, v11
	v_bfe_u32 v12, v11, 16, 1
	v_cmp_o_f32_e32 vcc_lo, v11, v11
	s_delay_alu instid0(VALU_DEP_2) | instskip(NEXT) | instid1(VALU_DEP_1)
	v_add3_u32 v12, v11, v12, 0x7fff
	v_lshrrev_b32_e32 v12, 16, v12
	s_delay_alu instid0(VALU_DEP_1)
	v_cndmask_b32_e32 v13, 0x7fc0, v12, vcc_lo
	v_add_co_u32 v11, vcc_lo, v1, s19
	v_add_co_ci_u32_e32 v12, vcc_lo, 0, v2, vcc_lo
	global_store_b16 v[11:12], v13, off
	s_branch .LBB35_3
.LBB35_20:
	s_cbranch_execz .LBB35_22
	s_branch .LBB35_25
.LBB35_21:
.LBB35_22:
	v_dual_mov_b32 v2, 0 :: v_dual_lshlrev_b32 v1, 2, v0
	s_mov_b32 s2, 0
	s_mov_b32 s3, exec_lo
	s_delay_alu instid0(VALU_DEP_1)
	v_cmpx_gt_i64_e64 s[6:7], v[1:2]
	s_cbranch_execz .LBB35_25
; %bb.23:
	s_load_b32 s0, s[0:1], 0xdd4
	v_lshlrev_b32_e32 v1, 3, v0
	s_waitcnt lgkmcnt(0)
	s_and_b32 s0, s0, 0xffff
	s_add_u32 s1, s8, s10
	s_addc_u32 s3, s9, s11
	v_add_co_u32 v3, s1, s1, v1
	s_delay_alu instid0(VALU_DEP_1)
	v_add_co_ci_u32_e64 v4, null, s3, 0, s1
	v_add_lshl_u32 v1, v0, s0, 2
	s_lshl_b32 s3, s0, 3
	s_lshl_b32 s4, s0, 2
.LBB35_24:                              ; =>This Inner Loop Header: Depth=1
	global_load_b64 v[5:6], v[3:4], off
	v_cmp_lt_u64_e64 s0, 0xffff, v[1:2]
	s_waitcnt vmcnt(0)
	v_alignbit_b32 v0, v6, v5, 16
	v_and_b32_e32 v6, 0xffff0000, v6
	v_and_b32_e32 v7, 0xffff0000, v5
	s_delay_alu instid0(VALU_DEP_3) | instskip(NEXT) | instid1(VALU_DEP_3)
	v_and_b32_e32 v0, 0xffff0000, v0
	v_dual_mul_f32 v6, s16, v6 :: v_dual_lshlrev_b32 v5, 16, v5
	s_delay_alu instid0(VALU_DEP_2) | instskip(NEXT) | instid1(VALU_DEP_2)
	v_dual_mul_f32 v7, s16, v7 :: v_dual_mul_f32 v0, s16, v0
	v_mul_f32_e32 v5, s16, v5
	s_delay_alu instid0(VALU_DEP_3) | instskip(NEXT) | instid1(VALU_DEP_3)
	v_bfe_u32 v10, v6, 16, 1
	v_bfe_u32 v8, v7, 16, 1
	v_cmp_o_f32_e32 vcc_lo, v7, v7
	v_bfe_u32 v11, v0, 16, 1
	v_bfe_u32 v9, v5, 16, 1
	v_add3_u32 v10, v6, v10, 0x7fff
	v_add3_u32 v8, v7, v8, 0x7fff
	s_delay_alu instid0(VALU_DEP_4) | instskip(NEXT) | instid1(VALU_DEP_4)
	v_add3_u32 v11, v0, v11, 0x7fff
	v_add3_u32 v9, v5, v9, 0x7fff
	s_delay_alu instid0(VALU_DEP_4) | instskip(NEXT) | instid1(VALU_DEP_4)
	v_and_b32_e32 v10, 0xffff0000, v10
	v_and_b32_e32 v8, 0xffff0000, v8
	s_delay_alu instid0(VALU_DEP_4) | instskip(NEXT) | instid1(VALU_DEP_4)
	v_lshrrev_b32_e32 v11, 16, v11
	v_lshrrev_b32_e32 v9, 16, v9
	s_delay_alu instid0(VALU_DEP_3) | instskip(SKIP_1) | instid1(VALU_DEP_3)
	v_cndmask_b32_e32 v7, 0x7fc00000, v8, vcc_lo
	v_cmp_o_f32_e32 vcc_lo, v5, v5
	v_cndmask_b32_e32 v5, 0x7fc0, v9, vcc_lo
	v_cmp_o_f32_e32 vcc_lo, v6, v6
	s_delay_alu instid0(VALU_DEP_2) | instskip(SKIP_2) | instid1(VALU_DEP_3)
	v_or_b32_e32 v5, v5, v7
	v_cndmask_b32_e32 v6, 0x7fc00000, v10, vcc_lo
	v_cmp_o_f32_e32 vcc_lo, v0, v0
	v_or3_b32 v5, v5, 0, 0
	v_cndmask_b32_e32 v0, 0x7fc0, v11, vcc_lo
	v_cmp_le_i64_e32 vcc_lo, s[6:7], v[1:2]
	v_add_co_u32 v1, s1, v1, s4
	s_delay_alu instid0(VALU_DEP_1) | instskip(NEXT) | instid1(VALU_DEP_4)
	v_add_co_ci_u32_e64 v2, s1, 0, v2, s1
	v_or3_b32 v6, 0, v0, v6
	s_or_b32 s0, vcc_lo, s0
	s_delay_alu instid0(SALU_CYCLE_1) | instskip(SKIP_4) | instid1(SALU_CYCLE_1)
	s_and_b32 s0, exec_lo, s0
	global_store_b64 v[3:4], v[5:6], off
	v_add_co_u32 v3, vcc_lo, v3, s3
	v_add_co_ci_u32_e32 v4, vcc_lo, 0, v4, vcc_lo
	s_or_b32 s2, s0, s2
	s_and_not1_b32 exec_lo, exec_lo, s2
	s_cbranch_execnz .LBB35_24
.LBB35_25:
	s_nop 0
	s_sendmsg sendmsg(MSG_DEALLOC_VGPRS)
	s_endpgm
	.section	.rodata,"a",@progbits
	.p2align	6, 0x0
	.amdhsa_kernel _ZN2at6native12_GLOBAL__N_125multi_tensor_apply_kernelINS1_28TensorListScalarListMetadataIfLi1EEENS1_25BinaryOpScalarListFunctorIN3c108BFloat16ELi1ELi1ELi0EEEJSt10multipliesIfEEEEvT_T0_DpT1_
		.amdhsa_group_segment_fixed_size 0
		.amdhsa_private_segment_fixed_size 0
		.amdhsa_kernarg_size 3784
		.amdhsa_user_sgpr_count 15
		.amdhsa_user_sgpr_dispatch_ptr 0
		.amdhsa_user_sgpr_queue_ptr 0
		.amdhsa_user_sgpr_kernarg_segment_ptr 1
		.amdhsa_user_sgpr_dispatch_id 0
		.amdhsa_user_sgpr_private_segment_size 0
		.amdhsa_wavefront_size32 1
		.amdhsa_uses_dynamic_stack 0
		.amdhsa_enable_private_segment 0
		.amdhsa_system_sgpr_workgroup_id_x 1
		.amdhsa_system_sgpr_workgroup_id_y 0
		.amdhsa_system_sgpr_workgroup_id_z 0
		.amdhsa_system_sgpr_workgroup_info 0
		.amdhsa_system_vgpr_workitem_id 0
		.amdhsa_next_free_vgpr 17
		.amdhsa_next_free_sgpr 21
		.amdhsa_reserve_vcc 1
		.amdhsa_float_round_mode_32 0
		.amdhsa_float_round_mode_16_64 0
		.amdhsa_float_denorm_mode_32 3
		.amdhsa_float_denorm_mode_16_64 3
		.amdhsa_dx10_clamp 1
		.amdhsa_ieee_mode 1
		.amdhsa_fp16_overflow 0
		.amdhsa_workgroup_processor_mode 1
		.amdhsa_memory_ordered 1
		.amdhsa_forward_progress 0
		.amdhsa_shared_vgpr_count 0
		.amdhsa_exception_fp_ieee_invalid_op 0
		.amdhsa_exception_fp_denorm_src 0
		.amdhsa_exception_fp_ieee_div_zero 0
		.amdhsa_exception_fp_ieee_overflow 0
		.amdhsa_exception_fp_ieee_underflow 0
		.amdhsa_exception_fp_ieee_inexact 0
		.amdhsa_exception_int_div_zero 0
	.end_amdhsa_kernel
	.section	.text._ZN2at6native12_GLOBAL__N_125multi_tensor_apply_kernelINS1_28TensorListScalarListMetadataIfLi1EEENS1_25BinaryOpScalarListFunctorIN3c108BFloat16ELi1ELi1ELi0EEEJSt10multipliesIfEEEEvT_T0_DpT1_,"axG",@progbits,_ZN2at6native12_GLOBAL__N_125multi_tensor_apply_kernelINS1_28TensorListScalarListMetadataIfLi1EEENS1_25BinaryOpScalarListFunctorIN3c108BFloat16ELi1ELi1ELi0EEEJSt10multipliesIfEEEEvT_T0_DpT1_,comdat
.Lfunc_end35:
	.size	_ZN2at6native12_GLOBAL__N_125multi_tensor_apply_kernelINS1_28TensorListScalarListMetadataIfLi1EEENS1_25BinaryOpScalarListFunctorIN3c108BFloat16ELi1ELi1ELi0EEEJSt10multipliesIfEEEEvT_T0_DpT1_, .Lfunc_end35-_ZN2at6native12_GLOBAL__N_125multi_tensor_apply_kernelINS1_28TensorListScalarListMetadataIfLi1EEENS1_25BinaryOpScalarListFunctorIN3c108BFloat16ELi1ELi1ELi0EEEJSt10multipliesIfEEEEvT_T0_DpT1_
                                        ; -- End function
	.section	.AMDGPU.csdata,"",@progbits
; Kernel info:
; codeLenInByte = 1580
; NumSgprs: 23
; NumVgprs: 17
; ScratchSize: 0
; MemoryBound: 0
; FloatMode: 240
; IeeeMode: 1
; LDSByteSize: 0 bytes/workgroup (compile time only)
; SGPRBlocks: 2
; VGPRBlocks: 2
; NumSGPRsForWavesPerEU: 23
; NumVGPRsForWavesPerEU: 17
; Occupancy: 16
; WaveLimiterHint : 0
; COMPUTE_PGM_RSRC2:SCRATCH_EN: 0
; COMPUTE_PGM_RSRC2:USER_SGPR: 15
; COMPUTE_PGM_RSRC2:TRAP_HANDLER: 0
; COMPUTE_PGM_RSRC2:TGID_X_EN: 1
; COMPUTE_PGM_RSRC2:TGID_Y_EN: 0
; COMPUTE_PGM_RSRC2:TGID_Z_EN: 0
; COMPUTE_PGM_RSRC2:TIDIG_COMP_CNT: 0
	.section	.text._ZN2at6native12_GLOBAL__N_125multi_tensor_apply_kernelINS1_28TensorListScalarListMetadataIhLi2EEENS1_25BinaryOpScalarListFunctorIhLi2ELi1ELi1EEEJSt10multipliesIhEEEEvT_T0_DpT1_,"axG",@progbits,_ZN2at6native12_GLOBAL__N_125multi_tensor_apply_kernelINS1_28TensorListScalarListMetadataIhLi2EEENS1_25BinaryOpScalarListFunctorIhLi2ELi1ELi1EEEJSt10multipliesIhEEEEvT_T0_DpT1_,comdat
	.globl	_ZN2at6native12_GLOBAL__N_125multi_tensor_apply_kernelINS1_28TensorListScalarListMetadataIhLi2EEENS1_25BinaryOpScalarListFunctorIhLi2ELi1ELi1EEEJSt10multipliesIhEEEEvT_T0_DpT1_ ; -- Begin function _ZN2at6native12_GLOBAL__N_125multi_tensor_apply_kernelINS1_28TensorListScalarListMetadataIhLi2EEENS1_25BinaryOpScalarListFunctorIhLi2ELi1ELi1EEEJSt10multipliesIhEEEEvT_T0_DpT1_
	.p2align	8
	.type	_ZN2at6native12_GLOBAL__N_125multi_tensor_apply_kernelINS1_28TensorListScalarListMetadataIhLi2EEENS1_25BinaryOpScalarListFunctorIhLi2ELi1ELi1EEEJSt10multipliesIhEEEEvT_T0_DpT1_,@function
_ZN2at6native12_GLOBAL__N_125multi_tensor_apply_kernelINS1_28TensorListScalarListMetadataIhLi2EEENS1_25BinaryOpScalarListFunctorIhLi2ELi1ELi1EEEJSt10multipliesIhEEEEvT_T0_DpT1_: ; @_ZN2at6native12_GLOBAL__N_125multi_tensor_apply_kernelINS1_28TensorListScalarListMetadataIhLi2EEENS1_25BinaryOpScalarListFunctorIhLi2ELi1ELi1EEEJSt10multipliesIhEEEEvT_T0_DpT1_
; %bb.0:
	v_mov_b32_e32 v1, s15
	s_mul_i32 s4, s15, 3
	s_mul_hi_u32 s5, s15, 3
	global_load_u8 v3, v1, s[0:1] offset:1600
	s_waitcnt vmcnt(0)
	v_add_co_u32 v1, s2, s0, v3
	s_delay_alu instid0(VALU_DEP_1)
	v_add_co_ci_u32_e64 v2, null, s1, 0, s2
	s_add_u32 s2, s0, s15
	s_addc_u32 s3, s1, 0
	s_add_u32 s2, s2, s4
	global_load_u8 v2, v[1:2], off offset:1536
	s_addc_u32 s3, s3, s5
	v_readfirstlane_b32 s4, v3
	s_load_b32 s6, s[2:3], 0x780
	s_delay_alu instid0(VALU_DEP_1)
	s_lshl_b32 s7, s4, 3
	s_clause 0x2
	s_load_b64 s[4:5], s[0:1], s7 offset:0x0
	s_load_b64 s[2:3], s[0:1], s7 offset:0x200
	;; [unrolled: 1-line block ×3, first 2 shown]
	s_waitcnt lgkmcnt(0)
	s_ashr_i32 s7, s6, 31
	s_delay_alu instid0(SALU_CYCLE_1) | instskip(NEXT) | instid1(SALU_CYCLE_1)
	s_lshl_b64 s[12:13], s[6:7], 16
	s_add_u32 s6, s4, s12
	s_addc_u32 s7, s5, s13
	s_add_u32 s14, s2, s12
	s_addc_u32 s15, s3, s13
	s_or_b64 s[10:11], s[8:9], s[6:7]
	s_delay_alu instid0(SALU_CYCLE_1) | instskip(NEXT) | instid1(SALU_CYCLE_1)
	s_or_b32 s10, s14, s10
	s_and_b32 s10, s10, 3
	s_sub_u32 s8, s8, s12
	s_subb_u32 s9, s9, s13
	s_cmp_eq_u32 s10, 0
	s_mov_b32 s10, -1
	s_cbranch_scc1 .LBB36_21
; %bb.1:
	v_cmp_lt_i64_e64 s10, s[8:9], 1
	s_delay_alu instid0(VALU_DEP_1)
	s_and_b32 vcc_lo, exec_lo, s10
	s_cbranch_vccnz .LBB36_20
; %bb.2:
	s_load_b32 s10, s[0:1], 0xc94
	v_add_co_u32 v16, s11, s12, v0
	s_delay_alu instid0(VALU_DEP_1) | instskip(SKIP_1) | instid1(VALU_DEP_3)
	v_add_co_ci_u32_e64 v17, null, s13, 0, s11
	v_cmp_gt_u64_e64 s11, 0x10000, s[8:9]
	v_add_co_u32 v1, vcc_lo, s4, v16
	s_delay_alu instid0(VALU_DEP_3)
	v_add_co_ci_u32_e32 v3, vcc_lo, s5, v17, vcc_lo
	v_add_co_u32 v4, vcc_lo, s2, v16
	v_add_co_ci_u32_e32 v5, vcc_lo, s3, v17, vcc_lo
	s_waitcnt lgkmcnt(0)
	s_and_b32 s17, s10, 0xffff
	s_and_b32 s10, s11, exec_lo
	s_mul_i32 s19, s17, 3
	s_cselect_b32 s11, s9, 0
	s_cselect_b32 s10, s8, 0x10000
	s_lshl_b32 s18, s17, 1
	s_lshl_b32 s16, s17, 2
	s_add_u32 s20, s12, s19
	s_addc_u32 s21, s13, 0
	v_add_co_u32 v8, s20, s20, v0
	s_delay_alu instid0(VALU_DEP_1) | instskip(SKIP_1) | instid1(VALU_DEP_2)
	v_add_co_ci_u32_e64 v9, null, s21, 0, s20
	s_add_u32 s12, s12, s18
	v_add_co_u32 v6, vcc_lo, s4, v8
	s_addc_u32 s13, s13, 0
	v_add_co_u32 v14, s12, s12, v0
	v_add_co_ci_u32_e32 v7, vcc_lo, s5, v9, vcc_lo
	v_add_co_u32 v8, vcc_lo, s2, v8
	v_add_co_ci_u32_e64 v15, null, s13, 0, s12
	v_add_co_ci_u32_e32 v9, vcc_lo, s3, v9, vcc_lo
	v_add_co_u32 v12, vcc_lo, s4, v14
	s_delay_alu instid0(VALU_DEP_3)
	v_add_co_ci_u32_e32 v13, vcc_lo, s5, v15, vcc_lo
	v_add_co_u32 v14, vcc_lo, s2, v14
	v_add_co_ci_u32_e32 v15, vcc_lo, s3, v15, vcc_lo
	v_add_co_u32 v20, vcc_lo, v16, s17
	v_add_co_ci_u32_e32 v21, vcc_lo, 0, v17, vcc_lo
	v_add_co_u32 v10, s12, s19, v0
	s_delay_alu instid0(VALU_DEP_3) | instskip(NEXT) | instid1(VALU_DEP_3)
	v_add_co_u32 v18, vcc_lo, s4, v20
	v_add_co_ci_u32_e32 v19, vcc_lo, s5, v21, vcc_lo
	v_add_co_ci_u32_e64 v11, null, 0, 0, s12
	v_add_co_u32 v16, s12, s18, v0
	v_add_co_u32 v20, vcc_lo, s2, v20
	v_add_co_u32 v22, s2, v0, s17
	v_add_co_ci_u32_e64 v17, null, 0, 0, s12
	v_add_co_ci_u32_e32 v21, vcc_lo, s3, v21, vcc_lo
	v_add_co_ci_u32_e64 v23, null, 0, 0, s2
	s_mov_b64 s[12:13], 0
	s_branch .LBB36_4
.LBB36_3:                               ;   in Loop: Header=BB36_4 Depth=1
	s_or_b32 exec_lo, exec_lo, s2
	s_add_u32 s12, s12, s16
	s_addc_u32 s13, s13, 0
	s_delay_alu instid0(SALU_CYCLE_1) | instskip(SKIP_1) | instid1(VALU_DEP_1)
	v_cmp_lt_i64_e64 s2, s[12:13], s[8:9]
	v_cmp_gt_u64_e64 s3, 0x10000, s[12:13]
	s_and_b32 s2, s2, s3
	s_delay_alu instid0(SALU_CYCLE_1)
	s_and_b32 vcc_lo, exec_lo, s2
	s_cbranch_vccz .LBB36_20
.LBB36_4:                               ; =>This Inner Loop Header: Depth=1
	s_waitcnt vmcnt(0)
	v_add_co_u32 v24, s2, v0, s12
	s_delay_alu instid0(VALU_DEP_1) | instskip(NEXT) | instid1(VALU_DEP_1)
	v_add_co_ci_u32_e64 v25, null, 0, s13, s2
	v_cmp_gt_u64_e32 vcc_lo, s[10:11], v[24:25]
	v_mov_b32_e32 v24, 0
	s_and_saveexec_b32 s3, vcc_lo
	s_cbranch_execz .LBB36_6
; %bb.5:                                ;   in Loop: Header=BB36_4 Depth=1
	v_add_co_u32 v24, s2, v1, s12
	s_delay_alu instid0(VALU_DEP_1)
	v_add_co_ci_u32_e64 v25, s2, s13, v3, s2
	global_load_u8 v24, v[24:25], off
.LBB36_6:                               ;   in Loop: Header=BB36_4 Depth=1
	s_or_b32 exec_lo, exec_lo, s3
	v_add_co_u32 v25, s2, v22, s12
	s_delay_alu instid0(VALU_DEP_1) | instskip(NEXT) | instid1(VALU_DEP_1)
	v_add_co_ci_u32_e64 v26, s2, s13, v23, s2
	v_cmp_gt_u64_e64 s2, s[10:11], v[25:26]
	v_mov_b32_e32 v26, 0
	s_delay_alu instid0(VALU_DEP_2)
	s_and_saveexec_b32 s4, s2
	s_cbranch_execz .LBB36_8
; %bb.7:                                ;   in Loop: Header=BB36_4 Depth=1
	v_add_co_u32 v25, s3, v18, s12
	s_delay_alu instid0(VALU_DEP_1)
	v_add_co_ci_u32_e64 v26, s3, s13, v19, s3
	global_load_u8 v26, v[25:26], off
.LBB36_8:                               ;   in Loop: Header=BB36_4 Depth=1
	s_or_b32 exec_lo, exec_lo, s4
	v_add_co_u32 v27, s3, v16, s12
	s_delay_alu instid0(VALU_DEP_1) | instskip(SKIP_1) | instid1(VALU_DEP_2)
	v_add_co_ci_u32_e64 v28, s3, s13, v17, s3
	v_mov_b32_e32 v25, 0
	v_cmp_gt_u64_e64 s3, s[10:11], v[27:28]
	v_mov_b32_e32 v27, 0
	s_delay_alu instid0(VALU_DEP_2)
	s_and_saveexec_b32 s5, s3
	s_cbranch_execz .LBB36_10
; %bb.9:                                ;   in Loop: Header=BB36_4 Depth=1
	v_add_co_u32 v27, s4, v12, s12
	s_delay_alu instid0(VALU_DEP_1)
	v_add_co_ci_u32_e64 v28, s4, s13, v13, s4
	global_load_u8 v27, v[27:28], off
.LBB36_10:                              ;   in Loop: Header=BB36_4 Depth=1
	s_or_b32 exec_lo, exec_lo, s5
	v_add_co_u32 v28, s4, v10, s12
	s_delay_alu instid0(VALU_DEP_1) | instskip(NEXT) | instid1(VALU_DEP_1)
	v_add_co_ci_u32_e64 v29, s4, s13, v11, s4
	v_cmp_gt_u64_e64 s4, s[10:11], v[28:29]
	s_delay_alu instid0(VALU_DEP_1)
	s_and_saveexec_b32 s17, s4
	s_cbranch_execnz .LBB36_15
; %bb.11:                               ;   in Loop: Header=BB36_4 Depth=1
	s_or_b32 exec_lo, exec_lo, s17
	s_and_saveexec_b32 s5, vcc_lo
	s_cbranch_execnz .LBB36_16
.LBB36_12:                              ;   in Loop: Header=BB36_4 Depth=1
	s_or_b32 exec_lo, exec_lo, s5
	s_and_saveexec_b32 s5, s2
	s_cbranch_execnz .LBB36_17
.LBB36_13:                              ;   in Loop: Header=BB36_4 Depth=1
	s_or_b32 exec_lo, exec_lo, s5
	s_and_saveexec_b32 s2, s3
	s_cbranch_execnz .LBB36_18
.LBB36_14:                              ;   in Loop: Header=BB36_4 Depth=1
	s_or_b32 exec_lo, exec_lo, s2
	s_and_saveexec_b32 s2, s4
	s_cbranch_execz .LBB36_3
	s_branch .LBB36_19
.LBB36_15:                              ;   in Loop: Header=BB36_4 Depth=1
	v_add_co_u32 v28, s5, v6, s12
	s_delay_alu instid0(VALU_DEP_1)
	v_add_co_ci_u32_e64 v29, s5, s13, v7, s5
	global_load_u8 v25, v[28:29], off
	s_or_b32 exec_lo, exec_lo, s17
	s_and_saveexec_b32 s5, vcc_lo
	s_cbranch_execz .LBB36_12
.LBB36_16:                              ;   in Loop: Header=BB36_4 Depth=1
	v_add_co_u32 v28, vcc_lo, v4, s12
	s_waitcnt vmcnt(0)
	v_mul_lo_u16 v24, v24, v2
	v_add_co_ci_u32_e32 v29, vcc_lo, s13, v5, vcc_lo
	global_store_b8 v[28:29], v24, off
	s_or_b32 exec_lo, exec_lo, s5
	s_and_saveexec_b32 s5, s2
	s_cbranch_execz .LBB36_13
.LBB36_17:                              ;   in Loop: Header=BB36_4 Depth=1
	v_add_co_u32 v28, vcc_lo, v20, s12
	s_waitcnt vmcnt(0)
	v_mul_lo_u16 v24, v26, v2
	v_add_co_ci_u32_e32 v29, vcc_lo, s13, v21, vcc_lo
	global_store_b8 v[28:29], v24, off
	s_or_b32 exec_lo, exec_lo, s5
	s_and_saveexec_b32 s2, s3
	s_cbranch_execz .LBB36_14
.LBB36_18:                              ;   in Loop: Header=BB36_4 Depth=1
	s_waitcnt vmcnt(0)
	v_add_co_u32 v26, vcc_lo, v14, s12
	v_mul_lo_u16 v24, v27, v2
	v_add_co_ci_u32_e32 v27, vcc_lo, s13, v15, vcc_lo
	global_store_b8 v[26:27], v24, off
	s_or_b32 exec_lo, exec_lo, s2
	s_and_saveexec_b32 s2, s4
	s_cbranch_execz .LBB36_3
.LBB36_19:                              ;   in Loop: Header=BB36_4 Depth=1
	s_waitcnt vmcnt(0)
	v_add_co_u32 v24, vcc_lo, v8, s12
	v_mul_lo_u16 v26, v25, v2
	v_add_co_ci_u32_e32 v25, vcc_lo, s13, v9, vcc_lo
	global_store_b8 v[24:25], v26, off
	s_branch .LBB36_3
.LBB36_20:
	s_mov_b32 s10, 0
.LBB36_21:
	s_delay_alu instid0(SALU_CYCLE_1)
	s_and_not1_b32 vcc_lo, exec_lo, s10
	s_cbranch_vccnz .LBB36_25
; %bb.22:
	v_dual_mov_b32 v1, 0 :: v_dual_lshlrev_b32 v0, 2, v0
	s_mov_b32 s2, exec_lo
	s_delay_alu instid0(VALU_DEP_1)
	v_cmpx_gt_i64_e64 s[8:9], v[0:1]
	s_cbranch_execz .LBB36_25
; %bb.23:
	s_load_b32 s0, s[0:1], 0xc94
	s_mov_b32 s2, 0
	s_waitcnt lgkmcnt(0)
	s_and_b32 s0, s0, 0xffff
	s_delay_alu instid0(SALU_CYCLE_1)
	s_lshl_b32 s1, s0, 2
	s_set_inst_prefetch_distance 0x1
	.p2align	6
.LBB36_24:                              ; =>This Inner Loop Header: Depth=1
	v_add_co_u32 v3, vcc_lo, s6, v0
	v_add_co_ci_u32_e32 v4, vcc_lo, s7, v1, vcc_lo
	global_load_b32 v5, v[3:4], off
	v_add_co_u32 v3, vcc_lo, s14, v0
	v_add_co_ci_u32_e32 v4, vcc_lo, s15, v1, vcc_lo
	v_add_co_u32 v0, vcc_lo, s1, v0
	v_add_co_ci_u32_e32 v1, vcc_lo, 0, v1, vcc_lo
	s_delay_alu instid0(VALU_DEP_1) | instskip(SKIP_1) | instid1(VALU_DEP_1)
	v_cmp_le_i64_e32 vcc_lo, s[8:9], v[0:1]
	v_cmp_lt_u64_e64 s0, 0xffff, v[0:1]
	s_or_b32 s0, vcc_lo, s0
	s_delay_alu instid0(SALU_CYCLE_1) | instskip(NEXT) | instid1(SALU_CYCLE_1)
	s_and_b32 s0, exec_lo, s0
	s_or_b32 s2, s0, s2
	s_waitcnt vmcnt(0)
	v_lshrrev_b32_e32 v6, 16, v5
	v_lshrrev_b32_e32 v7, 8, v5
	;; [unrolled: 1-line block ×3, first 2 shown]
	v_mul_lo_u16 v5, v2, v5
	s_delay_alu instid0(VALU_DEP_4) | instskip(NEXT) | instid1(VALU_DEP_4)
	v_mul_lo_u16 v6, v2, v6
	v_mul_lo_u16 v7, v2, v7
	s_delay_alu instid0(VALU_DEP_4) | instskip(NEXT) | instid1(VALU_DEP_4)
	v_mul_lo_u16 v8, v2, v8
	v_and_b32_e32 v5, 0xff, v5
	s_delay_alu instid0(VALU_DEP_4) | instskip(NEXT) | instid1(VALU_DEP_4)
	v_and_b32_e32 v6, 0xff, v6
	v_and_b32_e32 v7, 0xff, v7
	s_delay_alu instid0(VALU_DEP_2) | instskip(NEXT) | instid1(VALU_DEP_2)
	v_lshlrev_b32_e32 v6, 16, v6
	v_lshlrev_b32_e32 v7, 8, v7
	s_delay_alu instid0(VALU_DEP_2) | instskip(NEXT) | instid1(VALU_DEP_1)
	v_lshl_or_b32 v6, v8, 24, v6
	v_or3_b32 v5, v6, v7, v5
	global_store_b32 v[3:4], v5, off
	s_and_not1_b32 exec_lo, exec_lo, s2
	s_cbranch_execnz .LBB36_24
.LBB36_25:
	s_set_inst_prefetch_distance 0x2
	s_nop 0
	s_sendmsg sendmsg(MSG_DEALLOC_VGPRS)
	s_endpgm
	.section	.rodata,"a",@progbits
	.p2align	6, 0x0
	.amdhsa_kernel _ZN2at6native12_GLOBAL__N_125multi_tensor_apply_kernelINS1_28TensorListScalarListMetadataIhLi2EEENS1_25BinaryOpScalarListFunctorIhLi2ELi1ELi1EEEJSt10multipliesIhEEEEvT_T0_DpT1_
		.amdhsa_group_segment_fixed_size 0
		.amdhsa_private_segment_fixed_size 0
		.amdhsa_kernarg_size 3464
		.amdhsa_user_sgpr_count 15
		.amdhsa_user_sgpr_dispatch_ptr 0
		.amdhsa_user_sgpr_queue_ptr 0
		.amdhsa_user_sgpr_kernarg_segment_ptr 1
		.amdhsa_user_sgpr_dispatch_id 0
		.amdhsa_user_sgpr_private_segment_size 0
		.amdhsa_wavefront_size32 1
		.amdhsa_uses_dynamic_stack 0
		.amdhsa_enable_private_segment 0
		.amdhsa_system_sgpr_workgroup_id_x 1
		.amdhsa_system_sgpr_workgroup_id_y 0
		.amdhsa_system_sgpr_workgroup_id_z 0
		.amdhsa_system_sgpr_workgroup_info 0
		.amdhsa_system_vgpr_workitem_id 0
		.amdhsa_next_free_vgpr 30
		.amdhsa_next_free_sgpr 22
		.amdhsa_reserve_vcc 1
		.amdhsa_float_round_mode_32 0
		.amdhsa_float_round_mode_16_64 0
		.amdhsa_float_denorm_mode_32 3
		.amdhsa_float_denorm_mode_16_64 3
		.amdhsa_dx10_clamp 1
		.amdhsa_ieee_mode 1
		.amdhsa_fp16_overflow 0
		.amdhsa_workgroup_processor_mode 1
		.amdhsa_memory_ordered 1
		.amdhsa_forward_progress 0
		.amdhsa_shared_vgpr_count 0
		.amdhsa_exception_fp_ieee_invalid_op 0
		.amdhsa_exception_fp_denorm_src 0
		.amdhsa_exception_fp_ieee_div_zero 0
		.amdhsa_exception_fp_ieee_overflow 0
		.amdhsa_exception_fp_ieee_underflow 0
		.amdhsa_exception_fp_ieee_inexact 0
		.amdhsa_exception_int_div_zero 0
	.end_amdhsa_kernel
	.section	.text._ZN2at6native12_GLOBAL__N_125multi_tensor_apply_kernelINS1_28TensorListScalarListMetadataIhLi2EEENS1_25BinaryOpScalarListFunctorIhLi2ELi1ELi1EEEJSt10multipliesIhEEEEvT_T0_DpT1_,"axG",@progbits,_ZN2at6native12_GLOBAL__N_125multi_tensor_apply_kernelINS1_28TensorListScalarListMetadataIhLi2EEENS1_25BinaryOpScalarListFunctorIhLi2ELi1ELi1EEEJSt10multipliesIhEEEEvT_T0_DpT1_,comdat
.Lfunc_end36:
	.size	_ZN2at6native12_GLOBAL__N_125multi_tensor_apply_kernelINS1_28TensorListScalarListMetadataIhLi2EEENS1_25BinaryOpScalarListFunctorIhLi2ELi1ELi1EEEJSt10multipliesIhEEEEvT_T0_DpT1_, .Lfunc_end36-_ZN2at6native12_GLOBAL__N_125multi_tensor_apply_kernelINS1_28TensorListScalarListMetadataIhLi2EEENS1_25BinaryOpScalarListFunctorIhLi2ELi1ELi1EEEJSt10multipliesIhEEEEvT_T0_DpT1_
                                        ; -- End function
	.section	.AMDGPU.csdata,"",@progbits
; Kernel info:
; codeLenInByte = 1400
; NumSgprs: 24
; NumVgprs: 30
; ScratchSize: 0
; MemoryBound: 0
; FloatMode: 240
; IeeeMode: 1
; LDSByteSize: 0 bytes/workgroup (compile time only)
; SGPRBlocks: 2
; VGPRBlocks: 3
; NumSGPRsForWavesPerEU: 24
; NumVGPRsForWavesPerEU: 30
; Occupancy: 16
; WaveLimiterHint : 0
; COMPUTE_PGM_RSRC2:SCRATCH_EN: 0
; COMPUTE_PGM_RSRC2:USER_SGPR: 15
; COMPUTE_PGM_RSRC2:TRAP_HANDLER: 0
; COMPUTE_PGM_RSRC2:TGID_X_EN: 1
; COMPUTE_PGM_RSRC2:TGID_Y_EN: 0
; COMPUTE_PGM_RSRC2:TGID_Z_EN: 0
; COMPUTE_PGM_RSRC2:TIDIG_COMP_CNT: 0
	.section	.text._ZN2at6native12_GLOBAL__N_125multi_tensor_apply_kernelINS1_28TensorListScalarListMetadataIaLi2EEENS1_25BinaryOpScalarListFunctorIaLi2ELi1ELi1EEEJSt10multipliesIaEEEEvT_T0_DpT1_,"axG",@progbits,_ZN2at6native12_GLOBAL__N_125multi_tensor_apply_kernelINS1_28TensorListScalarListMetadataIaLi2EEENS1_25BinaryOpScalarListFunctorIaLi2ELi1ELi1EEEJSt10multipliesIaEEEEvT_T0_DpT1_,comdat
	.globl	_ZN2at6native12_GLOBAL__N_125multi_tensor_apply_kernelINS1_28TensorListScalarListMetadataIaLi2EEENS1_25BinaryOpScalarListFunctorIaLi2ELi1ELi1EEEJSt10multipliesIaEEEEvT_T0_DpT1_ ; -- Begin function _ZN2at6native12_GLOBAL__N_125multi_tensor_apply_kernelINS1_28TensorListScalarListMetadataIaLi2EEENS1_25BinaryOpScalarListFunctorIaLi2ELi1ELi1EEEJSt10multipliesIaEEEEvT_T0_DpT1_
	.p2align	8
	.type	_ZN2at6native12_GLOBAL__N_125multi_tensor_apply_kernelINS1_28TensorListScalarListMetadataIaLi2EEENS1_25BinaryOpScalarListFunctorIaLi2ELi1ELi1EEEJSt10multipliesIaEEEEvT_T0_DpT1_,@function
_ZN2at6native12_GLOBAL__N_125multi_tensor_apply_kernelINS1_28TensorListScalarListMetadataIaLi2EEENS1_25BinaryOpScalarListFunctorIaLi2ELi1ELi1EEEJSt10multipliesIaEEEEvT_T0_DpT1_: ; @_ZN2at6native12_GLOBAL__N_125multi_tensor_apply_kernelINS1_28TensorListScalarListMetadataIaLi2EEENS1_25BinaryOpScalarListFunctorIaLi2ELi1ELi1EEEJSt10multipliesIaEEEEvT_T0_DpT1_
; %bb.0:
	v_mov_b32_e32 v1, s15
	s_mul_i32 s4, s15, 3
	s_mul_hi_u32 s5, s15, 3
	global_load_u8 v3, v1, s[0:1] offset:1600
	s_waitcnt vmcnt(0)
	v_add_co_u32 v1, s2, s0, v3
	s_delay_alu instid0(VALU_DEP_1)
	v_add_co_ci_u32_e64 v2, null, s1, 0, s2
	s_add_u32 s2, s0, s15
	s_addc_u32 s3, s1, 0
	s_add_u32 s2, s2, s4
	global_load_u8 v2, v[1:2], off offset:1536
	s_addc_u32 s3, s3, s5
	v_readfirstlane_b32 s4, v3
	s_load_b32 s6, s[2:3], 0x780
	s_delay_alu instid0(VALU_DEP_1)
	s_lshl_b32 s7, s4, 3
	s_clause 0x2
	s_load_b64 s[4:5], s[0:1], s7 offset:0x0
	s_load_b64 s[2:3], s[0:1], s7 offset:0x200
	;; [unrolled: 1-line block ×3, first 2 shown]
	s_waitcnt lgkmcnt(0)
	s_ashr_i32 s7, s6, 31
	s_delay_alu instid0(SALU_CYCLE_1) | instskip(NEXT) | instid1(SALU_CYCLE_1)
	s_lshl_b64 s[12:13], s[6:7], 16
	s_add_u32 s6, s4, s12
	s_addc_u32 s7, s5, s13
	s_add_u32 s14, s2, s12
	s_addc_u32 s15, s3, s13
	s_or_b64 s[10:11], s[8:9], s[6:7]
	s_delay_alu instid0(SALU_CYCLE_1) | instskip(NEXT) | instid1(SALU_CYCLE_1)
	s_or_b32 s10, s14, s10
	s_and_b32 s10, s10, 3
	s_sub_u32 s8, s8, s12
	s_subb_u32 s9, s9, s13
	s_cmp_eq_u32 s10, 0
	s_mov_b32 s10, -1
	s_cbranch_scc1 .LBB37_21
; %bb.1:
	v_cmp_lt_i64_e64 s10, s[8:9], 1
	s_delay_alu instid0(VALU_DEP_1)
	s_and_b32 vcc_lo, exec_lo, s10
	s_cbranch_vccnz .LBB37_20
; %bb.2:
	s_load_b32 s10, s[0:1], 0xc94
	v_add_co_u32 v16, s11, s12, v0
	s_delay_alu instid0(VALU_DEP_1) | instskip(SKIP_1) | instid1(VALU_DEP_3)
	v_add_co_ci_u32_e64 v17, null, s13, 0, s11
	v_cmp_gt_u64_e64 s11, 0x10000, s[8:9]
	v_add_co_u32 v1, vcc_lo, s4, v16
	s_delay_alu instid0(VALU_DEP_3)
	v_add_co_ci_u32_e32 v3, vcc_lo, s5, v17, vcc_lo
	v_add_co_u32 v4, vcc_lo, s2, v16
	v_add_co_ci_u32_e32 v5, vcc_lo, s3, v17, vcc_lo
	s_waitcnt lgkmcnt(0)
	s_and_b32 s17, s10, 0xffff
	s_and_b32 s10, s11, exec_lo
	s_mul_i32 s19, s17, 3
	s_cselect_b32 s11, s9, 0
	s_cselect_b32 s10, s8, 0x10000
	s_lshl_b32 s18, s17, 1
	s_lshl_b32 s16, s17, 2
	s_add_u32 s20, s12, s19
	s_addc_u32 s21, s13, 0
	v_add_co_u32 v8, s20, s20, v0
	s_delay_alu instid0(VALU_DEP_1) | instskip(SKIP_1) | instid1(VALU_DEP_2)
	v_add_co_ci_u32_e64 v9, null, s21, 0, s20
	s_add_u32 s12, s12, s18
	v_add_co_u32 v6, vcc_lo, s4, v8
	s_addc_u32 s13, s13, 0
	v_add_co_u32 v14, s12, s12, v0
	v_add_co_ci_u32_e32 v7, vcc_lo, s5, v9, vcc_lo
	v_add_co_u32 v8, vcc_lo, s2, v8
	v_add_co_ci_u32_e64 v15, null, s13, 0, s12
	v_add_co_ci_u32_e32 v9, vcc_lo, s3, v9, vcc_lo
	v_add_co_u32 v12, vcc_lo, s4, v14
	s_delay_alu instid0(VALU_DEP_3)
	v_add_co_ci_u32_e32 v13, vcc_lo, s5, v15, vcc_lo
	v_add_co_u32 v14, vcc_lo, s2, v14
	v_add_co_ci_u32_e32 v15, vcc_lo, s3, v15, vcc_lo
	v_add_co_u32 v20, vcc_lo, v16, s17
	v_add_co_ci_u32_e32 v21, vcc_lo, 0, v17, vcc_lo
	v_add_co_u32 v10, s12, s19, v0
	s_delay_alu instid0(VALU_DEP_3) | instskip(NEXT) | instid1(VALU_DEP_3)
	v_add_co_u32 v18, vcc_lo, s4, v20
	v_add_co_ci_u32_e32 v19, vcc_lo, s5, v21, vcc_lo
	v_add_co_ci_u32_e64 v11, null, 0, 0, s12
	v_add_co_u32 v16, s12, s18, v0
	v_add_co_u32 v20, vcc_lo, s2, v20
	v_add_co_u32 v22, s2, v0, s17
	v_add_co_ci_u32_e64 v17, null, 0, 0, s12
	v_add_co_ci_u32_e32 v21, vcc_lo, s3, v21, vcc_lo
	v_add_co_ci_u32_e64 v23, null, 0, 0, s2
	s_mov_b64 s[12:13], 0
	s_branch .LBB37_4
.LBB37_3:                               ;   in Loop: Header=BB37_4 Depth=1
	s_or_b32 exec_lo, exec_lo, s2
	s_add_u32 s12, s12, s16
	s_addc_u32 s13, s13, 0
	s_delay_alu instid0(SALU_CYCLE_1) | instskip(SKIP_1) | instid1(VALU_DEP_1)
	v_cmp_lt_i64_e64 s2, s[12:13], s[8:9]
	v_cmp_gt_u64_e64 s3, 0x10000, s[12:13]
	s_and_b32 s2, s2, s3
	s_delay_alu instid0(SALU_CYCLE_1)
	s_and_b32 vcc_lo, exec_lo, s2
	s_cbranch_vccz .LBB37_20
.LBB37_4:                               ; =>This Inner Loop Header: Depth=1
	s_waitcnt vmcnt(0)
	v_add_co_u32 v24, s2, v0, s12
	s_delay_alu instid0(VALU_DEP_1) | instskip(NEXT) | instid1(VALU_DEP_1)
	v_add_co_ci_u32_e64 v25, null, 0, s13, s2
	v_cmp_gt_u64_e32 vcc_lo, s[10:11], v[24:25]
	v_mov_b32_e32 v24, 0
	s_and_saveexec_b32 s3, vcc_lo
	s_cbranch_execz .LBB37_6
; %bb.5:                                ;   in Loop: Header=BB37_4 Depth=1
	v_add_co_u32 v24, s2, v1, s12
	s_delay_alu instid0(VALU_DEP_1)
	v_add_co_ci_u32_e64 v25, s2, s13, v3, s2
	global_load_u8 v24, v[24:25], off
.LBB37_6:                               ;   in Loop: Header=BB37_4 Depth=1
	s_or_b32 exec_lo, exec_lo, s3
	v_add_co_u32 v25, s2, v22, s12
	s_delay_alu instid0(VALU_DEP_1) | instskip(NEXT) | instid1(VALU_DEP_1)
	v_add_co_ci_u32_e64 v26, s2, s13, v23, s2
	v_cmp_gt_u64_e64 s2, s[10:11], v[25:26]
	v_mov_b32_e32 v26, 0
	s_delay_alu instid0(VALU_DEP_2)
	s_and_saveexec_b32 s4, s2
	s_cbranch_execz .LBB37_8
; %bb.7:                                ;   in Loop: Header=BB37_4 Depth=1
	v_add_co_u32 v25, s3, v18, s12
	s_delay_alu instid0(VALU_DEP_1)
	v_add_co_ci_u32_e64 v26, s3, s13, v19, s3
	global_load_u8 v26, v[25:26], off
.LBB37_8:                               ;   in Loop: Header=BB37_4 Depth=1
	s_or_b32 exec_lo, exec_lo, s4
	v_add_co_u32 v27, s3, v16, s12
	s_delay_alu instid0(VALU_DEP_1) | instskip(SKIP_1) | instid1(VALU_DEP_2)
	v_add_co_ci_u32_e64 v28, s3, s13, v17, s3
	v_mov_b32_e32 v25, 0
	v_cmp_gt_u64_e64 s3, s[10:11], v[27:28]
	v_mov_b32_e32 v27, 0
	s_delay_alu instid0(VALU_DEP_2)
	s_and_saveexec_b32 s5, s3
	s_cbranch_execz .LBB37_10
; %bb.9:                                ;   in Loop: Header=BB37_4 Depth=1
	v_add_co_u32 v27, s4, v12, s12
	s_delay_alu instid0(VALU_DEP_1)
	v_add_co_ci_u32_e64 v28, s4, s13, v13, s4
	global_load_u8 v27, v[27:28], off
.LBB37_10:                              ;   in Loop: Header=BB37_4 Depth=1
	s_or_b32 exec_lo, exec_lo, s5
	v_add_co_u32 v28, s4, v10, s12
	s_delay_alu instid0(VALU_DEP_1) | instskip(NEXT) | instid1(VALU_DEP_1)
	v_add_co_ci_u32_e64 v29, s4, s13, v11, s4
	v_cmp_gt_u64_e64 s4, s[10:11], v[28:29]
	s_delay_alu instid0(VALU_DEP_1)
	s_and_saveexec_b32 s17, s4
	s_cbranch_execnz .LBB37_15
; %bb.11:                               ;   in Loop: Header=BB37_4 Depth=1
	s_or_b32 exec_lo, exec_lo, s17
	s_and_saveexec_b32 s5, vcc_lo
	s_cbranch_execnz .LBB37_16
.LBB37_12:                              ;   in Loop: Header=BB37_4 Depth=1
	s_or_b32 exec_lo, exec_lo, s5
	s_and_saveexec_b32 s5, s2
	s_cbranch_execnz .LBB37_17
.LBB37_13:                              ;   in Loop: Header=BB37_4 Depth=1
	s_or_b32 exec_lo, exec_lo, s5
	s_and_saveexec_b32 s2, s3
	s_cbranch_execnz .LBB37_18
.LBB37_14:                              ;   in Loop: Header=BB37_4 Depth=1
	s_or_b32 exec_lo, exec_lo, s2
	s_and_saveexec_b32 s2, s4
	s_cbranch_execz .LBB37_3
	s_branch .LBB37_19
.LBB37_15:                              ;   in Loop: Header=BB37_4 Depth=1
	v_add_co_u32 v28, s5, v6, s12
	s_delay_alu instid0(VALU_DEP_1)
	v_add_co_ci_u32_e64 v29, s5, s13, v7, s5
	global_load_u8 v25, v[28:29], off
	s_or_b32 exec_lo, exec_lo, s17
	s_and_saveexec_b32 s5, vcc_lo
	s_cbranch_execz .LBB37_12
.LBB37_16:                              ;   in Loop: Header=BB37_4 Depth=1
	v_add_co_u32 v28, vcc_lo, v4, s12
	s_waitcnt vmcnt(0)
	v_mul_lo_u16 v24, v24, v2
	v_add_co_ci_u32_e32 v29, vcc_lo, s13, v5, vcc_lo
	global_store_b8 v[28:29], v24, off
	s_or_b32 exec_lo, exec_lo, s5
	s_and_saveexec_b32 s5, s2
	s_cbranch_execz .LBB37_13
.LBB37_17:                              ;   in Loop: Header=BB37_4 Depth=1
	v_add_co_u32 v28, vcc_lo, v20, s12
	s_waitcnt vmcnt(0)
	v_mul_lo_u16 v24, v26, v2
	v_add_co_ci_u32_e32 v29, vcc_lo, s13, v21, vcc_lo
	global_store_b8 v[28:29], v24, off
	s_or_b32 exec_lo, exec_lo, s5
	s_and_saveexec_b32 s2, s3
	s_cbranch_execz .LBB37_14
.LBB37_18:                              ;   in Loop: Header=BB37_4 Depth=1
	s_waitcnt vmcnt(0)
	v_add_co_u32 v26, vcc_lo, v14, s12
	v_mul_lo_u16 v24, v27, v2
	v_add_co_ci_u32_e32 v27, vcc_lo, s13, v15, vcc_lo
	global_store_b8 v[26:27], v24, off
	s_or_b32 exec_lo, exec_lo, s2
	s_and_saveexec_b32 s2, s4
	s_cbranch_execz .LBB37_3
.LBB37_19:                              ;   in Loop: Header=BB37_4 Depth=1
	s_waitcnt vmcnt(0)
	v_add_co_u32 v24, vcc_lo, v8, s12
	v_mul_lo_u16 v26, v25, v2
	v_add_co_ci_u32_e32 v25, vcc_lo, s13, v9, vcc_lo
	global_store_b8 v[24:25], v26, off
	s_branch .LBB37_3
.LBB37_20:
	s_mov_b32 s10, 0
.LBB37_21:
	s_delay_alu instid0(SALU_CYCLE_1)
	s_and_not1_b32 vcc_lo, exec_lo, s10
	s_cbranch_vccnz .LBB37_25
; %bb.22:
	v_dual_mov_b32 v1, 0 :: v_dual_lshlrev_b32 v0, 2, v0
	s_mov_b32 s2, exec_lo
	s_delay_alu instid0(VALU_DEP_1)
	v_cmpx_gt_i64_e64 s[8:9], v[0:1]
	s_cbranch_execz .LBB37_25
; %bb.23:
	s_load_b32 s0, s[0:1], 0xc94
	s_mov_b32 s2, 0
	s_waitcnt lgkmcnt(0)
	s_and_b32 s0, s0, 0xffff
	s_delay_alu instid0(SALU_CYCLE_1)
	s_lshl_b32 s1, s0, 2
	s_set_inst_prefetch_distance 0x1
	.p2align	6
.LBB37_24:                              ; =>This Inner Loop Header: Depth=1
	v_add_co_u32 v3, vcc_lo, s6, v0
	v_add_co_ci_u32_e32 v4, vcc_lo, s7, v1, vcc_lo
	global_load_b32 v5, v[3:4], off
	v_add_co_u32 v3, vcc_lo, s14, v0
	v_add_co_ci_u32_e32 v4, vcc_lo, s15, v1, vcc_lo
	v_add_co_u32 v0, vcc_lo, s1, v0
	v_add_co_ci_u32_e32 v1, vcc_lo, 0, v1, vcc_lo
	s_delay_alu instid0(VALU_DEP_1) | instskip(SKIP_1) | instid1(VALU_DEP_1)
	v_cmp_le_i64_e32 vcc_lo, s[8:9], v[0:1]
	v_cmp_lt_u64_e64 s0, 0xffff, v[0:1]
	s_or_b32 s0, vcc_lo, s0
	s_delay_alu instid0(SALU_CYCLE_1) | instskip(NEXT) | instid1(SALU_CYCLE_1)
	s_and_b32 s0, exec_lo, s0
	s_or_b32 s2, s0, s2
	s_waitcnt vmcnt(0)
	v_lshrrev_b32_e32 v6, 16, v5
	v_lshrrev_b32_e32 v7, 8, v5
	;; [unrolled: 1-line block ×3, first 2 shown]
	v_mul_lo_u16 v5, v2, v5
	s_delay_alu instid0(VALU_DEP_4) | instskip(NEXT) | instid1(VALU_DEP_4)
	v_mul_lo_u16 v6, v2, v6
	v_mul_lo_u16 v7, v2, v7
	s_delay_alu instid0(VALU_DEP_4) | instskip(NEXT) | instid1(VALU_DEP_4)
	v_mul_lo_u16 v8, v2, v8
	v_and_b32_e32 v5, 0xff, v5
	s_delay_alu instid0(VALU_DEP_4) | instskip(NEXT) | instid1(VALU_DEP_4)
	v_and_b32_e32 v6, 0xff, v6
	v_and_b32_e32 v7, 0xff, v7
	s_delay_alu instid0(VALU_DEP_2) | instskip(NEXT) | instid1(VALU_DEP_2)
	v_lshlrev_b32_e32 v6, 16, v6
	v_lshlrev_b32_e32 v7, 8, v7
	s_delay_alu instid0(VALU_DEP_2) | instskip(NEXT) | instid1(VALU_DEP_1)
	v_lshl_or_b32 v6, v8, 24, v6
	v_or3_b32 v5, v6, v7, v5
	global_store_b32 v[3:4], v5, off
	s_and_not1_b32 exec_lo, exec_lo, s2
	s_cbranch_execnz .LBB37_24
.LBB37_25:
	s_set_inst_prefetch_distance 0x2
	s_nop 0
	s_sendmsg sendmsg(MSG_DEALLOC_VGPRS)
	s_endpgm
	.section	.rodata,"a",@progbits
	.p2align	6, 0x0
	.amdhsa_kernel _ZN2at6native12_GLOBAL__N_125multi_tensor_apply_kernelINS1_28TensorListScalarListMetadataIaLi2EEENS1_25BinaryOpScalarListFunctorIaLi2ELi1ELi1EEEJSt10multipliesIaEEEEvT_T0_DpT1_
		.amdhsa_group_segment_fixed_size 0
		.amdhsa_private_segment_fixed_size 0
		.amdhsa_kernarg_size 3464
		.amdhsa_user_sgpr_count 15
		.amdhsa_user_sgpr_dispatch_ptr 0
		.amdhsa_user_sgpr_queue_ptr 0
		.amdhsa_user_sgpr_kernarg_segment_ptr 1
		.amdhsa_user_sgpr_dispatch_id 0
		.amdhsa_user_sgpr_private_segment_size 0
		.amdhsa_wavefront_size32 1
		.amdhsa_uses_dynamic_stack 0
		.amdhsa_enable_private_segment 0
		.amdhsa_system_sgpr_workgroup_id_x 1
		.amdhsa_system_sgpr_workgroup_id_y 0
		.amdhsa_system_sgpr_workgroup_id_z 0
		.amdhsa_system_sgpr_workgroup_info 0
		.amdhsa_system_vgpr_workitem_id 0
		.amdhsa_next_free_vgpr 30
		.amdhsa_next_free_sgpr 22
		.amdhsa_reserve_vcc 1
		.amdhsa_float_round_mode_32 0
		.amdhsa_float_round_mode_16_64 0
		.amdhsa_float_denorm_mode_32 3
		.amdhsa_float_denorm_mode_16_64 3
		.amdhsa_dx10_clamp 1
		.amdhsa_ieee_mode 1
		.amdhsa_fp16_overflow 0
		.amdhsa_workgroup_processor_mode 1
		.amdhsa_memory_ordered 1
		.amdhsa_forward_progress 0
		.amdhsa_shared_vgpr_count 0
		.amdhsa_exception_fp_ieee_invalid_op 0
		.amdhsa_exception_fp_denorm_src 0
		.amdhsa_exception_fp_ieee_div_zero 0
		.amdhsa_exception_fp_ieee_overflow 0
		.amdhsa_exception_fp_ieee_underflow 0
		.amdhsa_exception_fp_ieee_inexact 0
		.amdhsa_exception_int_div_zero 0
	.end_amdhsa_kernel
	.section	.text._ZN2at6native12_GLOBAL__N_125multi_tensor_apply_kernelINS1_28TensorListScalarListMetadataIaLi2EEENS1_25BinaryOpScalarListFunctorIaLi2ELi1ELi1EEEJSt10multipliesIaEEEEvT_T0_DpT1_,"axG",@progbits,_ZN2at6native12_GLOBAL__N_125multi_tensor_apply_kernelINS1_28TensorListScalarListMetadataIaLi2EEENS1_25BinaryOpScalarListFunctorIaLi2ELi1ELi1EEEJSt10multipliesIaEEEEvT_T0_DpT1_,comdat
.Lfunc_end37:
	.size	_ZN2at6native12_GLOBAL__N_125multi_tensor_apply_kernelINS1_28TensorListScalarListMetadataIaLi2EEENS1_25BinaryOpScalarListFunctorIaLi2ELi1ELi1EEEJSt10multipliesIaEEEEvT_T0_DpT1_, .Lfunc_end37-_ZN2at6native12_GLOBAL__N_125multi_tensor_apply_kernelINS1_28TensorListScalarListMetadataIaLi2EEENS1_25BinaryOpScalarListFunctorIaLi2ELi1ELi1EEEJSt10multipliesIaEEEEvT_T0_DpT1_
                                        ; -- End function
	.section	.AMDGPU.csdata,"",@progbits
; Kernel info:
; codeLenInByte = 1400
; NumSgprs: 24
; NumVgprs: 30
; ScratchSize: 0
; MemoryBound: 0
; FloatMode: 240
; IeeeMode: 1
; LDSByteSize: 0 bytes/workgroup (compile time only)
; SGPRBlocks: 2
; VGPRBlocks: 3
; NumSGPRsForWavesPerEU: 24
; NumVGPRsForWavesPerEU: 30
; Occupancy: 16
; WaveLimiterHint : 0
; COMPUTE_PGM_RSRC2:SCRATCH_EN: 0
; COMPUTE_PGM_RSRC2:USER_SGPR: 15
; COMPUTE_PGM_RSRC2:TRAP_HANDLER: 0
; COMPUTE_PGM_RSRC2:TGID_X_EN: 1
; COMPUTE_PGM_RSRC2:TGID_Y_EN: 0
; COMPUTE_PGM_RSRC2:TGID_Z_EN: 0
; COMPUTE_PGM_RSRC2:TIDIG_COMP_CNT: 0
	.section	.text._ZN2at6native12_GLOBAL__N_125multi_tensor_apply_kernelINS1_28TensorListScalarListMetadataIiLi2EEENS1_25BinaryOpScalarListFunctorIiLi2ELi1ELi1EEEJSt10multipliesIiEEEEvT_T0_DpT1_,"axG",@progbits,_ZN2at6native12_GLOBAL__N_125multi_tensor_apply_kernelINS1_28TensorListScalarListMetadataIiLi2EEENS1_25BinaryOpScalarListFunctorIiLi2ELi1ELi1EEEJSt10multipliesIiEEEEvT_T0_DpT1_,comdat
	.globl	_ZN2at6native12_GLOBAL__N_125multi_tensor_apply_kernelINS1_28TensorListScalarListMetadataIiLi2EEENS1_25BinaryOpScalarListFunctorIiLi2ELi1ELi1EEEJSt10multipliesIiEEEEvT_T0_DpT1_ ; -- Begin function _ZN2at6native12_GLOBAL__N_125multi_tensor_apply_kernelINS1_28TensorListScalarListMetadataIiLi2EEENS1_25BinaryOpScalarListFunctorIiLi2ELi1ELi1EEEJSt10multipliesIiEEEEvT_T0_DpT1_
	.p2align	8
	.type	_ZN2at6native12_GLOBAL__N_125multi_tensor_apply_kernelINS1_28TensorListScalarListMetadataIiLi2EEENS1_25BinaryOpScalarListFunctorIiLi2ELi1ELi1EEEJSt10multipliesIiEEEEvT_T0_DpT1_,@function
_ZN2at6native12_GLOBAL__N_125multi_tensor_apply_kernelINS1_28TensorListScalarListMetadataIiLi2EEENS1_25BinaryOpScalarListFunctorIiLi2ELi1ELi1EEEJSt10multipliesIiEEEEvT_T0_DpT1_: ; @_ZN2at6native12_GLOBAL__N_125multi_tensor_apply_kernelINS1_28TensorListScalarListMetadataIiLi2EEENS1_25BinaryOpScalarListFunctorIiLi2ELi1ELi1EEEJSt10multipliesIiEEEEvT_T0_DpT1_
; %bb.0:
	v_mov_b32_e32 v1, s15
	s_add_u32 s2, s0, s15
	s_mul_hi_u32 s3, s15, 3
	s_mul_i32 s15, s15, 3
	s_addc_u32 s4, s1, 0
	global_load_u8 v1, v1, s[0:1] offset:1792
	s_add_u32 s2, s2, s15
	s_addc_u32 s3, s4, s3
	s_mov_b32 s13, 0
	s_load_b32 s6, s[2:3], 0x840
	s_waitcnt lgkmcnt(0)
	s_ashr_i32 s7, s6, 31
	s_waitcnt vmcnt(0)
	v_readfirstlane_b32 s2, v1
	v_lshlrev_b32_e32 v1, 2, v1
	s_delay_alu instid0(VALU_DEP_2)
	s_lshl_b32 s8, s2, 3
	s_clause 0x2
	s_load_b64 s[10:11], s[0:1], s8 offset:0x400
	s_load_b64 s[4:5], s[0:1], s8 offset:0x0
	s_load_b64 s[2:3], s[0:1], s8 offset:0x200
	s_add_u32 s8, s0, s8
	s_addc_u32 s9, s1, 0
	v_sub_co_u32 v1, s8, s8, v1
	s_delay_alu instid0(VALU_DEP_1) | instskip(NEXT) | instid1(VALU_DEP_2)
	v_sub_co_ci_u32_e64 v2, null, s9, 0, s8
	v_readfirstlane_b32 s8, v1
	s_delay_alu instid0(VALU_DEP_2)
	v_readfirstlane_b32 s9, v2
	s_load_b32 s14, s[8:9], 0x600
	s_lshl_b64 s[8:9], s[6:7], 18
	s_waitcnt lgkmcnt(0)
	s_add_u32 s15, s4, s8
	s_addc_u32 s16, s5, s9
	s_and_b32 s12, s15, 15
	s_add_u32 s17, s2, s8
	s_addc_u32 s18, s3, s9
	s_and_b32 s19, s10, 3
	s_and_b32 s20, s17, 15
	s_or_b32 s12, s12, s19
	s_lshl_b64 s[6:7], s[6:7], 16
	s_or_b32 s12, s20, s12
	s_sub_u32 s6, s10, s6
	s_subb_u32 s7, s11, s7
	s_cmp_eq_u64 s[12:13], 0
	s_mov_b32 s10, -1
	s_cbranch_scc1 .LBB38_21
; %bb.1:
	v_cmp_lt_i64_e64 s10, s[6:7], 1
	s_delay_alu instid0(VALU_DEP_1)
	s_and_b32 vcc_lo, exec_lo, s10
	s_cbranch_vccnz .LBB38_20
; %bb.2:
	s_load_b32 s10, s[0:1], 0xd54
	v_dual_mov_b32 v10, 0 :: v_dual_lshlrev_b32 v9, 2, v0
	v_cmp_gt_u64_e64 s11, 0x10000, s[6:7]
	s_delay_alu instid0(VALU_DEP_2) | instskip(NEXT) | instid1(VALU_DEP_1)
	v_add_co_u32 v1, s12, s4, v9
	v_add_co_ci_u32_e64 v2, null, s5, 0, s12
	v_add_co_u32 v3, s12, s2, v9
	s_delay_alu instid0(VALU_DEP_1)
	v_add_co_ci_u32_e64 v4, null, s3, 0, s12
	s_waitcnt lgkmcnt(0)
	s_and_b32 s12, s10, 0xffff
	s_and_b32 s10, s11, exec_lo
	v_mad_u64_u32 v[7:8], null, s12, 12, v[9:10]
	s_cselect_b32 s11, s7, 0
	s_cselect_b32 s10, s6, 0x10000
	s_mul_i32 s19, s12, 3
	s_lshl_b32 s20, s12, 3
	s_lshl_b32 s13, s12, 1
	v_add_co_u32 v14, s20, s20, v9
	v_add_co_u32 v9, s19, s19, v0
	s_delay_alu instid0(VALU_DEP_1)
	v_add_co_ci_u32_e64 v10, null, 0, 0, s19
	v_add_co_u32 v13, s19, v0, s12
	v_add_co_u32 v5, vcc_lo, s4, v7
	v_add_co_ci_u32_e32 v6, vcc_lo, s5, v8, vcc_lo
	v_add_co_u32 v7, vcc_lo, s2, v7
	v_add_co_ci_u32_e64 v15, null, 0, 0, s20
	v_lshlrev_b32_e32 v21, 2, v13
	v_add_co_ci_u32_e32 v8, vcc_lo, s3, v8, vcc_lo
	v_add_co_u32 v11, vcc_lo, s4, v14
	s_delay_alu instid0(VALU_DEP_4)
	v_add_co_ci_u32_e32 v12, vcc_lo, s5, v15, vcc_lo
	v_add_co_u32 v14, vcc_lo, s2, v14
	v_add_co_u32 v17, s13, s13, v0
	v_add_co_u32 v19, s4, s4, v21
	;; [unrolled: 1-line block ×3, first 2 shown]
	v_add_co_ci_u32_e32 v15, vcc_lo, s3, v15, vcc_lo
	v_add_co_ci_u32_e64 v16, null, 0, 0, s19
	v_add_co_ci_u32_e64 v18, null, 0, 0, s13
	;; [unrolled: 1-line block ×4, first 2 shown]
	s_lshl_b32 s19, s12, 2
	s_lshl_b32 s20, s12, 4
	s_mov_b64 s[12:13], 0
	s_branch .LBB38_4
.LBB38_3:                               ;   in Loop: Header=BB38_4 Depth=1
	s_or_b32 exec_lo, exec_lo, s2
	v_add_co_u32 v1, vcc_lo, v1, s20
	v_add_co_ci_u32_e32 v2, vcc_lo, 0, v2, vcc_lo
	v_add_co_u32 v3, vcc_lo, v3, s20
	v_add_co_ci_u32_e32 v4, vcc_lo, 0, v4, vcc_lo
	;; [unrolled: 2-line block ×5, first 2 shown]
	s_add_u32 s12, s12, s19
	v_add_co_u32 v14, vcc_lo, v14, s20
	s_addc_u32 s13, s13, 0
	v_add_co_ci_u32_e32 v15, vcc_lo, 0, v15, vcc_lo
	v_cmp_lt_i64_e64 s2, s[12:13], s[6:7]
	v_cmp_gt_u64_e64 s3, 0x10000, s[12:13]
	v_add_co_u32 v19, vcc_lo, v19, s20
	v_add_co_ci_u32_e32 v20, vcc_lo, 0, v20, vcc_lo
	v_add_co_u32 v21, vcc_lo, v21, s20
	v_add_co_ci_u32_e32 v22, vcc_lo, 0, v22, vcc_lo
	s_and_b32 s2, s2, s3
	s_delay_alu instid0(SALU_CYCLE_1)
	s_and_b32 vcc_lo, exec_lo, s2
	s_cbranch_vccz .LBB38_20
.LBB38_4:                               ; =>This Inner Loop Header: Depth=1
	s_waitcnt vmcnt(0)
	v_add_co_u32 v23, s2, v0, s12
	s_delay_alu instid0(VALU_DEP_1) | instskip(NEXT) | instid1(VALU_DEP_1)
	v_add_co_ci_u32_e64 v24, null, 0, s13, s2
	v_cmp_gt_u64_e32 vcc_lo, s[10:11], v[23:24]
	v_mov_b32_e32 v23, 0
	s_and_saveexec_b32 s3, vcc_lo
	s_cbranch_execz .LBB38_6
; %bb.5:                                ;   in Loop: Header=BB38_4 Depth=1
	v_add_co_u32 v23, s2, v1, s8
	s_delay_alu instid0(VALU_DEP_1)
	v_add_co_ci_u32_e64 v24, s2, s9, v2, s2
	global_load_b32 v23, v[23:24], off
.LBB38_6:                               ;   in Loop: Header=BB38_4 Depth=1
	s_or_b32 exec_lo, exec_lo, s3
	v_add_co_u32 v24, s2, v13, s12
	s_delay_alu instid0(VALU_DEP_1) | instskip(NEXT) | instid1(VALU_DEP_1)
	v_add_co_ci_u32_e64 v25, s2, s13, v16, s2
	v_cmp_gt_u64_e64 s2, s[10:11], v[24:25]
	v_mov_b32_e32 v25, 0
	s_delay_alu instid0(VALU_DEP_2)
	s_and_saveexec_b32 s4, s2
	s_cbranch_execz .LBB38_8
; %bb.7:                                ;   in Loop: Header=BB38_4 Depth=1
	v_add_co_u32 v24, s3, v19, s8
	s_delay_alu instid0(VALU_DEP_1)
	v_add_co_ci_u32_e64 v25, s3, s9, v20, s3
	global_load_b32 v25, v[24:25], off
.LBB38_8:                               ;   in Loop: Header=BB38_4 Depth=1
	s_or_b32 exec_lo, exec_lo, s4
	v_add_co_u32 v26, s3, v17, s12
	s_delay_alu instid0(VALU_DEP_1) | instskip(SKIP_1) | instid1(VALU_DEP_2)
	v_add_co_ci_u32_e64 v27, s3, s13, v18, s3
	v_mov_b32_e32 v24, 0
	v_cmp_gt_u64_e64 s3, s[10:11], v[26:27]
	v_mov_b32_e32 v26, 0
	s_delay_alu instid0(VALU_DEP_2)
	s_and_saveexec_b32 s5, s3
	s_cbranch_execz .LBB38_10
; %bb.9:                                ;   in Loop: Header=BB38_4 Depth=1
	v_add_co_u32 v26, s4, v11, s8
	s_delay_alu instid0(VALU_DEP_1)
	v_add_co_ci_u32_e64 v27, s4, s9, v12, s4
	global_load_b32 v26, v[26:27], off
.LBB38_10:                              ;   in Loop: Header=BB38_4 Depth=1
	s_or_b32 exec_lo, exec_lo, s5
	v_add_co_u32 v27, s4, v9, s12
	s_delay_alu instid0(VALU_DEP_1) | instskip(NEXT) | instid1(VALU_DEP_1)
	v_add_co_ci_u32_e64 v28, s4, s13, v10, s4
	v_cmp_gt_u64_e64 s4, s[10:11], v[27:28]
	s_delay_alu instid0(VALU_DEP_1)
	s_and_saveexec_b32 s21, s4
	s_cbranch_execnz .LBB38_15
; %bb.11:                               ;   in Loop: Header=BB38_4 Depth=1
	s_or_b32 exec_lo, exec_lo, s21
	s_and_saveexec_b32 s5, vcc_lo
	s_cbranch_execnz .LBB38_16
.LBB38_12:                              ;   in Loop: Header=BB38_4 Depth=1
	s_or_b32 exec_lo, exec_lo, s5
	s_and_saveexec_b32 s5, s2
	s_cbranch_execnz .LBB38_17
.LBB38_13:                              ;   in Loop: Header=BB38_4 Depth=1
	s_or_b32 exec_lo, exec_lo, s5
	s_and_saveexec_b32 s2, s3
	s_cbranch_execnz .LBB38_18
.LBB38_14:                              ;   in Loop: Header=BB38_4 Depth=1
	s_or_b32 exec_lo, exec_lo, s2
	s_and_saveexec_b32 s2, s4
	s_cbranch_execz .LBB38_3
	s_branch .LBB38_19
.LBB38_15:                              ;   in Loop: Header=BB38_4 Depth=1
	v_add_co_u32 v27, s5, v5, s8
	s_delay_alu instid0(VALU_DEP_1)
	v_add_co_ci_u32_e64 v28, s5, s9, v6, s5
	global_load_b32 v24, v[27:28], off
	s_or_b32 exec_lo, exec_lo, s21
	s_and_saveexec_b32 s5, vcc_lo
	s_cbranch_execz .LBB38_12
.LBB38_16:                              ;   in Loop: Header=BB38_4 Depth=1
	s_waitcnt vmcnt(0)
	v_mul_lo_u32 v23, v23, s14
	v_add_co_u32 v27, vcc_lo, v3, s8
	v_add_co_ci_u32_e32 v28, vcc_lo, s9, v4, vcc_lo
	global_store_b32 v[27:28], v23, off
	s_or_b32 exec_lo, exec_lo, s5
	s_and_saveexec_b32 s5, s2
	s_cbranch_execz .LBB38_13
.LBB38_17:                              ;   in Loop: Header=BB38_4 Depth=1
	s_waitcnt vmcnt(0)
	v_mul_lo_u32 v23, v25, s14
	v_add_co_u32 v27, vcc_lo, v21, s8
	v_add_co_ci_u32_e32 v28, vcc_lo, s9, v22, vcc_lo
	global_store_b32 v[27:28], v23, off
	s_or_b32 exec_lo, exec_lo, s5
	s_and_saveexec_b32 s2, s3
	s_cbranch_execz .LBB38_14
.LBB38_18:                              ;   in Loop: Header=BB38_4 Depth=1
	s_waitcnt vmcnt(0)
	v_mul_lo_u32 v23, v26, s14
	v_add_co_u32 v25, vcc_lo, v14, s8
	v_add_co_ci_u32_e32 v26, vcc_lo, s9, v15, vcc_lo
	global_store_b32 v[25:26], v23, off
	s_or_b32 exec_lo, exec_lo, s2
	s_and_saveexec_b32 s2, s4
	s_cbranch_execz .LBB38_3
.LBB38_19:                              ;   in Loop: Header=BB38_4 Depth=1
	s_waitcnt vmcnt(0)
	v_mul_lo_u32 v25, v24, s14
	v_add_co_u32 v23, vcc_lo, v7, s8
	v_add_co_ci_u32_e32 v24, vcc_lo, s9, v8, vcc_lo
	global_store_b32 v[23:24], v25, off
	s_branch .LBB38_3
.LBB38_20:
	s_mov_b32 s10, 0
.LBB38_21:
	s_delay_alu instid0(SALU_CYCLE_1)
	s_and_not1_b32 vcc_lo, exec_lo, s10
	s_cbranch_vccnz .LBB38_25
; %bb.22:
	v_dual_mov_b32 v2, 0 :: v_dual_lshlrev_b32 v1, 2, v0
	s_mov_b32 s2, 0
	s_mov_b32 s3, exec_lo
	s_delay_alu instid0(VALU_DEP_1)
	v_cmpx_gt_i64_e64 s[6:7], v[1:2]
	s_cbranch_execz .LBB38_25
; %bb.23:
	s_load_b32 s0, s[0:1], 0xd54
	s_waitcnt lgkmcnt(0)
	s_and_b32 s0, s0, 0xffff
	s_delay_alu instid0(SALU_CYCLE_1)
	v_add_lshl_u32 v1, v0, s0, 2
	v_lshlrev_b32_e32 v0, 4, v0
	s_lshl_b32 s3, s0, 2
	s_lshl_b32 s4, s0, 4
	s_set_inst_prefetch_distance 0x1
	.p2align	6
.LBB38_24:                              ; =>This Inner Loop Header: Depth=1
	s_delay_alu instid0(VALU_DEP_1) | instskip(NEXT) | instid1(VALU_DEP_1)
	v_add_co_u32 v3, s0, s15, v0
	v_add_co_ci_u32_e64 v4, null, s16, 0, s0
	v_cmp_le_i64_e32 vcc_lo, s[6:7], v[1:2]
	v_cmp_lt_u64_e64 s0, 0xffff, v[1:2]
	v_add_co_u32 v7, s1, s17, v0
	global_load_b128 v[3:6], v[3:4], off
	v_add_co_ci_u32_e64 v8, null, s18, 0, s1
	s_or_b32 s0, vcc_lo, s0
	s_add_u32 s15, s15, s4
	v_add_co_u32 v1, s1, v1, s3
	s_addc_u32 s16, s16, 0
	s_add_u32 s17, s17, s4
	v_add_co_ci_u32_e64 v2, s1, 0, v2, s1
	s_addc_u32 s18, s18, 0
	s_and_b32 s0, exec_lo, s0
	s_delay_alu instid0(SALU_CYCLE_1)
	s_or_b32 s2, s0, s2
	s_waitcnt vmcnt(0)
	v_mul_lo_u32 v3, v3, s14
	v_mul_lo_u32 v4, v4, s14
	;; [unrolled: 1-line block ×4, first 2 shown]
	global_store_b128 v[7:8], v[3:6], off
	s_and_not1_b32 exec_lo, exec_lo, s2
	s_cbranch_execnz .LBB38_24
.LBB38_25:
	s_set_inst_prefetch_distance 0x2
	s_nop 0
	s_sendmsg sendmsg(MSG_DEALLOC_VGPRS)
	s_endpgm
	.section	.rodata,"a",@progbits
	.p2align	6, 0x0
	.amdhsa_kernel _ZN2at6native12_GLOBAL__N_125multi_tensor_apply_kernelINS1_28TensorListScalarListMetadataIiLi2EEENS1_25BinaryOpScalarListFunctorIiLi2ELi1ELi1EEEJSt10multipliesIiEEEEvT_T0_DpT1_
		.amdhsa_group_segment_fixed_size 0
		.amdhsa_private_segment_fixed_size 0
		.amdhsa_kernarg_size 3656
		.amdhsa_user_sgpr_count 15
		.amdhsa_user_sgpr_dispatch_ptr 0
		.amdhsa_user_sgpr_queue_ptr 0
		.amdhsa_user_sgpr_kernarg_segment_ptr 1
		.amdhsa_user_sgpr_dispatch_id 0
		.amdhsa_user_sgpr_private_segment_size 0
		.amdhsa_wavefront_size32 1
		.amdhsa_uses_dynamic_stack 0
		.amdhsa_enable_private_segment 0
		.amdhsa_system_sgpr_workgroup_id_x 1
		.amdhsa_system_sgpr_workgroup_id_y 0
		.amdhsa_system_sgpr_workgroup_id_z 0
		.amdhsa_system_sgpr_workgroup_info 0
		.amdhsa_system_vgpr_workitem_id 0
		.amdhsa_next_free_vgpr 29
		.amdhsa_next_free_sgpr 22
		.amdhsa_reserve_vcc 1
		.amdhsa_float_round_mode_32 0
		.amdhsa_float_round_mode_16_64 0
		.amdhsa_float_denorm_mode_32 3
		.amdhsa_float_denorm_mode_16_64 3
		.amdhsa_dx10_clamp 1
		.amdhsa_ieee_mode 1
		.amdhsa_fp16_overflow 0
		.amdhsa_workgroup_processor_mode 1
		.amdhsa_memory_ordered 1
		.amdhsa_forward_progress 0
		.amdhsa_shared_vgpr_count 0
		.amdhsa_exception_fp_ieee_invalid_op 0
		.amdhsa_exception_fp_denorm_src 0
		.amdhsa_exception_fp_ieee_div_zero 0
		.amdhsa_exception_fp_ieee_overflow 0
		.amdhsa_exception_fp_ieee_underflow 0
		.amdhsa_exception_fp_ieee_inexact 0
		.amdhsa_exception_int_div_zero 0
	.end_amdhsa_kernel
	.section	.text._ZN2at6native12_GLOBAL__N_125multi_tensor_apply_kernelINS1_28TensorListScalarListMetadataIiLi2EEENS1_25BinaryOpScalarListFunctorIiLi2ELi1ELi1EEEJSt10multipliesIiEEEEvT_T0_DpT1_,"axG",@progbits,_ZN2at6native12_GLOBAL__N_125multi_tensor_apply_kernelINS1_28TensorListScalarListMetadataIiLi2EEENS1_25BinaryOpScalarListFunctorIiLi2ELi1ELi1EEEJSt10multipliesIiEEEEvT_T0_DpT1_,comdat
.Lfunc_end38:
	.size	_ZN2at6native12_GLOBAL__N_125multi_tensor_apply_kernelINS1_28TensorListScalarListMetadataIiLi2EEENS1_25BinaryOpScalarListFunctorIiLi2ELi1ELi1EEEJSt10multipliesIiEEEEvT_T0_DpT1_, .Lfunc_end38-_ZN2at6native12_GLOBAL__N_125multi_tensor_apply_kernelINS1_28TensorListScalarListMetadataIiLi2EEENS1_25BinaryOpScalarListFunctorIiLi2ELi1ELi1EEEJSt10multipliesIiEEEEvT_T0_DpT1_
                                        ; -- End function
	.section	.AMDGPU.csdata,"",@progbits
; Kernel info:
; codeLenInByte = 1472
; NumSgprs: 24
; NumVgprs: 29
; ScratchSize: 0
; MemoryBound: 0
; FloatMode: 240
; IeeeMode: 1
; LDSByteSize: 0 bytes/workgroup (compile time only)
; SGPRBlocks: 2
; VGPRBlocks: 3
; NumSGPRsForWavesPerEU: 24
; NumVGPRsForWavesPerEU: 29
; Occupancy: 16
; WaveLimiterHint : 0
; COMPUTE_PGM_RSRC2:SCRATCH_EN: 0
; COMPUTE_PGM_RSRC2:USER_SGPR: 15
; COMPUTE_PGM_RSRC2:TRAP_HANDLER: 0
; COMPUTE_PGM_RSRC2:TGID_X_EN: 1
; COMPUTE_PGM_RSRC2:TGID_Y_EN: 0
; COMPUTE_PGM_RSRC2:TGID_Z_EN: 0
; COMPUTE_PGM_RSRC2:TIDIG_COMP_CNT: 0
	.section	.text._ZN2at6native12_GLOBAL__N_125multi_tensor_apply_kernelINS1_28TensorListScalarListMetadataIlLi2EEENS1_25BinaryOpScalarListFunctorIlLi2ELi1ELi1EEEJSt10multipliesIlEEEEvT_T0_DpT1_,"axG",@progbits,_ZN2at6native12_GLOBAL__N_125multi_tensor_apply_kernelINS1_28TensorListScalarListMetadataIlLi2EEENS1_25BinaryOpScalarListFunctorIlLi2ELi1ELi1EEEJSt10multipliesIlEEEEvT_T0_DpT1_,comdat
	.globl	_ZN2at6native12_GLOBAL__N_125multi_tensor_apply_kernelINS1_28TensorListScalarListMetadataIlLi2EEENS1_25BinaryOpScalarListFunctorIlLi2ELi1ELi1EEEJSt10multipliesIlEEEEvT_T0_DpT1_ ; -- Begin function _ZN2at6native12_GLOBAL__N_125multi_tensor_apply_kernelINS1_28TensorListScalarListMetadataIlLi2EEENS1_25BinaryOpScalarListFunctorIlLi2ELi1ELi1EEEJSt10multipliesIlEEEEvT_T0_DpT1_
	.p2align	8
	.type	_ZN2at6native12_GLOBAL__N_125multi_tensor_apply_kernelINS1_28TensorListScalarListMetadataIlLi2EEENS1_25BinaryOpScalarListFunctorIlLi2ELi1ELi1EEEJSt10multipliesIlEEEEvT_T0_DpT1_,@function
_ZN2at6native12_GLOBAL__N_125multi_tensor_apply_kernelINS1_28TensorListScalarListMetadataIlLi2EEENS1_25BinaryOpScalarListFunctorIlLi2ELi1ELi1EEEJSt10multipliesIlEEEEvT_T0_DpT1_: ; @_ZN2at6native12_GLOBAL__N_125multi_tensor_apply_kernelINS1_28TensorListScalarListMetadataIlLi2EEENS1_25BinaryOpScalarListFunctorIlLi2ELi1ELi1EEEJSt10multipliesIlEEEEvT_T0_DpT1_
; %bb.0:
	v_mov_b32_e32 v1, s15
	s_add_u32 s2, s0, s15
	s_mul_hi_u32 s3, s15, 3
	s_mul_i32 s15, s15, 3
	s_addc_u32 s4, s1, 0
	global_load_u8 v1, v1, s[0:1] offset:2048
	s_add_u32 s2, s2, s15
	s_addc_u32 s3, s4, s3
	s_mov_b32 s15, 0
	s_load_b32 s8, s[2:3], 0x940
	s_mov_b32 s21, s15
	s_mov_b32 s23, s15
	s_waitcnt vmcnt(0)
	v_readfirstlane_b32 s2, v1
	s_delay_alu instid0(VALU_DEP_1)
	s_lshl_b32 s9, s2, 3
	s_clause 0x3
	s_load_b64 s[2:3], s[0:1], s9 offset:0x0
	s_load_b64 s[6:7], s[0:1], s9 offset:0x600
	;; [unrolled: 1-line block ×4, first 2 shown]
	s_waitcnt lgkmcnt(0)
	s_ashr_i32 s9, s8, 31
	s_delay_alu instid0(SALU_CYCLE_1) | instskip(NEXT) | instid1(SALU_CYCLE_1)
	s_lshl_b64 s[10:11], s[8:9], 19
	s_add_u32 s16, s2, s10
	s_addc_u32 s17, s3, s11
	s_and_b32 s14, s16, 31
	s_add_u32 s18, s4, s10
	s_addc_u32 s19, s5, s11
	s_and_b32 s20, s12, 3
	s_and_b32 s22, s18, 31
	s_or_b64 s[14:15], s[14:15], s[20:21]
	s_lshl_b64 s[8:9], s[8:9], 16
	s_or_b64 s[14:15], s[22:23], s[14:15]
	s_sub_u32 s8, s12, s8
	s_subb_u32 s9, s13, s9
	s_cmp_eq_u64 s[14:15], 0
	s_mov_b32 s12, -1
	s_cbranch_scc1 .LBB39_21
; %bb.1:
	v_cmp_lt_i64_e64 s12, s[8:9], 1
	s_delay_alu instid0(VALU_DEP_1)
	s_and_b32 vcc_lo, exec_lo, s12
	s_cbranch_vccnz .LBB39_20
; %bb.2:
	s_load_b32 s12, s[0:1], 0xe54
	v_dual_mov_b32 v2, 0 :: v_dual_lshlrev_b32 v1, 3, v0
	v_cmp_gt_u64_e64 s13, 0x10000, s[8:9]
	s_delay_alu instid0(VALU_DEP_2) | instskip(NEXT) | instid1(VALU_DEP_1)
	v_add_co_u32 v9, s14, s2, v1
	v_add_co_ci_u32_e64 v10, null, s3, 0, s14
	v_add_co_u32 v11, s14, s4, v1
	s_delay_alu instid0(VALU_DEP_1)
	v_add_co_ci_u32_e64 v12, null, s5, 0, s14
	s_waitcnt lgkmcnt(0)
	s_and_b32 s14, s12, 0xffff
	s_and_b32 s12, s13, exec_lo
	v_mad_u64_u32 v[3:4], null, s14, 24, v[1:2]
	s_cselect_b32 s13, s9, 0
	s_cselect_b32 s12, s8, 0x10000
	s_lshl_b32 s21, s14, 4
	s_mul_i32 s20, s14, 3
	v_add_co_u32 v1, s21, s21, v1
	s_delay_alu instid0(VALU_DEP_2) | instskip(NEXT) | instid1(VALU_DEP_3)
	v_add_co_u32 v13, vcc_lo, s2, v3
	v_add_co_ci_u32_e32 v14, vcc_lo, s3, v4, vcc_lo
	v_add_co_u32 v17, s20, s20, v0
	v_add_co_u32 v15, vcc_lo, s4, v3
	v_add_co_ci_u32_e64 v2, null, 0, 0, s21
	v_add_co_ci_u32_e64 v18, null, 0, 0, s20
	v_add_co_u32 v21, s20, v0, s14
	v_add_co_ci_u32_e32 v16, vcc_lo, s5, v4, vcc_lo
	v_add_co_u32 v19, vcc_lo, s2, v1
	v_add_co_ci_u32_e32 v20, vcc_lo, s3, v2, vcc_lo
	v_add_co_u32 v22, vcc_lo, s4, v1
	v_lshlrev_b32_e32 v1, 3, v21
	s_lshl_b32 s15, s14, 1
	v_add_co_ci_u32_e32 v23, vcc_lo, s5, v2, vcc_lo
	v_add_co_u32 v25, s15, s15, v0
	s_delay_alu instid0(VALU_DEP_3) | instskip(NEXT) | instid1(VALU_DEP_1)
	v_add_co_u32 v27, s2, s2, v1
	v_add_co_ci_u32_e64 v28, null, s3, 0, s2
	v_add_co_u32 v29, s2, s4, v1
	v_add_co_ci_u32_e64 v24, null, 0, 0, s20
	v_add_co_ci_u32_e64 v26, null, 0, 0, s15
	;; [unrolled: 1-line block ×3, first 2 shown]
	s_lshl_b32 s20, s14, 2
	s_lshl_b32 s21, s14, 5
	s_mov_b64 s[14:15], 0
	s_branch .LBB39_4
.LBB39_3:                               ;   in Loop: Header=BB39_4 Depth=1
	s_or_b32 exec_lo, exec_lo, s2
	v_add_co_u32 v9, vcc_lo, v9, s21
	v_add_co_ci_u32_e32 v10, vcc_lo, 0, v10, vcc_lo
	v_add_co_u32 v11, vcc_lo, v11, s21
	v_add_co_ci_u32_e32 v12, vcc_lo, 0, v12, vcc_lo
	v_add_co_u32 v13, vcc_lo, v13, s21
	v_add_co_ci_u32_e32 v14, vcc_lo, 0, v14, vcc_lo
	v_add_co_u32 v15, vcc_lo, v15, s21
	v_add_co_ci_u32_e32 v16, vcc_lo, 0, v16, vcc_lo
	v_add_co_u32 v19, vcc_lo, v19, s21
	v_add_co_ci_u32_e32 v20, vcc_lo, 0, v20, vcc_lo
	s_add_u32 s14, s14, s20
	v_add_co_u32 v22, vcc_lo, v22, s21
	s_addc_u32 s15, s15, 0
	v_add_co_ci_u32_e32 v23, vcc_lo, 0, v23, vcc_lo
	v_cmp_lt_i64_e64 s2, s[14:15], s[8:9]
	v_cmp_gt_u64_e64 s3, 0x10000, s[14:15]
	v_add_co_u32 v27, vcc_lo, v27, s21
	v_add_co_ci_u32_e32 v28, vcc_lo, 0, v28, vcc_lo
	v_add_co_u32 v29, vcc_lo, v29, s21
	v_add_co_ci_u32_e32 v30, vcc_lo, 0, v30, vcc_lo
	s_and_b32 s2, s2, s3
	s_delay_alu instid0(SALU_CYCLE_1)
	s_and_b32 vcc_lo, exec_lo, s2
	s_cbranch_vccz .LBB39_20
.LBB39_4:                               ; =>This Inner Loop Header: Depth=1
	s_waitcnt vmcnt(0)
	v_add_co_u32 v3, s2, v0, s14
	s_delay_alu instid0(VALU_DEP_1) | instskip(SKIP_2) | instid1(VALU_DEP_3)
	v_add_co_ci_u32_e64 v4, null, 0, s15, s2
	v_mov_b32_e32 v1, 0
	v_mov_b32_e32 v2, 0
	v_cmp_gt_u64_e32 vcc_lo, s[12:13], v[3:4]
	s_delay_alu instid0(VALU_DEP_2)
	v_dual_mov_b32 v6, v2 :: v_dual_mov_b32 v5, v1
	s_and_saveexec_b32 s3, vcc_lo
	s_cbranch_execz .LBB39_6
; %bb.5:                                ;   in Loop: Header=BB39_4 Depth=1
	v_add_co_u32 v3, s2, v9, s10
	s_delay_alu instid0(VALU_DEP_1)
	v_add_co_ci_u32_e64 v4, s2, s11, v10, s2
	global_load_b64 v[5:6], v[3:4], off
.LBB39_6:                               ;   in Loop: Header=BB39_4 Depth=1
	s_or_b32 exec_lo, exec_lo, s3
	v_add_co_u32 v3, s2, v21, s14
	s_delay_alu instid0(VALU_DEP_1) | instskip(NEXT) | instid1(VALU_DEP_1)
	v_add_co_ci_u32_e64 v4, s2, s15, v24, s2
	v_cmp_gt_u64_e64 s2, s[12:13], v[3:4]
	s_delay_alu instid0(VALU_DEP_1)
	s_and_saveexec_b32 s4, s2
	s_cbranch_execz .LBB39_8
; %bb.7:                                ;   in Loop: Header=BB39_4 Depth=1
	v_add_co_u32 v1, s3, v27, s10
	s_delay_alu instid0(VALU_DEP_1)
	v_add_co_ci_u32_e64 v2, s3, s11, v28, s3
	global_load_b64 v[1:2], v[1:2], off
.LBB39_8:                               ;   in Loop: Header=BB39_4 Depth=1
	s_or_b32 exec_lo, exec_lo, s4
	v_add_co_u32 v7, s3, v25, s14
	s_delay_alu instid0(VALU_DEP_1) | instskip(SKIP_2) | instid1(VALU_DEP_3)
	v_add_co_ci_u32_e64 v8, s3, s15, v26, s3
	v_mov_b32_e32 v3, 0
	v_mov_b32_e32 v4, 0
	v_cmp_gt_u64_e64 s3, s[12:13], v[7:8]
	s_delay_alu instid0(VALU_DEP_2) | instskip(NEXT) | instid1(VALU_DEP_2)
	v_dual_mov_b32 v8, v4 :: v_dual_mov_b32 v7, v3
	s_and_saveexec_b32 s5, s3
	s_cbranch_execz .LBB39_10
; %bb.9:                                ;   in Loop: Header=BB39_4 Depth=1
	v_add_co_u32 v7, s4, v19, s10
	s_delay_alu instid0(VALU_DEP_1)
	v_add_co_ci_u32_e64 v8, s4, s11, v20, s4
	global_load_b64 v[7:8], v[7:8], off
.LBB39_10:                              ;   in Loop: Header=BB39_4 Depth=1
	s_or_b32 exec_lo, exec_lo, s5
	v_add_co_u32 v31, s4, v17, s14
	s_delay_alu instid0(VALU_DEP_1) | instskip(NEXT) | instid1(VALU_DEP_1)
	v_add_co_ci_u32_e64 v32, s4, s15, v18, s4
	v_cmp_gt_u64_e64 s4, s[12:13], v[31:32]
	s_delay_alu instid0(VALU_DEP_1)
	s_and_saveexec_b32 s22, s4
	s_cbranch_execnz .LBB39_15
; %bb.11:                               ;   in Loop: Header=BB39_4 Depth=1
	s_or_b32 exec_lo, exec_lo, s22
	s_and_saveexec_b32 s5, vcc_lo
	s_cbranch_execnz .LBB39_16
.LBB39_12:                              ;   in Loop: Header=BB39_4 Depth=1
	s_or_b32 exec_lo, exec_lo, s5
	s_and_saveexec_b32 s5, s2
	s_cbranch_execnz .LBB39_17
.LBB39_13:                              ;   in Loop: Header=BB39_4 Depth=1
	s_or_b32 exec_lo, exec_lo, s5
	s_and_saveexec_b32 s2, s3
	s_cbranch_execnz .LBB39_18
.LBB39_14:                              ;   in Loop: Header=BB39_4 Depth=1
	s_or_b32 exec_lo, exec_lo, s2
	s_and_saveexec_b32 s2, s4
	s_cbranch_execz .LBB39_3
	s_branch .LBB39_19
.LBB39_15:                              ;   in Loop: Header=BB39_4 Depth=1
	v_add_co_u32 v3, s5, v13, s10
	s_delay_alu instid0(VALU_DEP_1)
	v_add_co_ci_u32_e64 v4, s5, s11, v14, s5
	global_load_b64 v[3:4], v[3:4], off
	s_or_b32 exec_lo, exec_lo, s22
	s_and_saveexec_b32 s5, vcc_lo
	s_cbranch_execz .LBB39_12
.LBB39_16:                              ;   in Loop: Header=BB39_4 Depth=1
	s_waitcnt vmcnt(0)
	v_mul_lo_u32 v33, v6, s6
	v_mul_lo_u32 v34, v5, s7
	v_mad_u64_u32 v[31:32], null, v5, s6, 0
	v_add_co_u32 v5, vcc_lo, v11, s10
	v_add_co_ci_u32_e32 v6, vcc_lo, s11, v12, vcc_lo
	s_delay_alu instid0(VALU_DEP_3)
	v_add3_u32 v32, v32, v34, v33
	global_store_b64 v[5:6], v[31:32], off
	s_or_b32 exec_lo, exec_lo, s5
	s_and_saveexec_b32 s5, s2
	s_cbranch_execz .LBB39_13
.LBB39_17:                              ;   in Loop: Header=BB39_4 Depth=1
	s_waitcnt vmcnt(0)
	v_mul_lo_u32 v2, v2, s6
	v_mul_lo_u32 v31, v1, s7
	v_mad_u64_u32 v[5:6], null, v1, s6, 0
	v_add_co_u32 v1, vcc_lo, v29, s10
	s_delay_alu instid0(VALU_DEP_2)
	v_add3_u32 v6, v6, v31, v2
	v_add_co_ci_u32_e32 v2, vcc_lo, s11, v30, vcc_lo
	global_store_b64 v[1:2], v[5:6], off
	s_or_b32 exec_lo, exec_lo, s5
	s_and_saveexec_b32 s2, s3
	s_cbranch_execz .LBB39_14
.LBB39_18:                              ;   in Loop: Header=BB39_4 Depth=1
	s_waitcnt vmcnt(0)
	v_mul_lo_u32 v5, v8, s6
	v_mul_lo_u32 v6, v7, s7
	v_mad_u64_u32 v[1:2], null, v7, s6, 0
	s_delay_alu instid0(VALU_DEP_1)
	v_add3_u32 v2, v2, v6, v5
	v_add_co_u32 v5, vcc_lo, v22, s10
	v_add_co_ci_u32_e32 v6, vcc_lo, s11, v23, vcc_lo
	global_store_b64 v[5:6], v[1:2], off
	s_or_b32 exec_lo, exec_lo, s2
	s_and_saveexec_b32 s2, s4
	s_cbranch_execz .LBB39_3
.LBB39_19:                              ;   in Loop: Header=BB39_4 Depth=1
	s_waitcnt vmcnt(0)
	v_mul_lo_u32 v4, v4, s6
	v_mul_lo_u32 v5, v3, s7
	v_mad_u64_u32 v[1:2], null, v3, s6, 0
	v_add_co_u32 v3, vcc_lo, v15, s10
	s_delay_alu instid0(VALU_DEP_2)
	v_add3_u32 v2, v2, v5, v4
	v_add_co_ci_u32_e32 v4, vcc_lo, s11, v16, vcc_lo
	global_store_b64 v[3:4], v[1:2], off
	s_branch .LBB39_3
.LBB39_20:
	s_mov_b32 s12, 0
.LBB39_21:
	s_delay_alu instid0(SALU_CYCLE_1)
	s_and_not1_b32 vcc_lo, exec_lo, s12
	s_cbranch_vccnz .LBB39_25
; %bb.22:
	s_waitcnt vmcnt(0)
	v_dual_mov_b32 v2, 0 :: v_dual_lshlrev_b32 v1, 2, v0
	s_mov_b32 s2, 0
	s_mov_b32 s3, exec_lo
	s_delay_alu instid0(VALU_DEP_1)
	v_cmpx_gt_i64_e64 s[8:9], v[1:2]
	s_cbranch_execz .LBB39_25
; %bb.23:
	s_load_b32 s0, s[0:1], 0xe54
	s_waitcnt lgkmcnt(0)
	s_and_b32 s0, s0, 0xffff
	s_delay_alu instid0(SALU_CYCLE_1)
	v_add_lshl_u32 v1, v0, s0, 2
	v_lshlrev_b32_e32 v0, 5, v0
	s_lshl_b32 s3, s0, 2
	s_lshl_b32 s4, s0, 5
.LBB39_24:                              ; =>This Inner Loop Header: Depth=1
	s_delay_alu instid0(VALU_DEP_1) | instskip(NEXT) | instid1(VALU_DEP_1)
	v_add_co_u32 v7, s0, s16, v0
	v_add_co_ci_u32_e64 v8, null, s17, 0, s0
	v_cmp_le_i64_e32 vcc_lo, s[8:9], v[1:2]
	v_cmp_lt_u64_e64 s0, 0xffff, v[1:2]
	v_add_co_u32 v15, s1, s18, v0
	s_clause 0x1
	global_load_b128 v[3:6], v[7:8], off
	global_load_b128 v[7:10], v[7:8], off offset:16
	v_add_co_ci_u32_e64 v16, null, s19, 0, s1
	s_or_b32 s0, vcc_lo, s0
	s_add_u32 s16, s16, s4
	v_add_co_u32 v1, s1, v1, s3
	s_addc_u32 s17, s17, 0
	s_add_u32 s18, s18, s4
	v_add_co_ci_u32_e64 v2, s1, 0, v2, s1
	s_addc_u32 s19, s19, 0
	s_and_b32 s0, exec_lo, s0
	s_delay_alu instid0(SALU_CYCLE_1)
	s_or_b32 s2, s0, s2
	s_waitcnt vmcnt(1)
	v_mul_lo_u32 v17, v4, s6
	v_mul_lo_u32 v18, v3, s7
	v_mad_u64_u32 v[11:12], null, v3, s6, 0
	v_mul_lo_u32 v19, v6, s6
	v_mul_lo_u32 v20, v5, s7
	v_mad_u64_u32 v[13:14], null, v5, s6, 0
	s_waitcnt vmcnt(0)
	v_mul_lo_u32 v8, v8, s6
	v_mul_lo_u32 v21, v7, s7
	v_mad_u64_u32 v[3:4], null, v7, s6, 0
	v_mul_lo_u32 v7, v10, s6
	v_mul_lo_u32 v10, v9, s7
	v_mad_u64_u32 v[5:6], null, v9, s6, 0
	v_add3_u32 v12, v12, v18, v17
	v_add3_u32 v14, v14, v20, v19
	;; [unrolled: 1-line block ×3, first 2 shown]
	s_delay_alu instid0(VALU_DEP_4)
	v_add3_u32 v6, v6, v10, v7
	s_clause 0x1
	global_store_b128 v[15:16], v[11:14], off
	global_store_b128 v[15:16], v[3:6], off offset:16
	s_and_not1_b32 exec_lo, exec_lo, s2
	s_cbranch_execnz .LBB39_24
.LBB39_25:
	s_nop 0
	s_sendmsg sendmsg(MSG_DEALLOC_VGPRS)
	s_endpgm
	.section	.rodata,"a",@progbits
	.p2align	6, 0x0
	.amdhsa_kernel _ZN2at6native12_GLOBAL__N_125multi_tensor_apply_kernelINS1_28TensorListScalarListMetadataIlLi2EEENS1_25BinaryOpScalarListFunctorIlLi2ELi1ELi1EEEJSt10multipliesIlEEEEvT_T0_DpT1_
		.amdhsa_group_segment_fixed_size 0
		.amdhsa_private_segment_fixed_size 0
		.amdhsa_kernarg_size 3912
		.amdhsa_user_sgpr_count 15
		.amdhsa_user_sgpr_dispatch_ptr 0
		.amdhsa_user_sgpr_queue_ptr 0
		.amdhsa_user_sgpr_kernarg_segment_ptr 1
		.amdhsa_user_sgpr_dispatch_id 0
		.amdhsa_user_sgpr_private_segment_size 0
		.amdhsa_wavefront_size32 1
		.amdhsa_uses_dynamic_stack 0
		.amdhsa_enable_private_segment 0
		.amdhsa_system_sgpr_workgroup_id_x 1
		.amdhsa_system_sgpr_workgroup_id_y 0
		.amdhsa_system_sgpr_workgroup_id_z 0
		.amdhsa_system_sgpr_workgroup_info 0
		.amdhsa_system_vgpr_workitem_id 0
		.amdhsa_next_free_vgpr 35
		.amdhsa_next_free_sgpr 24
		.amdhsa_reserve_vcc 1
		.amdhsa_float_round_mode_32 0
		.amdhsa_float_round_mode_16_64 0
		.amdhsa_float_denorm_mode_32 3
		.amdhsa_float_denorm_mode_16_64 3
		.amdhsa_dx10_clamp 1
		.amdhsa_ieee_mode 1
		.amdhsa_fp16_overflow 0
		.amdhsa_workgroup_processor_mode 1
		.amdhsa_memory_ordered 1
		.amdhsa_forward_progress 0
		.amdhsa_shared_vgpr_count 0
		.amdhsa_exception_fp_ieee_invalid_op 0
		.amdhsa_exception_fp_denorm_src 0
		.amdhsa_exception_fp_ieee_div_zero 0
		.amdhsa_exception_fp_ieee_overflow 0
		.amdhsa_exception_fp_ieee_underflow 0
		.amdhsa_exception_fp_ieee_inexact 0
		.amdhsa_exception_int_div_zero 0
	.end_amdhsa_kernel
	.section	.text._ZN2at6native12_GLOBAL__N_125multi_tensor_apply_kernelINS1_28TensorListScalarListMetadataIlLi2EEENS1_25BinaryOpScalarListFunctorIlLi2ELi1ELi1EEEJSt10multipliesIlEEEEvT_T0_DpT1_,"axG",@progbits,_ZN2at6native12_GLOBAL__N_125multi_tensor_apply_kernelINS1_28TensorListScalarListMetadataIlLi2EEENS1_25BinaryOpScalarListFunctorIlLi2ELi1ELi1EEEJSt10multipliesIlEEEEvT_T0_DpT1_,comdat
.Lfunc_end39:
	.size	_ZN2at6native12_GLOBAL__N_125multi_tensor_apply_kernelINS1_28TensorListScalarListMetadataIlLi2EEENS1_25BinaryOpScalarListFunctorIlLi2ELi1ELi1EEEJSt10multipliesIlEEEEvT_T0_DpT1_, .Lfunc_end39-_ZN2at6native12_GLOBAL__N_125multi_tensor_apply_kernelINS1_28TensorListScalarListMetadataIlLi2EEENS1_25BinaryOpScalarListFunctorIlLi2ELi1ELi1EEEJSt10multipliesIlEEEEvT_T0_DpT1_
                                        ; -- End function
	.section	.AMDGPU.csdata,"",@progbits
; Kernel info:
; codeLenInByte = 1692
; NumSgprs: 26
; NumVgprs: 35
; ScratchSize: 0
; MemoryBound: 0
; FloatMode: 240
; IeeeMode: 1
; LDSByteSize: 0 bytes/workgroup (compile time only)
; SGPRBlocks: 3
; VGPRBlocks: 4
; NumSGPRsForWavesPerEU: 26
; NumVGPRsForWavesPerEU: 35
; Occupancy: 16
; WaveLimiterHint : 1
; COMPUTE_PGM_RSRC2:SCRATCH_EN: 0
; COMPUTE_PGM_RSRC2:USER_SGPR: 15
; COMPUTE_PGM_RSRC2:TRAP_HANDLER: 0
; COMPUTE_PGM_RSRC2:TGID_X_EN: 1
; COMPUTE_PGM_RSRC2:TGID_Y_EN: 0
; COMPUTE_PGM_RSRC2:TGID_Z_EN: 0
; COMPUTE_PGM_RSRC2:TIDIG_COMP_CNT: 0
	.section	.text._ZN2at6native12_GLOBAL__N_125multi_tensor_apply_kernelINS1_28TensorListScalarListMetadataIsLi2EEENS1_25BinaryOpScalarListFunctorIsLi2ELi1ELi1EEEJSt10multipliesIsEEEEvT_T0_DpT1_,"axG",@progbits,_ZN2at6native12_GLOBAL__N_125multi_tensor_apply_kernelINS1_28TensorListScalarListMetadataIsLi2EEENS1_25BinaryOpScalarListFunctorIsLi2ELi1ELi1EEEJSt10multipliesIsEEEEvT_T0_DpT1_,comdat
	.globl	_ZN2at6native12_GLOBAL__N_125multi_tensor_apply_kernelINS1_28TensorListScalarListMetadataIsLi2EEENS1_25BinaryOpScalarListFunctorIsLi2ELi1ELi1EEEJSt10multipliesIsEEEEvT_T0_DpT1_ ; -- Begin function _ZN2at6native12_GLOBAL__N_125multi_tensor_apply_kernelINS1_28TensorListScalarListMetadataIsLi2EEENS1_25BinaryOpScalarListFunctorIsLi2ELi1ELi1EEEJSt10multipliesIsEEEEvT_T0_DpT1_
	.p2align	8
	.type	_ZN2at6native12_GLOBAL__N_125multi_tensor_apply_kernelINS1_28TensorListScalarListMetadataIsLi2EEENS1_25BinaryOpScalarListFunctorIsLi2ELi1ELi1EEEJSt10multipliesIsEEEEvT_T0_DpT1_,@function
_ZN2at6native12_GLOBAL__N_125multi_tensor_apply_kernelINS1_28TensorListScalarListMetadataIsLi2EEENS1_25BinaryOpScalarListFunctorIsLi2ELi1ELi1EEEJSt10multipliesIsEEEEvT_T0_DpT1_: ; @_ZN2at6native12_GLOBAL__N_125multi_tensor_apply_kernelINS1_28TensorListScalarListMetadataIsLi2EEENS1_25BinaryOpScalarListFunctorIsLi2ELi1ELi1EEEJSt10multipliesIsEEEEvT_T0_DpT1_
; %bb.0:
	v_mov_b32_e32 v1, s15
	s_add_u32 s2, s0, s15
	s_mul_hi_u32 s3, s15, 3
	s_mul_i32 s15, s15, 3
	s_addc_u32 s4, s1, 0
	global_load_u8 v1, v1, s[0:1] offset:1664
	s_add_u32 s2, s2, s15
	s_addc_u32 s3, s4, s3
	s_mov_b32 s15, 0
	s_load_b32 s2, s[2:3], 0x7c0
	s_waitcnt vmcnt(0)
	v_readfirstlane_b32 s3, v1
	v_mul_lo_u32 v2, v1, -6
	v_mul_hi_i32 v3, v1, -6
	s_delay_alu instid0(VALU_DEP_3) | instskip(SKIP_4) | instid1(VALU_DEP_2)
	s_lshl_b32 s8, s3, 3
	s_waitcnt lgkmcnt(0)
	s_ashr_i32 s3, s2, 31
	s_add_u32 s6, s0, s8
	s_addc_u32 s7, s1, 0
	v_add_co_u32 v1, vcc_lo, s6, v2
	s_delay_alu instid0(VALU_DEP_2)
	v_add_co_ci_u32_e32 v2, vcc_lo, s7, v3, vcc_lo
	s_load_b64 s[4:5], s[0:1], s8 offset:0x400
	s_lshl_b64 s[12:13], s[2:3], 17
	s_lshl_b64 s[2:3], s[2:3], 16
	global_load_u16 v3, v[1:2], off offset:1536
	s_clause 0x1
	s_load_b64 s[6:7], s[0:1], s8 offset:0x0
	s_load_b64 s[8:9], s[0:1], s8 offset:0x200
	s_waitcnt lgkmcnt(0)
	s_and_b32 s11, s4, 3
	s_and_b32 s10, s6, 7
	;; [unrolled: 1-line block ×3, first 2 shown]
	s_or_b32 s10, s10, s11
	s_delay_alu instid0(SALU_CYCLE_1)
	s_or_b32 s14, s14, s10
	s_sub_u32 s10, s4, s2
	s_subb_u32 s11, s5, s3
	s_cmp_eq_u64 s[14:15], 0
	s_mov_b32 s2, -1
	s_cbranch_scc1 .LBB40_21
; %bb.1:
	v_cmp_lt_i64_e64 s2, s[10:11], 1
	s_delay_alu instid0(VALU_DEP_1)
	s_and_b32 vcc_lo, exec_lo, s2
	s_cbranch_vccnz .LBB40_20
; %bb.2:
	s_load_b32 s2, s[0:1], 0xcd4
	v_dual_mov_b32 v11, 0 :: v_dual_lshlrev_b32 v10, 1, v0
	v_cmp_gt_u64_e64 s3, 0x10000, s[10:11]
	s_mov_b64 s[16:17], 0
	s_delay_alu instid0(VALU_DEP_2) | instskip(NEXT) | instid1(VALU_DEP_1)
	v_add_co_u32 v1, s4, s6, v10
	v_add_co_ci_u32_e64 v2, null, s7, 0, s4
	v_add_co_u32 v4, s4, s8, v10
	s_delay_alu instid0(VALU_DEP_1)
	v_add_co_ci_u32_e64 v5, null, s9, 0, s4
	s_waitcnt lgkmcnt(0)
	s_and_b32 s2, s2, 0xffff
	s_and_b32 s3, s3, exec_lo
	v_mad_u64_u32 v[8:9], null, s2, 6, v[10:11]
	s_cselect_b32 s15, s11, 0
	s_cselect_b32 s14, s10, 0x10000
	s_mul_i32 s4, s2, 3
	s_lshl_b32 s18, s2, 2
	s_lshl_b32 s3, s2, 1
	v_add_co_u32 v15, s5, s18, v10
	v_add_co_u32 v10, s4, s4, v0
	s_delay_alu instid0(VALU_DEP_1) | instskip(SKIP_3) | instid1(VALU_DEP_3)
	v_add_co_ci_u32_e64 v11, null, 0, 0, s4
	v_add_co_u32 v14, s4, v0, s2
	v_add_co_u32 v6, vcc_lo, s6, v8
	v_add_co_ci_u32_e32 v7, vcc_lo, s7, v9, vcc_lo
	v_lshlrev_b32_e32 v22, 1, v14
	v_add_co_u32 v8, vcc_lo, s8, v8
	v_add_co_ci_u32_e64 v16, null, 0, 0, s5
	v_add_co_ci_u32_e32 v9, vcc_lo, s9, v9, vcc_lo
	v_add_co_u32 v18, s3, s3, v0
	v_add_co_u32 v12, vcc_lo, s6, v15
	v_add_co_ci_u32_e64 v19, null, 0, 0, s3
	v_add_co_u32 v20, s3, s6, v22
	v_add_co_ci_u32_e32 v13, vcc_lo, s7, v16, vcc_lo
	v_add_co_u32 v15, vcc_lo, s8, v15
	v_add_co_ci_u32_e64 v21, null, s7, 0, s3
	v_add_co_u32 v22, s3, s8, v22
	v_add_co_ci_u32_e32 v16, vcc_lo, s9, v16, vcc_lo
	v_add_co_ci_u32_e64 v17, null, 0, 0, s4
	v_add_co_ci_u32_e64 v23, null, s9, 0, s3
	s_lshl_b32 s19, s2, 3
	s_branch .LBB40_4
.LBB40_3:                               ;   in Loop: Header=BB40_4 Depth=1
	s_or_b32 exec_lo, exec_lo, s2
	v_add_co_u32 v1, vcc_lo, v1, s19
	v_add_co_ci_u32_e32 v2, vcc_lo, 0, v2, vcc_lo
	v_add_co_u32 v4, vcc_lo, v4, s19
	v_add_co_ci_u32_e32 v5, vcc_lo, 0, v5, vcc_lo
	;; [unrolled: 2-line block ×5, first 2 shown]
	s_add_u32 s16, s16, s18
	v_add_co_u32 v15, vcc_lo, v15, s19
	s_addc_u32 s17, s17, 0
	v_add_co_ci_u32_e32 v16, vcc_lo, 0, v16, vcc_lo
	v_cmp_lt_i64_e64 s2, s[16:17], s[10:11]
	v_cmp_gt_u64_e64 s3, 0x10000, s[16:17]
	v_add_co_u32 v20, vcc_lo, v20, s19
	v_add_co_ci_u32_e32 v21, vcc_lo, 0, v21, vcc_lo
	v_add_co_u32 v22, vcc_lo, v22, s19
	v_add_co_ci_u32_e32 v23, vcc_lo, 0, v23, vcc_lo
	s_and_b32 s2, s2, s3
	s_delay_alu instid0(SALU_CYCLE_1)
	s_and_b32 vcc_lo, exec_lo, s2
	s_cbranch_vccz .LBB40_20
.LBB40_4:                               ; =>This Inner Loop Header: Depth=1
	s_waitcnt vmcnt(0)
	v_add_co_u32 v24, s2, v0, s16
	s_delay_alu instid0(VALU_DEP_1) | instskip(NEXT) | instid1(VALU_DEP_1)
	v_add_co_ci_u32_e64 v25, null, 0, s17, s2
	v_cmp_gt_u64_e32 vcc_lo, s[14:15], v[24:25]
	v_mov_b32_e32 v24, 0
	s_and_saveexec_b32 s3, vcc_lo
	s_cbranch_execz .LBB40_6
; %bb.5:                                ;   in Loop: Header=BB40_4 Depth=1
	v_add_co_u32 v24, s2, v1, s12
	s_delay_alu instid0(VALU_DEP_1)
	v_add_co_ci_u32_e64 v25, s2, s13, v2, s2
	global_load_u16 v24, v[24:25], off
.LBB40_6:                               ;   in Loop: Header=BB40_4 Depth=1
	s_or_b32 exec_lo, exec_lo, s3
	v_add_co_u32 v25, s2, v14, s16
	s_delay_alu instid0(VALU_DEP_1) | instskip(NEXT) | instid1(VALU_DEP_1)
	v_add_co_ci_u32_e64 v26, s2, s17, v17, s2
	v_cmp_gt_u64_e64 s2, s[14:15], v[25:26]
	v_mov_b32_e32 v26, 0
	s_delay_alu instid0(VALU_DEP_2)
	s_and_saveexec_b32 s4, s2
	s_cbranch_execz .LBB40_8
; %bb.7:                                ;   in Loop: Header=BB40_4 Depth=1
	v_add_co_u32 v25, s3, v20, s12
	s_delay_alu instid0(VALU_DEP_1)
	v_add_co_ci_u32_e64 v26, s3, s13, v21, s3
	global_load_u16 v26, v[25:26], off
.LBB40_8:                               ;   in Loop: Header=BB40_4 Depth=1
	s_or_b32 exec_lo, exec_lo, s4
	v_add_co_u32 v27, s3, v18, s16
	s_delay_alu instid0(VALU_DEP_1) | instskip(SKIP_1) | instid1(VALU_DEP_2)
	v_add_co_ci_u32_e64 v28, s3, s17, v19, s3
	v_mov_b32_e32 v25, 0
	v_cmp_gt_u64_e64 s3, s[14:15], v[27:28]
	v_mov_b32_e32 v27, 0
	s_delay_alu instid0(VALU_DEP_2)
	s_and_saveexec_b32 s5, s3
	s_cbranch_execz .LBB40_10
; %bb.9:                                ;   in Loop: Header=BB40_4 Depth=1
	v_add_co_u32 v27, s4, v12, s12
	s_delay_alu instid0(VALU_DEP_1)
	v_add_co_ci_u32_e64 v28, s4, s13, v13, s4
	global_load_u16 v27, v[27:28], off
.LBB40_10:                              ;   in Loop: Header=BB40_4 Depth=1
	s_or_b32 exec_lo, exec_lo, s5
	v_add_co_u32 v28, s4, v10, s16
	s_delay_alu instid0(VALU_DEP_1) | instskip(NEXT) | instid1(VALU_DEP_1)
	v_add_co_ci_u32_e64 v29, s4, s17, v11, s4
	v_cmp_gt_u64_e64 s4, s[14:15], v[28:29]
	s_delay_alu instid0(VALU_DEP_1)
	s_and_saveexec_b32 s20, s4
	s_cbranch_execnz .LBB40_15
; %bb.11:                               ;   in Loop: Header=BB40_4 Depth=1
	s_or_b32 exec_lo, exec_lo, s20
	s_and_saveexec_b32 s5, vcc_lo
	s_cbranch_execnz .LBB40_16
.LBB40_12:                              ;   in Loop: Header=BB40_4 Depth=1
	s_or_b32 exec_lo, exec_lo, s5
	s_and_saveexec_b32 s5, s2
	s_cbranch_execnz .LBB40_17
.LBB40_13:                              ;   in Loop: Header=BB40_4 Depth=1
	s_or_b32 exec_lo, exec_lo, s5
	s_and_saveexec_b32 s2, s3
	s_cbranch_execnz .LBB40_18
.LBB40_14:                              ;   in Loop: Header=BB40_4 Depth=1
	s_or_b32 exec_lo, exec_lo, s2
	s_and_saveexec_b32 s2, s4
	s_cbranch_execz .LBB40_3
	s_branch .LBB40_19
.LBB40_15:                              ;   in Loop: Header=BB40_4 Depth=1
	v_add_co_u32 v28, s5, v6, s12
	s_delay_alu instid0(VALU_DEP_1)
	v_add_co_ci_u32_e64 v29, s5, s13, v7, s5
	global_load_u16 v25, v[28:29], off
	s_or_b32 exec_lo, exec_lo, s20
	s_and_saveexec_b32 s5, vcc_lo
	s_cbranch_execz .LBB40_12
.LBB40_16:                              ;   in Loop: Header=BB40_4 Depth=1
	v_add_co_u32 v28, vcc_lo, v4, s12
	s_waitcnt vmcnt(0)
	v_mul_lo_u16 v24, v24, v3
	v_add_co_ci_u32_e32 v29, vcc_lo, s13, v5, vcc_lo
	global_store_b16 v[28:29], v24, off
	s_or_b32 exec_lo, exec_lo, s5
	s_and_saveexec_b32 s5, s2
	s_cbranch_execz .LBB40_13
.LBB40_17:                              ;   in Loop: Header=BB40_4 Depth=1
	v_add_co_u32 v28, vcc_lo, v22, s12
	s_waitcnt vmcnt(0)
	v_mul_lo_u16 v24, v26, v3
	v_add_co_ci_u32_e32 v29, vcc_lo, s13, v23, vcc_lo
	global_store_b16 v[28:29], v24, off
	s_or_b32 exec_lo, exec_lo, s5
	s_and_saveexec_b32 s2, s3
	s_cbranch_execz .LBB40_14
.LBB40_18:                              ;   in Loop: Header=BB40_4 Depth=1
	s_waitcnt vmcnt(0)
	v_add_co_u32 v26, vcc_lo, v15, s12
	v_mul_lo_u16 v24, v27, v3
	v_add_co_ci_u32_e32 v27, vcc_lo, s13, v16, vcc_lo
	global_store_b16 v[26:27], v24, off
	s_or_b32 exec_lo, exec_lo, s2
	s_and_saveexec_b32 s2, s4
	s_cbranch_execz .LBB40_3
.LBB40_19:                              ;   in Loop: Header=BB40_4 Depth=1
	s_waitcnt vmcnt(0)
	v_add_co_u32 v24, vcc_lo, v8, s12
	v_mul_lo_u16 v26, v25, v3
	v_add_co_ci_u32_e32 v25, vcc_lo, s13, v9, vcc_lo
	global_store_b16 v[24:25], v26, off
	s_branch .LBB40_3
.LBB40_20:
	s_mov_b32 s2, 0
.LBB40_21:
	s_delay_alu instid0(SALU_CYCLE_1)
	s_and_not1_b32 vcc_lo, exec_lo, s2
	s_cbranch_vccnz .LBB40_25
; %bb.22:
	v_dual_mov_b32 v2, 0 :: v_dual_lshlrev_b32 v1, 2, v0
	s_mov_b32 s2, 0
	s_mov_b32 s3, exec_lo
	s_delay_alu instid0(VALU_DEP_1)
	v_cmpx_gt_i64_e64 s[10:11], v[1:2]
	s_cbranch_execz .LBB40_25
; %bb.23:
	s_load_b32 s0, s[0:1], 0xcd4
	v_lshlrev_b32_e32 v1, 3, v0
	s_delay_alu instid0(VALU_DEP_1) | instskip(NEXT) | instid1(VALU_DEP_1)
	v_add_co_u32 v4, s1, s12, v1
	v_add_co_ci_u32_e64 v5, null, s13, 0, s1
	s_waitcnt lgkmcnt(0)
	s_and_b32 s0, s0, 0xffff
	s_delay_alu instid0(SALU_CYCLE_1)
	v_add_lshl_u32 v1, v0, s0, 2
	s_lshl_b32 s3, s0, 3
	s_lshl_b32 s4, s0, 2
	s_set_inst_prefetch_distance 0x1
	.p2align	6
.LBB40_24:                              ; =>This Inner Loop Header: Depth=1
	v_add_co_u32 v6, vcc_lo, s6, v4
	v_add_co_ci_u32_e32 v7, vcc_lo, s7, v5, vcc_lo
	v_add_co_u32 v8, vcc_lo, s8, v4
	v_add_co_ci_u32_e32 v9, vcc_lo, s9, v5, vcc_lo
	global_load_b64 v[6:7], v[6:7], off
	v_cmp_le_i64_e32 vcc_lo, s[10:11], v[1:2]
	v_cmp_lt_u64_e64 s0, 0xffff, v[1:2]
	v_add_co_u32 v4, s1, v4, s3
	s_delay_alu instid0(VALU_DEP_1) | instskip(SKIP_1) | instid1(VALU_DEP_4)
	v_add_co_ci_u32_e64 v5, s1, 0, v5, s1
	v_add_co_u32 v1, s1, v1, s4
	s_or_b32 s0, vcc_lo, s0
	v_add_co_ci_u32_e64 v2, s1, 0, v2, s1
	s_and_b32 s0, exec_lo, s0
	s_delay_alu instid0(SALU_CYCLE_1)
	s_or_b32 s2, s0, s2
	s_waitcnt vmcnt(0)
	v_lshrrev_b32_e32 v0, 16, v6
	v_lshrrev_b32_e32 v10, 16, v7
	v_mul_lo_u16 v6, v3, v6
	v_mul_lo_u16 v7, v3, v7
	s_delay_alu instid0(VALU_DEP_4) | instskip(NEXT) | instid1(VALU_DEP_4)
	v_mul_lo_u16 v0, v3, v0
	v_mul_lo_u16 v10, v3, v10
	s_delay_alu instid0(VALU_DEP_4) | instskip(NEXT) | instid1(VALU_DEP_4)
	v_and_b32_e32 v6, 0xffff, v6
	v_and_b32_e32 v7, 0xffff, v7
	s_delay_alu instid0(VALU_DEP_4) | instskip(NEXT) | instid1(VALU_DEP_4)
	v_lshlrev_b32_e32 v0, 16, v0
	v_lshlrev_b32_e32 v10, 16, v10
	s_delay_alu instid0(VALU_DEP_2) | instskip(NEXT) | instid1(VALU_DEP_2)
	v_or_b32_e32 v6, v0, v6
	v_or_b32_e32 v7, v10, v7
	global_store_b64 v[8:9], v[6:7], off
	s_and_not1_b32 exec_lo, exec_lo, s2
	s_cbranch_execnz .LBB40_24
.LBB40_25:
	s_set_inst_prefetch_distance 0x2
	s_nop 0
	s_sendmsg sendmsg(MSG_DEALLOC_VGPRS)
	s_endpgm
	.section	.rodata,"a",@progbits
	.p2align	6, 0x0
	.amdhsa_kernel _ZN2at6native12_GLOBAL__N_125multi_tensor_apply_kernelINS1_28TensorListScalarListMetadataIsLi2EEENS1_25BinaryOpScalarListFunctorIsLi2ELi1ELi1EEEJSt10multipliesIsEEEEvT_T0_DpT1_
		.amdhsa_group_segment_fixed_size 0
		.amdhsa_private_segment_fixed_size 0
		.amdhsa_kernarg_size 3528
		.amdhsa_user_sgpr_count 15
		.amdhsa_user_sgpr_dispatch_ptr 0
		.amdhsa_user_sgpr_queue_ptr 0
		.amdhsa_user_sgpr_kernarg_segment_ptr 1
		.amdhsa_user_sgpr_dispatch_id 0
		.amdhsa_user_sgpr_private_segment_size 0
		.amdhsa_wavefront_size32 1
		.amdhsa_uses_dynamic_stack 0
		.amdhsa_enable_private_segment 0
		.amdhsa_system_sgpr_workgroup_id_x 1
		.amdhsa_system_sgpr_workgroup_id_y 0
		.amdhsa_system_sgpr_workgroup_id_z 0
		.amdhsa_system_sgpr_workgroup_info 0
		.amdhsa_system_vgpr_workitem_id 0
		.amdhsa_next_free_vgpr 30
		.amdhsa_next_free_sgpr 21
		.amdhsa_reserve_vcc 1
		.amdhsa_float_round_mode_32 0
		.amdhsa_float_round_mode_16_64 0
		.amdhsa_float_denorm_mode_32 3
		.amdhsa_float_denorm_mode_16_64 3
		.amdhsa_dx10_clamp 1
		.amdhsa_ieee_mode 1
		.amdhsa_fp16_overflow 0
		.amdhsa_workgroup_processor_mode 1
		.amdhsa_memory_ordered 1
		.amdhsa_forward_progress 0
		.amdhsa_shared_vgpr_count 0
		.amdhsa_exception_fp_ieee_invalid_op 0
		.amdhsa_exception_fp_denorm_src 0
		.amdhsa_exception_fp_ieee_div_zero 0
		.amdhsa_exception_fp_ieee_overflow 0
		.amdhsa_exception_fp_ieee_underflow 0
		.amdhsa_exception_fp_ieee_inexact 0
		.amdhsa_exception_int_div_zero 0
	.end_amdhsa_kernel
	.section	.text._ZN2at6native12_GLOBAL__N_125multi_tensor_apply_kernelINS1_28TensorListScalarListMetadataIsLi2EEENS1_25BinaryOpScalarListFunctorIsLi2ELi1ELi1EEEJSt10multipliesIsEEEEvT_T0_DpT1_,"axG",@progbits,_ZN2at6native12_GLOBAL__N_125multi_tensor_apply_kernelINS1_28TensorListScalarListMetadataIsLi2EEENS1_25BinaryOpScalarListFunctorIsLi2ELi1ELi1EEEJSt10multipliesIsEEEEvT_T0_DpT1_,comdat
.Lfunc_end40:
	.size	_ZN2at6native12_GLOBAL__N_125multi_tensor_apply_kernelINS1_28TensorListScalarListMetadataIsLi2EEENS1_25BinaryOpScalarListFunctorIsLi2ELi1ELi1EEEJSt10multipliesIsEEEEvT_T0_DpT1_, .Lfunc_end40-_ZN2at6native12_GLOBAL__N_125multi_tensor_apply_kernelINS1_28TensorListScalarListMetadataIsLi2EEENS1_25BinaryOpScalarListFunctorIsLi2ELi1ELi1EEEJSt10multipliesIsEEEEvT_T0_DpT1_
                                        ; -- End function
	.section	.AMDGPU.csdata,"",@progbits
; Kernel info:
; codeLenInByte = 1516
; NumSgprs: 23
; NumVgprs: 30
; ScratchSize: 0
; MemoryBound: 0
; FloatMode: 240
; IeeeMode: 1
; LDSByteSize: 0 bytes/workgroup (compile time only)
; SGPRBlocks: 2
; VGPRBlocks: 3
; NumSGPRsForWavesPerEU: 23
; NumVGPRsForWavesPerEU: 30
; Occupancy: 16
; WaveLimiterHint : 0
; COMPUTE_PGM_RSRC2:SCRATCH_EN: 0
; COMPUTE_PGM_RSRC2:USER_SGPR: 15
; COMPUTE_PGM_RSRC2:TRAP_HANDLER: 0
; COMPUTE_PGM_RSRC2:TGID_X_EN: 1
; COMPUTE_PGM_RSRC2:TGID_Y_EN: 0
; COMPUTE_PGM_RSRC2:TGID_Z_EN: 0
; COMPUTE_PGM_RSRC2:TIDIG_COMP_CNT: 0
	.section	.text._ZN2at6native12_GLOBAL__N_125multi_tensor_apply_kernelINS1_28TensorListScalarListMetadataIdLi2EEENS1_25BinaryOpScalarListFunctorIdLi2ELi1ELi1EEEJSt10multipliesIdEEEEvT_T0_DpT1_,"axG",@progbits,_ZN2at6native12_GLOBAL__N_125multi_tensor_apply_kernelINS1_28TensorListScalarListMetadataIdLi2EEENS1_25BinaryOpScalarListFunctorIdLi2ELi1ELi1EEEJSt10multipliesIdEEEEvT_T0_DpT1_,comdat
	.globl	_ZN2at6native12_GLOBAL__N_125multi_tensor_apply_kernelINS1_28TensorListScalarListMetadataIdLi2EEENS1_25BinaryOpScalarListFunctorIdLi2ELi1ELi1EEEJSt10multipliesIdEEEEvT_T0_DpT1_ ; -- Begin function _ZN2at6native12_GLOBAL__N_125multi_tensor_apply_kernelINS1_28TensorListScalarListMetadataIdLi2EEENS1_25BinaryOpScalarListFunctorIdLi2ELi1ELi1EEEJSt10multipliesIdEEEEvT_T0_DpT1_
	.p2align	8
	.type	_ZN2at6native12_GLOBAL__N_125multi_tensor_apply_kernelINS1_28TensorListScalarListMetadataIdLi2EEENS1_25BinaryOpScalarListFunctorIdLi2ELi1ELi1EEEJSt10multipliesIdEEEEvT_T0_DpT1_,@function
_ZN2at6native12_GLOBAL__N_125multi_tensor_apply_kernelINS1_28TensorListScalarListMetadataIdLi2EEENS1_25BinaryOpScalarListFunctorIdLi2ELi1ELi1EEEJSt10multipliesIdEEEEvT_T0_DpT1_: ; @_ZN2at6native12_GLOBAL__N_125multi_tensor_apply_kernelINS1_28TensorListScalarListMetadataIdLi2EEENS1_25BinaryOpScalarListFunctorIdLi2ELi1ELi1EEEJSt10multipliesIdEEEEvT_T0_DpT1_
; %bb.0:
	v_mov_b32_e32 v1, s15
	s_add_u32 s2, s0, s15
	s_mul_hi_u32 s3, s15, 3
	s_mul_i32 s15, s15, 3
	s_addc_u32 s4, s1, 0
	global_load_u8 v1, v1, s[0:1] offset:2048
	s_add_u32 s2, s2, s15
	s_addc_u32 s3, s4, s3
	s_mov_b32 s15, 0
	s_load_b32 s8, s[2:3], 0x940
	s_mov_b32 s21, s15
	s_mov_b32 s23, s15
	s_waitcnt vmcnt(0)
	v_readfirstlane_b32 s2, v1
	s_delay_alu instid0(VALU_DEP_1)
	s_lshl_b32 s9, s2, 3
	s_clause 0x3
	s_load_b64 s[2:3], s[0:1], s9 offset:0x0
	s_load_b64 s[6:7], s[0:1], s9 offset:0x600
	;; [unrolled: 1-line block ×4, first 2 shown]
	s_waitcnt lgkmcnt(0)
	s_ashr_i32 s9, s8, 31
	s_delay_alu instid0(SALU_CYCLE_1) | instskip(NEXT) | instid1(SALU_CYCLE_1)
	s_lshl_b64 s[10:11], s[8:9], 19
	s_add_u32 s16, s2, s10
	s_addc_u32 s17, s3, s11
	s_and_b32 s14, s16, 31
	s_add_u32 s18, s4, s10
	s_addc_u32 s19, s5, s11
	s_and_b32 s20, s12, 3
	s_and_b32 s22, s18, 31
	s_or_b64 s[14:15], s[14:15], s[20:21]
	s_lshl_b64 s[8:9], s[8:9], 16
	s_or_b64 s[14:15], s[22:23], s[14:15]
	s_sub_u32 s8, s12, s8
	s_subb_u32 s9, s13, s9
	s_cmp_eq_u64 s[14:15], 0
	s_mov_b32 s12, -1
	s_cbranch_scc1 .LBB41_21
; %bb.1:
	v_cmp_lt_i64_e64 s12, s[8:9], 1
	s_delay_alu instid0(VALU_DEP_1)
	s_and_b32 vcc_lo, exec_lo, s12
	s_cbranch_vccnz .LBB41_20
; %bb.2:
	s_load_b32 s12, s[0:1], 0xe54
	v_dual_mov_b32 v2, 0 :: v_dual_lshlrev_b32 v1, 3, v0
	v_cmp_gt_u64_e64 s13, 0x10000, s[8:9]
	s_delay_alu instid0(VALU_DEP_2) | instskip(NEXT) | instid1(VALU_DEP_1)
	v_add_co_u32 v9, s14, s2, v1
	v_add_co_ci_u32_e64 v10, null, s3, 0, s14
	v_add_co_u32 v11, s14, s4, v1
	s_delay_alu instid0(VALU_DEP_1)
	v_add_co_ci_u32_e64 v12, null, s5, 0, s14
	s_waitcnt lgkmcnt(0)
	s_and_b32 s14, s12, 0xffff
	s_and_b32 s12, s13, exec_lo
	v_mad_u64_u32 v[3:4], null, s14, 24, v[1:2]
	s_cselect_b32 s13, s9, 0
	s_cselect_b32 s12, s8, 0x10000
	s_lshl_b32 s21, s14, 4
	s_mul_i32 s20, s14, 3
	v_add_co_u32 v1, s21, s21, v1
	s_delay_alu instid0(VALU_DEP_2) | instskip(NEXT) | instid1(VALU_DEP_3)
	v_add_co_u32 v13, vcc_lo, s2, v3
	v_add_co_ci_u32_e32 v14, vcc_lo, s3, v4, vcc_lo
	v_add_co_u32 v17, s20, s20, v0
	v_add_co_u32 v15, vcc_lo, s4, v3
	v_add_co_ci_u32_e64 v2, null, 0, 0, s21
	v_add_co_ci_u32_e64 v18, null, 0, 0, s20
	v_add_co_u32 v21, s20, v0, s14
	v_add_co_ci_u32_e32 v16, vcc_lo, s5, v4, vcc_lo
	v_add_co_u32 v19, vcc_lo, s2, v1
	v_add_co_ci_u32_e32 v20, vcc_lo, s3, v2, vcc_lo
	v_add_co_u32 v22, vcc_lo, s4, v1
	v_lshlrev_b32_e32 v1, 3, v21
	s_lshl_b32 s15, s14, 1
	v_add_co_ci_u32_e32 v23, vcc_lo, s5, v2, vcc_lo
	v_add_co_u32 v25, s15, s15, v0
	s_delay_alu instid0(VALU_DEP_3) | instskip(NEXT) | instid1(VALU_DEP_1)
	v_add_co_u32 v27, s2, s2, v1
	v_add_co_ci_u32_e64 v28, null, s3, 0, s2
	v_add_co_u32 v29, s2, s4, v1
	v_add_co_ci_u32_e64 v24, null, 0, 0, s20
	v_add_co_ci_u32_e64 v26, null, 0, 0, s15
	v_add_co_ci_u32_e64 v30, null, s5, 0, s2
	s_lshl_b32 s20, s14, 2
	s_lshl_b32 s21, s14, 5
	s_mov_b64 s[14:15], 0
	s_branch .LBB41_4
.LBB41_3:                               ;   in Loop: Header=BB41_4 Depth=1
	s_or_b32 exec_lo, exec_lo, s2
	v_add_co_u32 v9, vcc_lo, v9, s21
	v_add_co_ci_u32_e32 v10, vcc_lo, 0, v10, vcc_lo
	v_add_co_u32 v11, vcc_lo, v11, s21
	v_add_co_ci_u32_e32 v12, vcc_lo, 0, v12, vcc_lo
	;; [unrolled: 2-line block ×5, first 2 shown]
	s_add_u32 s14, s14, s20
	v_add_co_u32 v22, vcc_lo, v22, s21
	s_addc_u32 s15, s15, 0
	v_add_co_ci_u32_e32 v23, vcc_lo, 0, v23, vcc_lo
	v_cmp_lt_i64_e64 s2, s[14:15], s[8:9]
	v_cmp_gt_u64_e64 s3, 0x10000, s[14:15]
	v_add_co_u32 v27, vcc_lo, v27, s21
	v_add_co_ci_u32_e32 v28, vcc_lo, 0, v28, vcc_lo
	v_add_co_u32 v29, vcc_lo, v29, s21
	v_add_co_ci_u32_e32 v30, vcc_lo, 0, v30, vcc_lo
	s_and_b32 s2, s2, s3
	s_delay_alu instid0(SALU_CYCLE_1)
	s_and_b32 vcc_lo, exec_lo, s2
	s_cbranch_vccz .LBB41_20
.LBB41_4:                               ; =>This Inner Loop Header: Depth=1
	s_waitcnt vmcnt(0)
	v_add_co_u32 v3, s2, v0, s14
	s_delay_alu instid0(VALU_DEP_1) | instskip(SKIP_2) | instid1(VALU_DEP_3)
	v_add_co_ci_u32_e64 v4, null, 0, s15, s2
	v_mov_b32_e32 v1, 0
	v_mov_b32_e32 v2, 0
	v_cmp_gt_u64_e32 vcc_lo, s[12:13], v[3:4]
	s_delay_alu instid0(VALU_DEP_2)
	v_dual_mov_b32 v4, v2 :: v_dual_mov_b32 v3, v1
	s_and_saveexec_b32 s3, vcc_lo
	s_cbranch_execz .LBB41_6
; %bb.5:                                ;   in Loop: Header=BB41_4 Depth=1
	v_add_co_u32 v3, s2, v9, s10
	s_delay_alu instid0(VALU_DEP_1)
	v_add_co_ci_u32_e64 v4, s2, s11, v10, s2
	global_load_b64 v[3:4], v[3:4], off
.LBB41_6:                               ;   in Loop: Header=BB41_4 Depth=1
	s_or_b32 exec_lo, exec_lo, s3
	v_add_co_u32 v5, s2, v21, s14
	s_delay_alu instid0(VALU_DEP_1) | instskip(NEXT) | instid1(VALU_DEP_1)
	v_add_co_ci_u32_e64 v6, s2, s15, v24, s2
	v_cmp_gt_u64_e64 s2, s[12:13], v[5:6]
	s_delay_alu instid0(VALU_DEP_1)
	s_and_saveexec_b32 s4, s2
	s_cbranch_execz .LBB41_8
; %bb.7:                                ;   in Loop: Header=BB41_4 Depth=1
	v_add_co_u32 v1, s3, v27, s10
	s_delay_alu instid0(VALU_DEP_1)
	v_add_co_ci_u32_e64 v2, s3, s11, v28, s3
	global_load_b64 v[1:2], v[1:2], off
.LBB41_8:                               ;   in Loop: Header=BB41_4 Depth=1
	s_or_b32 exec_lo, exec_lo, s4
	v_add_co_u32 v7, s3, v25, s14
	s_delay_alu instid0(VALU_DEP_1) | instskip(SKIP_2) | instid1(VALU_DEP_3)
	v_add_co_ci_u32_e64 v8, s3, s15, v26, s3
	v_mov_b32_e32 v5, 0
	v_mov_b32_e32 v6, 0
	v_cmp_gt_u64_e64 s3, s[12:13], v[7:8]
	s_delay_alu instid0(VALU_DEP_2) | instskip(NEXT) | instid1(VALU_DEP_2)
	v_dual_mov_b32 v8, v6 :: v_dual_mov_b32 v7, v5
	s_and_saveexec_b32 s5, s3
	s_cbranch_execz .LBB41_10
; %bb.9:                                ;   in Loop: Header=BB41_4 Depth=1
	v_add_co_u32 v7, s4, v19, s10
	s_delay_alu instid0(VALU_DEP_1)
	v_add_co_ci_u32_e64 v8, s4, s11, v20, s4
	global_load_b64 v[7:8], v[7:8], off
.LBB41_10:                              ;   in Loop: Header=BB41_4 Depth=1
	s_or_b32 exec_lo, exec_lo, s5
	v_add_co_u32 v31, s4, v17, s14
	s_delay_alu instid0(VALU_DEP_1) | instskip(NEXT) | instid1(VALU_DEP_1)
	v_add_co_ci_u32_e64 v32, s4, s15, v18, s4
	v_cmp_gt_u64_e64 s4, s[12:13], v[31:32]
	s_delay_alu instid0(VALU_DEP_1)
	s_and_saveexec_b32 s22, s4
	s_cbranch_execnz .LBB41_15
; %bb.11:                               ;   in Loop: Header=BB41_4 Depth=1
	s_or_b32 exec_lo, exec_lo, s22
	s_and_saveexec_b32 s5, vcc_lo
	s_cbranch_execnz .LBB41_16
.LBB41_12:                              ;   in Loop: Header=BB41_4 Depth=1
	s_or_b32 exec_lo, exec_lo, s5
	s_and_saveexec_b32 s5, s2
	s_cbranch_execnz .LBB41_17
.LBB41_13:                              ;   in Loop: Header=BB41_4 Depth=1
	s_or_b32 exec_lo, exec_lo, s5
	s_and_saveexec_b32 s2, s3
	s_cbranch_execnz .LBB41_18
.LBB41_14:                              ;   in Loop: Header=BB41_4 Depth=1
	s_or_b32 exec_lo, exec_lo, s2
	s_and_saveexec_b32 s2, s4
	s_cbranch_execz .LBB41_3
	s_branch .LBB41_19
.LBB41_15:                              ;   in Loop: Header=BB41_4 Depth=1
	v_add_co_u32 v5, s5, v13, s10
	s_delay_alu instid0(VALU_DEP_1)
	v_add_co_ci_u32_e64 v6, s5, s11, v14, s5
	global_load_b64 v[5:6], v[5:6], off
	s_or_b32 exec_lo, exec_lo, s22
	s_and_saveexec_b32 s5, vcc_lo
	s_cbranch_execz .LBB41_12
.LBB41_16:                              ;   in Loop: Header=BB41_4 Depth=1
	s_waitcnt vmcnt(0)
	v_mul_f64 v[3:4], s[6:7], v[3:4]
	v_add_co_u32 v31, vcc_lo, v11, s10
	v_add_co_ci_u32_e32 v32, vcc_lo, s11, v12, vcc_lo
	global_store_b64 v[31:32], v[3:4], off
	s_or_b32 exec_lo, exec_lo, s5
	s_and_saveexec_b32 s5, s2
	s_cbranch_execz .LBB41_13
.LBB41_17:                              ;   in Loop: Header=BB41_4 Depth=1
	s_waitcnt vmcnt(0)
	v_mul_f64 v[1:2], s[6:7], v[1:2]
	v_add_co_u32 v3, vcc_lo, v29, s10
	v_add_co_ci_u32_e32 v4, vcc_lo, s11, v30, vcc_lo
	global_store_b64 v[3:4], v[1:2], off
	s_or_b32 exec_lo, exec_lo, s5
	s_and_saveexec_b32 s2, s3
	s_cbranch_execz .LBB41_14
.LBB41_18:                              ;   in Loop: Header=BB41_4 Depth=1
	s_waitcnt vmcnt(0)
	v_mul_f64 v[1:2], s[6:7], v[7:8]
	v_add_co_u32 v3, vcc_lo, v22, s10
	v_add_co_ci_u32_e32 v4, vcc_lo, s11, v23, vcc_lo
	global_store_b64 v[3:4], v[1:2], off
	s_or_b32 exec_lo, exec_lo, s2
	s_and_saveexec_b32 s2, s4
	s_cbranch_execz .LBB41_3
.LBB41_19:                              ;   in Loop: Header=BB41_4 Depth=1
	s_waitcnt vmcnt(0)
	v_mul_f64 v[1:2], s[6:7], v[5:6]
	v_add_co_u32 v3, vcc_lo, v15, s10
	v_add_co_ci_u32_e32 v4, vcc_lo, s11, v16, vcc_lo
	global_store_b64 v[3:4], v[1:2], off
	s_branch .LBB41_3
.LBB41_20:
	s_mov_b32 s12, 0
.LBB41_21:
	s_delay_alu instid0(SALU_CYCLE_1)
	s_and_not1_b32 vcc_lo, exec_lo, s12
	s_cbranch_vccnz .LBB41_25
; %bb.22:
	s_waitcnt vmcnt(0)
	v_dual_mov_b32 v2, 0 :: v_dual_lshlrev_b32 v1, 2, v0
	s_mov_b32 s2, 0
	s_mov_b32 s3, exec_lo
	s_delay_alu instid0(VALU_DEP_1)
	v_cmpx_gt_i64_e64 s[8:9], v[1:2]
	s_cbranch_execz .LBB41_25
; %bb.23:
	s_load_b32 s0, s[0:1], 0xe54
	s_waitcnt lgkmcnt(0)
	s_and_b32 s0, s0, 0xffff
	s_delay_alu instid0(SALU_CYCLE_1)
	v_add_lshl_u32 v1, v0, s0, 2
	v_lshlrev_b32_e32 v0, 5, v0
	s_lshl_b32 s3, s0, 2
	s_lshl_b32 s4, s0, 5
	s_set_inst_prefetch_distance 0x1
	.p2align	6
.LBB41_24:                              ; =>This Inner Loop Header: Depth=1
	s_delay_alu instid0(VALU_DEP_1) | instskip(NEXT) | instid1(VALU_DEP_1)
	v_add_co_u32 v7, s0, s16, v0
	v_add_co_ci_u32_e64 v8, null, s17, 0, s0
	v_cmp_le_i64_e32 vcc_lo, s[8:9], v[1:2]
	v_cmp_lt_u64_e64 s0, 0xffff, v[1:2]
	v_add_co_u32 v11, s1, s18, v0
	s_clause 0x1
	global_load_b128 v[3:6], v[7:8], off
	global_load_b128 v[7:10], v[7:8], off offset:16
	v_add_co_ci_u32_e64 v12, null, s19, 0, s1
	s_or_b32 s0, vcc_lo, s0
	s_add_u32 s16, s16, s4
	v_add_co_u32 v1, s1, v1, s3
	s_addc_u32 s17, s17, 0
	s_add_u32 s18, s18, s4
	v_add_co_ci_u32_e64 v2, s1, 0, v2, s1
	s_addc_u32 s19, s19, 0
	s_and_b32 s0, exec_lo, s0
	s_delay_alu instid0(SALU_CYCLE_1)
	s_or_b32 s2, s0, s2
	s_waitcnt vmcnt(1)
	v_mul_f64 v[3:4], s[6:7], v[3:4]
	v_mul_f64 v[5:6], s[6:7], v[5:6]
	s_waitcnt vmcnt(0)
	v_mul_f64 v[7:8], s[6:7], v[7:8]
	v_mul_f64 v[9:10], s[6:7], v[9:10]
	s_clause 0x1
	global_store_b128 v[11:12], v[3:6], off
	global_store_b128 v[11:12], v[7:10], off offset:16
	s_and_not1_b32 exec_lo, exec_lo, s2
	s_cbranch_execnz .LBB41_24
.LBB41_25:
	s_set_inst_prefetch_distance 0x2
	s_nop 0
	s_sendmsg sendmsg(MSG_DEALLOC_VGPRS)
	s_endpgm
	.section	.rodata,"a",@progbits
	.p2align	6, 0x0
	.amdhsa_kernel _ZN2at6native12_GLOBAL__N_125multi_tensor_apply_kernelINS1_28TensorListScalarListMetadataIdLi2EEENS1_25BinaryOpScalarListFunctorIdLi2ELi1ELi1EEEJSt10multipliesIdEEEEvT_T0_DpT1_
		.amdhsa_group_segment_fixed_size 0
		.amdhsa_private_segment_fixed_size 0
		.amdhsa_kernarg_size 3912
		.amdhsa_user_sgpr_count 15
		.amdhsa_user_sgpr_dispatch_ptr 0
		.amdhsa_user_sgpr_queue_ptr 0
		.amdhsa_user_sgpr_kernarg_segment_ptr 1
		.amdhsa_user_sgpr_dispatch_id 0
		.amdhsa_user_sgpr_private_segment_size 0
		.amdhsa_wavefront_size32 1
		.amdhsa_uses_dynamic_stack 0
		.amdhsa_enable_private_segment 0
		.amdhsa_system_sgpr_workgroup_id_x 1
		.amdhsa_system_sgpr_workgroup_id_y 0
		.amdhsa_system_sgpr_workgroup_id_z 0
		.amdhsa_system_sgpr_workgroup_info 0
		.amdhsa_system_vgpr_workitem_id 0
		.amdhsa_next_free_vgpr 33
		.amdhsa_next_free_sgpr 24
		.amdhsa_reserve_vcc 1
		.amdhsa_float_round_mode_32 0
		.amdhsa_float_round_mode_16_64 0
		.amdhsa_float_denorm_mode_32 3
		.amdhsa_float_denorm_mode_16_64 3
		.amdhsa_dx10_clamp 1
		.amdhsa_ieee_mode 1
		.amdhsa_fp16_overflow 0
		.amdhsa_workgroup_processor_mode 1
		.amdhsa_memory_ordered 1
		.amdhsa_forward_progress 0
		.amdhsa_shared_vgpr_count 0
		.amdhsa_exception_fp_ieee_invalid_op 0
		.amdhsa_exception_fp_denorm_src 0
		.amdhsa_exception_fp_ieee_div_zero 0
		.amdhsa_exception_fp_ieee_overflow 0
		.amdhsa_exception_fp_ieee_underflow 0
		.amdhsa_exception_fp_ieee_inexact 0
		.amdhsa_exception_int_div_zero 0
	.end_amdhsa_kernel
	.section	.text._ZN2at6native12_GLOBAL__N_125multi_tensor_apply_kernelINS1_28TensorListScalarListMetadataIdLi2EEENS1_25BinaryOpScalarListFunctorIdLi2ELi1ELi1EEEJSt10multipliesIdEEEEvT_T0_DpT1_,"axG",@progbits,_ZN2at6native12_GLOBAL__N_125multi_tensor_apply_kernelINS1_28TensorListScalarListMetadataIdLi2EEENS1_25BinaryOpScalarListFunctorIdLi2ELi1ELi1EEEJSt10multipliesIdEEEEvT_T0_DpT1_,comdat
.Lfunc_end41:
	.size	_ZN2at6native12_GLOBAL__N_125multi_tensor_apply_kernelINS1_28TensorListScalarListMetadataIdLi2EEENS1_25BinaryOpScalarListFunctorIdLi2ELi1ELi1EEEJSt10multipliesIdEEEEvT_T0_DpT1_, .Lfunc_end41-_ZN2at6native12_GLOBAL__N_125multi_tensor_apply_kernelINS1_28TensorListScalarListMetadataIdLi2EEENS1_25BinaryOpScalarListFunctorIdLi2ELi1ELi1EEEJSt10multipliesIdEEEEvT_T0_DpT1_
                                        ; -- End function
	.section	.AMDGPU.csdata,"",@progbits
; Kernel info:
; codeLenInByte = 1488
; NumSgprs: 26
; NumVgprs: 33
; ScratchSize: 0
; MemoryBound: 0
; FloatMode: 240
; IeeeMode: 1
; LDSByteSize: 0 bytes/workgroup (compile time only)
; SGPRBlocks: 3
; VGPRBlocks: 4
; NumSGPRsForWavesPerEU: 26
; NumVGPRsForWavesPerEU: 33
; Occupancy: 16
; WaveLimiterHint : 1
; COMPUTE_PGM_RSRC2:SCRATCH_EN: 0
; COMPUTE_PGM_RSRC2:USER_SGPR: 15
; COMPUTE_PGM_RSRC2:TRAP_HANDLER: 0
; COMPUTE_PGM_RSRC2:TGID_X_EN: 1
; COMPUTE_PGM_RSRC2:TGID_Y_EN: 0
; COMPUTE_PGM_RSRC2:TGID_Z_EN: 0
; COMPUTE_PGM_RSRC2:TIDIG_COMP_CNT: 0
	.section	.text._ZN2at6native12_GLOBAL__N_125multi_tensor_apply_kernelINS1_28TensorListScalarListMetadataIfLi2EEENS1_25BinaryOpScalarListFunctorIfLi2ELi1ELi1EEEJSt10multipliesIfEEEEvT_T0_DpT1_,"axG",@progbits,_ZN2at6native12_GLOBAL__N_125multi_tensor_apply_kernelINS1_28TensorListScalarListMetadataIfLi2EEENS1_25BinaryOpScalarListFunctorIfLi2ELi1ELi1EEEJSt10multipliesIfEEEEvT_T0_DpT1_,comdat
	.globl	_ZN2at6native12_GLOBAL__N_125multi_tensor_apply_kernelINS1_28TensorListScalarListMetadataIfLi2EEENS1_25BinaryOpScalarListFunctorIfLi2ELi1ELi1EEEJSt10multipliesIfEEEEvT_T0_DpT1_ ; -- Begin function _ZN2at6native12_GLOBAL__N_125multi_tensor_apply_kernelINS1_28TensorListScalarListMetadataIfLi2EEENS1_25BinaryOpScalarListFunctorIfLi2ELi1ELi1EEEJSt10multipliesIfEEEEvT_T0_DpT1_
	.p2align	8
	.type	_ZN2at6native12_GLOBAL__N_125multi_tensor_apply_kernelINS1_28TensorListScalarListMetadataIfLi2EEENS1_25BinaryOpScalarListFunctorIfLi2ELi1ELi1EEEJSt10multipliesIfEEEEvT_T0_DpT1_,@function
_ZN2at6native12_GLOBAL__N_125multi_tensor_apply_kernelINS1_28TensorListScalarListMetadataIfLi2EEENS1_25BinaryOpScalarListFunctorIfLi2ELi1ELi1EEEJSt10multipliesIfEEEEvT_T0_DpT1_: ; @_ZN2at6native12_GLOBAL__N_125multi_tensor_apply_kernelINS1_28TensorListScalarListMetadataIfLi2EEENS1_25BinaryOpScalarListFunctorIfLi2ELi1ELi1EEEJSt10multipliesIfEEEEvT_T0_DpT1_
; %bb.0:
	v_mov_b32_e32 v1, s15
	s_add_u32 s2, s0, s15
	s_mul_hi_u32 s3, s15, 3
	s_mul_i32 s15, s15, 3
	s_addc_u32 s4, s1, 0
	global_load_u8 v1, v1, s[0:1] offset:1792
	s_add_u32 s2, s2, s15
	s_addc_u32 s3, s4, s3
	s_mov_b32 s13, 0
	s_load_b32 s6, s[2:3], 0x840
	s_waitcnt lgkmcnt(0)
	s_ashr_i32 s7, s6, 31
	s_waitcnt vmcnt(0)
	v_readfirstlane_b32 s2, v1
	v_lshlrev_b32_e32 v1, 2, v1
	s_delay_alu instid0(VALU_DEP_2)
	s_lshl_b32 s8, s2, 3
	s_clause 0x2
	s_load_b64 s[10:11], s[0:1], s8 offset:0x400
	s_load_b64 s[4:5], s[0:1], s8 offset:0x0
	;; [unrolled: 1-line block ×3, first 2 shown]
	s_add_u32 s8, s0, s8
	s_addc_u32 s9, s1, 0
	v_sub_co_u32 v1, s8, s8, v1
	s_delay_alu instid0(VALU_DEP_1) | instskip(NEXT) | instid1(VALU_DEP_2)
	v_sub_co_ci_u32_e64 v2, null, s9, 0, s8
	v_readfirstlane_b32 s8, v1
	s_delay_alu instid0(VALU_DEP_2)
	v_readfirstlane_b32 s9, v2
	s_load_b32 s14, s[8:9], 0x600
	s_lshl_b64 s[8:9], s[6:7], 18
	s_waitcnt lgkmcnt(0)
	s_add_u32 s15, s4, s8
	s_addc_u32 s16, s5, s9
	s_and_b32 s12, s15, 15
	s_add_u32 s17, s2, s8
	s_addc_u32 s18, s3, s9
	s_and_b32 s19, s10, 3
	s_and_b32 s20, s17, 15
	s_or_b32 s12, s12, s19
	s_lshl_b64 s[6:7], s[6:7], 16
	s_or_b32 s12, s20, s12
	s_sub_u32 s6, s10, s6
	s_subb_u32 s7, s11, s7
	s_cmp_eq_u64 s[12:13], 0
	s_mov_b32 s10, -1
	s_cbranch_scc1 .LBB42_21
; %bb.1:
	v_cmp_lt_i64_e64 s10, s[6:7], 1
	s_delay_alu instid0(VALU_DEP_1)
	s_and_b32 vcc_lo, exec_lo, s10
	s_cbranch_vccnz .LBB42_20
; %bb.2:
	s_load_b32 s10, s[0:1], 0xd54
	v_dual_mov_b32 v10, 0 :: v_dual_lshlrev_b32 v9, 2, v0
	v_cmp_gt_u64_e64 s11, 0x10000, s[6:7]
	s_delay_alu instid0(VALU_DEP_2) | instskip(NEXT) | instid1(VALU_DEP_1)
	v_add_co_u32 v1, s12, s4, v9
	v_add_co_ci_u32_e64 v2, null, s5, 0, s12
	v_add_co_u32 v3, s12, s2, v9
	s_delay_alu instid0(VALU_DEP_1)
	v_add_co_ci_u32_e64 v4, null, s3, 0, s12
	s_waitcnt lgkmcnt(0)
	s_and_b32 s12, s10, 0xffff
	s_and_b32 s10, s11, exec_lo
	v_mad_u64_u32 v[7:8], null, s12, 12, v[9:10]
	s_cselect_b32 s11, s7, 0
	s_cselect_b32 s10, s6, 0x10000
	s_mul_i32 s19, s12, 3
	s_lshl_b32 s20, s12, 3
	s_lshl_b32 s13, s12, 1
	v_add_co_u32 v14, s20, s20, v9
	v_add_co_u32 v9, s19, s19, v0
	s_delay_alu instid0(VALU_DEP_1)
	v_add_co_ci_u32_e64 v10, null, 0, 0, s19
	v_add_co_u32 v13, s19, v0, s12
	v_add_co_u32 v5, vcc_lo, s4, v7
	v_add_co_ci_u32_e32 v6, vcc_lo, s5, v8, vcc_lo
	v_add_co_u32 v7, vcc_lo, s2, v7
	v_add_co_ci_u32_e64 v15, null, 0, 0, s20
	v_lshlrev_b32_e32 v21, 2, v13
	v_add_co_ci_u32_e32 v8, vcc_lo, s3, v8, vcc_lo
	v_add_co_u32 v11, vcc_lo, s4, v14
	s_delay_alu instid0(VALU_DEP_4)
	v_add_co_ci_u32_e32 v12, vcc_lo, s5, v15, vcc_lo
	v_add_co_u32 v14, vcc_lo, s2, v14
	v_add_co_u32 v17, s13, s13, v0
	v_add_co_u32 v19, s4, s4, v21
	;; [unrolled: 1-line block ×3, first 2 shown]
	v_add_co_ci_u32_e32 v15, vcc_lo, s3, v15, vcc_lo
	v_add_co_ci_u32_e64 v16, null, 0, 0, s19
	v_add_co_ci_u32_e64 v18, null, 0, 0, s13
	;; [unrolled: 1-line block ×4, first 2 shown]
	s_lshl_b32 s19, s12, 2
	s_lshl_b32 s20, s12, 4
	s_mov_b64 s[12:13], 0
	s_branch .LBB42_4
.LBB42_3:                               ;   in Loop: Header=BB42_4 Depth=1
	s_or_b32 exec_lo, exec_lo, s2
	v_add_co_u32 v1, vcc_lo, v1, s20
	v_add_co_ci_u32_e32 v2, vcc_lo, 0, v2, vcc_lo
	v_add_co_u32 v3, vcc_lo, v3, s20
	v_add_co_ci_u32_e32 v4, vcc_lo, 0, v4, vcc_lo
	;; [unrolled: 2-line block ×5, first 2 shown]
	s_add_u32 s12, s12, s19
	v_add_co_u32 v14, vcc_lo, v14, s20
	s_addc_u32 s13, s13, 0
	v_add_co_ci_u32_e32 v15, vcc_lo, 0, v15, vcc_lo
	v_cmp_lt_i64_e64 s2, s[12:13], s[6:7]
	v_cmp_gt_u64_e64 s3, 0x10000, s[12:13]
	v_add_co_u32 v19, vcc_lo, v19, s20
	v_add_co_ci_u32_e32 v20, vcc_lo, 0, v20, vcc_lo
	v_add_co_u32 v21, vcc_lo, v21, s20
	v_add_co_ci_u32_e32 v22, vcc_lo, 0, v22, vcc_lo
	s_and_b32 s2, s2, s3
	s_delay_alu instid0(SALU_CYCLE_1)
	s_and_b32 vcc_lo, exec_lo, s2
	s_cbranch_vccz .LBB42_20
.LBB42_4:                               ; =>This Inner Loop Header: Depth=1
	s_waitcnt vmcnt(0)
	v_add_co_u32 v23, s2, v0, s12
	s_delay_alu instid0(VALU_DEP_1) | instskip(NEXT) | instid1(VALU_DEP_1)
	v_add_co_ci_u32_e64 v24, null, 0, s13, s2
	v_cmp_gt_u64_e32 vcc_lo, s[10:11], v[23:24]
	v_mov_b32_e32 v23, 0
	s_and_saveexec_b32 s3, vcc_lo
	s_cbranch_execz .LBB42_6
; %bb.5:                                ;   in Loop: Header=BB42_4 Depth=1
	v_add_co_u32 v23, s2, v1, s8
	s_delay_alu instid0(VALU_DEP_1)
	v_add_co_ci_u32_e64 v24, s2, s9, v2, s2
	global_load_b32 v23, v[23:24], off
.LBB42_6:                               ;   in Loop: Header=BB42_4 Depth=1
	s_or_b32 exec_lo, exec_lo, s3
	v_add_co_u32 v24, s2, v13, s12
	s_delay_alu instid0(VALU_DEP_1) | instskip(NEXT) | instid1(VALU_DEP_1)
	v_add_co_ci_u32_e64 v25, s2, s13, v16, s2
	v_cmp_gt_u64_e64 s2, s[10:11], v[24:25]
	v_mov_b32_e32 v25, 0
	s_delay_alu instid0(VALU_DEP_2)
	s_and_saveexec_b32 s4, s2
	s_cbranch_execz .LBB42_8
; %bb.7:                                ;   in Loop: Header=BB42_4 Depth=1
	v_add_co_u32 v24, s3, v19, s8
	s_delay_alu instid0(VALU_DEP_1)
	v_add_co_ci_u32_e64 v25, s3, s9, v20, s3
	global_load_b32 v25, v[24:25], off
.LBB42_8:                               ;   in Loop: Header=BB42_4 Depth=1
	s_or_b32 exec_lo, exec_lo, s4
	v_add_co_u32 v26, s3, v17, s12
	s_delay_alu instid0(VALU_DEP_1) | instskip(SKIP_1) | instid1(VALU_DEP_2)
	v_add_co_ci_u32_e64 v27, s3, s13, v18, s3
	v_mov_b32_e32 v24, 0
	v_cmp_gt_u64_e64 s3, s[10:11], v[26:27]
	v_mov_b32_e32 v26, 0
	s_delay_alu instid0(VALU_DEP_2)
	s_and_saveexec_b32 s5, s3
	s_cbranch_execz .LBB42_10
; %bb.9:                                ;   in Loop: Header=BB42_4 Depth=1
	v_add_co_u32 v26, s4, v11, s8
	s_delay_alu instid0(VALU_DEP_1)
	v_add_co_ci_u32_e64 v27, s4, s9, v12, s4
	global_load_b32 v26, v[26:27], off
.LBB42_10:                              ;   in Loop: Header=BB42_4 Depth=1
	s_or_b32 exec_lo, exec_lo, s5
	v_add_co_u32 v27, s4, v9, s12
	s_delay_alu instid0(VALU_DEP_1) | instskip(NEXT) | instid1(VALU_DEP_1)
	v_add_co_ci_u32_e64 v28, s4, s13, v10, s4
	v_cmp_gt_u64_e64 s4, s[10:11], v[27:28]
	s_delay_alu instid0(VALU_DEP_1)
	s_and_saveexec_b32 s21, s4
	s_cbranch_execnz .LBB42_15
; %bb.11:                               ;   in Loop: Header=BB42_4 Depth=1
	s_or_b32 exec_lo, exec_lo, s21
	s_and_saveexec_b32 s5, vcc_lo
	s_cbranch_execnz .LBB42_16
.LBB42_12:                              ;   in Loop: Header=BB42_4 Depth=1
	s_or_b32 exec_lo, exec_lo, s5
	s_and_saveexec_b32 s5, s2
	s_cbranch_execnz .LBB42_17
.LBB42_13:                              ;   in Loop: Header=BB42_4 Depth=1
	s_or_b32 exec_lo, exec_lo, s5
	s_and_saveexec_b32 s2, s3
	s_cbranch_execnz .LBB42_18
.LBB42_14:                              ;   in Loop: Header=BB42_4 Depth=1
	s_or_b32 exec_lo, exec_lo, s2
	s_and_saveexec_b32 s2, s4
	s_cbranch_execz .LBB42_3
	s_branch .LBB42_19
.LBB42_15:                              ;   in Loop: Header=BB42_4 Depth=1
	v_add_co_u32 v27, s5, v5, s8
	s_delay_alu instid0(VALU_DEP_1)
	v_add_co_ci_u32_e64 v28, s5, s9, v6, s5
	global_load_b32 v24, v[27:28], off
	s_or_b32 exec_lo, exec_lo, s21
	s_and_saveexec_b32 s5, vcc_lo
	s_cbranch_execz .LBB42_12
.LBB42_16:                              ;   in Loop: Header=BB42_4 Depth=1
	v_add_co_u32 v27, vcc_lo, v3, s8
	s_waitcnt vmcnt(0)
	v_mul_f32_e32 v23, s14, v23
	v_add_co_ci_u32_e32 v28, vcc_lo, s9, v4, vcc_lo
	global_store_b32 v[27:28], v23, off
	s_or_b32 exec_lo, exec_lo, s5
	s_and_saveexec_b32 s5, s2
	s_cbranch_execz .LBB42_13
.LBB42_17:                              ;   in Loop: Header=BB42_4 Depth=1
	v_add_co_u32 v27, vcc_lo, v21, s8
	s_waitcnt vmcnt(0)
	v_mul_f32_e32 v23, s14, v25
	v_add_co_ci_u32_e32 v28, vcc_lo, s9, v22, vcc_lo
	global_store_b32 v[27:28], v23, off
	s_or_b32 exec_lo, exec_lo, s5
	s_and_saveexec_b32 s2, s3
	s_cbranch_execz .LBB42_14
.LBB42_18:                              ;   in Loop: Header=BB42_4 Depth=1
	s_waitcnt vmcnt(0)
	v_add_co_u32 v25, vcc_lo, v14, s8
	v_mul_f32_e32 v23, s14, v26
	v_add_co_ci_u32_e32 v26, vcc_lo, s9, v15, vcc_lo
	global_store_b32 v[25:26], v23, off
	s_or_b32 exec_lo, exec_lo, s2
	s_and_saveexec_b32 s2, s4
	s_cbranch_execz .LBB42_3
.LBB42_19:                              ;   in Loop: Header=BB42_4 Depth=1
	s_waitcnt vmcnt(0)
	v_add_co_u32 v23, vcc_lo, v7, s8
	v_mul_f32_e32 v25, s14, v24
	v_add_co_ci_u32_e32 v24, vcc_lo, s9, v8, vcc_lo
	global_store_b32 v[23:24], v25, off
	s_branch .LBB42_3
.LBB42_20:
	s_mov_b32 s10, 0
.LBB42_21:
	s_delay_alu instid0(SALU_CYCLE_1)
	s_and_not1_b32 vcc_lo, exec_lo, s10
	s_cbranch_vccnz .LBB42_25
; %bb.22:
	v_dual_mov_b32 v2, 0 :: v_dual_lshlrev_b32 v1, 2, v0
	s_mov_b32 s2, 0
	s_mov_b32 s3, exec_lo
	s_delay_alu instid0(VALU_DEP_1)
	v_cmpx_gt_i64_e64 s[6:7], v[1:2]
	s_cbranch_execz .LBB42_25
; %bb.23:
	s_load_b32 s0, s[0:1], 0xd54
	s_waitcnt lgkmcnt(0)
	s_and_b32 s0, s0, 0xffff
	s_delay_alu instid0(SALU_CYCLE_1)
	v_add_lshl_u32 v1, v0, s0, 2
	v_lshlrev_b32_e32 v0, 4, v0
	s_lshl_b32 s3, s0, 2
	s_lshl_b32 s4, s0, 4
	s_set_inst_prefetch_distance 0x1
	.p2align	6
.LBB42_24:                              ; =>This Inner Loop Header: Depth=1
	s_delay_alu instid0(VALU_DEP_1) | instskip(NEXT) | instid1(VALU_DEP_1)
	v_add_co_u32 v3, s0, s15, v0
	v_add_co_ci_u32_e64 v4, null, s16, 0, s0
	v_cmp_le_i64_e32 vcc_lo, s[6:7], v[1:2]
	v_cmp_lt_u64_e64 s0, 0xffff, v[1:2]
	v_add_co_u32 v7, s1, s17, v0
	global_load_b128 v[3:6], v[3:4], off
	v_add_co_ci_u32_e64 v8, null, s18, 0, s1
	s_or_b32 s0, vcc_lo, s0
	s_add_u32 s15, s15, s4
	v_add_co_u32 v1, s1, v1, s3
	s_addc_u32 s16, s16, 0
	s_add_u32 s17, s17, s4
	v_add_co_ci_u32_e64 v2, s1, 0, v2, s1
	s_addc_u32 s18, s18, 0
	s_and_b32 s0, exec_lo, s0
	s_delay_alu instid0(SALU_CYCLE_1)
	s_or_b32 s2, s0, s2
	s_waitcnt vmcnt(0)
	v_dual_mul_f32 v3, s14, v3 :: v_dual_mul_f32 v4, s14, v4
	v_dual_mul_f32 v5, s14, v5 :: v_dual_mul_f32 v6, s14, v6
	global_store_b128 v[7:8], v[3:6], off
	s_and_not1_b32 exec_lo, exec_lo, s2
	s_cbranch_execnz .LBB42_24
.LBB42_25:
	s_set_inst_prefetch_distance 0x2
	s_nop 0
	s_sendmsg sendmsg(MSG_DEALLOC_VGPRS)
	s_endpgm
	.section	.rodata,"a",@progbits
	.p2align	6, 0x0
	.amdhsa_kernel _ZN2at6native12_GLOBAL__N_125multi_tensor_apply_kernelINS1_28TensorListScalarListMetadataIfLi2EEENS1_25BinaryOpScalarListFunctorIfLi2ELi1ELi1EEEJSt10multipliesIfEEEEvT_T0_DpT1_
		.amdhsa_group_segment_fixed_size 0
		.amdhsa_private_segment_fixed_size 0
		.amdhsa_kernarg_size 3656
		.amdhsa_user_sgpr_count 15
		.amdhsa_user_sgpr_dispatch_ptr 0
		.amdhsa_user_sgpr_queue_ptr 0
		.amdhsa_user_sgpr_kernarg_segment_ptr 1
		.amdhsa_user_sgpr_dispatch_id 0
		.amdhsa_user_sgpr_private_segment_size 0
		.amdhsa_wavefront_size32 1
		.amdhsa_uses_dynamic_stack 0
		.amdhsa_enable_private_segment 0
		.amdhsa_system_sgpr_workgroup_id_x 1
		.amdhsa_system_sgpr_workgroup_id_y 0
		.amdhsa_system_sgpr_workgroup_id_z 0
		.amdhsa_system_sgpr_workgroup_info 0
		.amdhsa_system_vgpr_workitem_id 0
		.amdhsa_next_free_vgpr 29
		.amdhsa_next_free_sgpr 22
		.amdhsa_reserve_vcc 1
		.amdhsa_float_round_mode_32 0
		.amdhsa_float_round_mode_16_64 0
		.amdhsa_float_denorm_mode_32 3
		.amdhsa_float_denorm_mode_16_64 3
		.amdhsa_dx10_clamp 1
		.amdhsa_ieee_mode 1
		.amdhsa_fp16_overflow 0
		.amdhsa_workgroup_processor_mode 1
		.amdhsa_memory_ordered 1
		.amdhsa_forward_progress 0
		.amdhsa_shared_vgpr_count 0
		.amdhsa_exception_fp_ieee_invalid_op 0
		.amdhsa_exception_fp_denorm_src 0
		.amdhsa_exception_fp_ieee_div_zero 0
		.amdhsa_exception_fp_ieee_overflow 0
		.amdhsa_exception_fp_ieee_underflow 0
		.amdhsa_exception_fp_ieee_inexact 0
		.amdhsa_exception_int_div_zero 0
	.end_amdhsa_kernel
	.section	.text._ZN2at6native12_GLOBAL__N_125multi_tensor_apply_kernelINS1_28TensorListScalarListMetadataIfLi2EEENS1_25BinaryOpScalarListFunctorIfLi2ELi1ELi1EEEJSt10multipliesIfEEEEvT_T0_DpT1_,"axG",@progbits,_ZN2at6native12_GLOBAL__N_125multi_tensor_apply_kernelINS1_28TensorListScalarListMetadataIfLi2EEENS1_25BinaryOpScalarListFunctorIfLi2ELi1ELi1EEEJSt10multipliesIfEEEEvT_T0_DpT1_,comdat
.Lfunc_end42:
	.size	_ZN2at6native12_GLOBAL__N_125multi_tensor_apply_kernelINS1_28TensorListScalarListMetadataIfLi2EEENS1_25BinaryOpScalarListFunctorIfLi2ELi1ELi1EEEJSt10multipliesIfEEEEvT_T0_DpT1_, .Lfunc_end42-_ZN2at6native12_GLOBAL__N_125multi_tensor_apply_kernelINS1_28TensorListScalarListMetadataIfLi2EEENS1_25BinaryOpScalarListFunctorIfLi2ELi1ELi1EEEJSt10multipliesIfEEEEvT_T0_DpT1_
                                        ; -- End function
	.section	.AMDGPU.csdata,"",@progbits
; Kernel info:
; codeLenInByte = 1440
; NumSgprs: 24
; NumVgprs: 29
; ScratchSize: 0
; MemoryBound: 0
; FloatMode: 240
; IeeeMode: 1
; LDSByteSize: 0 bytes/workgroup (compile time only)
; SGPRBlocks: 2
; VGPRBlocks: 3
; NumSGPRsForWavesPerEU: 24
; NumVGPRsForWavesPerEU: 29
; Occupancy: 16
; WaveLimiterHint : 0
; COMPUTE_PGM_RSRC2:SCRATCH_EN: 0
; COMPUTE_PGM_RSRC2:USER_SGPR: 15
; COMPUTE_PGM_RSRC2:TRAP_HANDLER: 0
; COMPUTE_PGM_RSRC2:TGID_X_EN: 1
; COMPUTE_PGM_RSRC2:TGID_Y_EN: 0
; COMPUTE_PGM_RSRC2:TGID_Z_EN: 0
; COMPUTE_PGM_RSRC2:TIDIG_COMP_CNT: 0
	.section	.text._ZN2at6native12_GLOBAL__N_125multi_tensor_apply_kernelINS1_28TensorListScalarListMetadataIN3c107complexIdEELi2EEENS1_25BinaryOpScalarListFunctorIS6_Li2ELi1ELi1EEEJSt10multipliesIS6_EEEEvT_T0_DpT1_,"axG",@progbits,_ZN2at6native12_GLOBAL__N_125multi_tensor_apply_kernelINS1_28TensorListScalarListMetadataIN3c107complexIdEELi2EEENS1_25BinaryOpScalarListFunctorIS6_Li2ELi1ELi1EEEJSt10multipliesIS6_EEEEvT_T0_DpT1_,comdat
	.globl	_ZN2at6native12_GLOBAL__N_125multi_tensor_apply_kernelINS1_28TensorListScalarListMetadataIN3c107complexIdEELi2EEENS1_25BinaryOpScalarListFunctorIS6_Li2ELi1ELi1EEEJSt10multipliesIS6_EEEEvT_T0_DpT1_ ; -- Begin function _ZN2at6native12_GLOBAL__N_125multi_tensor_apply_kernelINS1_28TensorListScalarListMetadataIN3c107complexIdEELi2EEENS1_25BinaryOpScalarListFunctorIS6_Li2ELi1ELi1EEEJSt10multipliesIS6_EEEEvT_T0_DpT1_
	.p2align	8
	.type	_ZN2at6native12_GLOBAL__N_125multi_tensor_apply_kernelINS1_28TensorListScalarListMetadataIN3c107complexIdEELi2EEENS1_25BinaryOpScalarListFunctorIS6_Li2ELi1ELi1EEEJSt10multipliesIS6_EEEEvT_T0_DpT1_,@function
_ZN2at6native12_GLOBAL__N_125multi_tensor_apply_kernelINS1_28TensorListScalarListMetadataIN3c107complexIdEELi2EEENS1_25BinaryOpScalarListFunctorIS6_Li2ELi1ELi1EEEJSt10multipliesIS6_EEEEvT_T0_DpT1_: ; @_ZN2at6native12_GLOBAL__N_125multi_tensor_apply_kernelINS1_28TensorListScalarListMetadataIN3c107complexIdEELi2EEENS1_25BinaryOpScalarListFunctorIS6_Li2ELi1ELi1EEEJSt10multipliesIS6_EEEEvT_T0_DpT1_
; %bb.0:
	v_mov_b32_e32 v1, s15
	s_add_u32 s2, s0, s15
	s_mul_hi_u32 s3, s15, 3
	s_mul_i32 s15, s15, 3
	s_addc_u32 s4, s1, 0
	global_load_u8 v1, v1, s[0:1] offset:2400
	s_add_u32 s2, s2, s15
	s_addc_u32 s3, s4, s3
	s_mov_b32 s17, 0
	s_load_b32 s6, s[2:3], 0xaa0
	s_waitcnt lgkmcnt(0)
	s_ashr_i32 s7, s6, 31
	s_waitcnt vmcnt(0)
	v_readfirstlane_b32 s2, v1
	s_delay_alu instid0(VALU_DEP_1)
	s_lshl_b32 s10, s2, 3
	s_clause 0x2
	s_load_b64 s[2:3], s[0:1], s10 offset:0x0
	s_load_b64 s[4:5], s[0:1], s10 offset:0x1e0
	;; [unrolled: 1-line block ×3, first 2 shown]
	s_add_u32 s8, s0, s10
	s_addc_u32 s9, s1, 0
	s_lshl_b64 s[12:13], s[6:7], 20
	s_load_b128 s[8:11], s[8:9], s10 offset:0x5a0
	s_waitcnt lgkmcnt(0)
	s_add_u32 s20, s2, s12
	s_addc_u32 s21, s3, s13
	s_add_u32 s22, s4, s12
	s_addc_u32 s23, s5, s13
	s_and_b32 s16, s20, 63
	s_and_b32 s18, s14, 3
	;; [unrolled: 1-line block ×3, first 2 shown]
	s_or_b32 s16, s16, s18
	s_lshl_b64 s[6:7], s[6:7], 16
	s_or_b32 s16, s19, s16
	s_sub_u32 s6, s14, s6
	s_subb_u32 s7, s15, s7
	s_cmp_eq_u64 s[16:17], 0
	s_mov_b32 s14, -1
	s_cbranch_scc1 .LBB43_21
; %bb.1:
	v_cmp_lt_i64_e64 s14, s[6:7], 1
	s_delay_alu instid0(VALU_DEP_1)
	s_and_b32 vcc_lo, exec_lo, s14
	s_cbranch_vccnz .LBB43_20
; %bb.2:
	s_load_b32 s14, s[0:1], 0xfb4
	v_mov_b32_e32 v1, 0
	v_lshl_or_b32 v2, v0, 4, 8
	v_cmp_gt_u64_e64 s16, 0x10000, s[6:7]
	s_mov_b32 s15, 0
	s_delay_alu instid0(VALU_DEP_3) | instskip(NEXT) | instid1(VALU_DEP_3)
	v_mov_b32_e32 v3, v1
	v_add_co_u32 v19, s17, s2, v2
	s_delay_alu instid0(VALU_DEP_1) | instskip(SKIP_1) | instid1(VALU_DEP_1)
	v_add_co_ci_u32_e64 v20, null, s3, 0, s17
	v_add_co_u32 v21, s17, s4, v2
	v_add_co_ci_u32_e64 v22, null, s5, 0, s17
	v_dual_mov_b32 v18, v1 :: v_dual_mov_b32 v17, v0
	s_waitcnt lgkmcnt(0)
	s_and_b32 s24, s14, 0xffff
	s_and_b32 s14, s16, exec_lo
	v_add_lshl_u32 v6, v0, s24, 4
	v_mad_u64_u32 v[4:5], null, s24, 48, v[2:3]
	s_cselect_b32 s17, s7, 0
	s_cselect_b32 s16, s6, 0x10000
	s_delay_alu instid0(VALU_DEP_2) | instskip(NEXT) | instid1(VALU_DEP_1)
	v_add_co_u32 v23, s14, s4, v6
	v_add_co_ci_u32_e64 v24, null, s5, 0, s14
	v_add_co_u32 v27, s14, s2, v6
	s_delay_alu instid0(VALU_DEP_1)
	v_add_co_ci_u32_e64 v28, null, s3, 0, s14
	s_lshl_b32 s14, s24, 5
	v_add_co_u32 v25, vcc_lo, s2, v4
	v_add_co_u32 v2, s14, v2, s14
	v_add_co_ci_u32_e32 v26, vcc_lo, s3, v5, vcc_lo
	v_add_co_ci_u32_e64 v3, null, 0, 0, s14
	v_add_co_u32 v29, vcc_lo, s4, v4
	v_add_co_ci_u32_e32 v30, vcc_lo, s5, v5, vcc_lo
	v_add_co_u32 v31, vcc_lo, s2, v2
	s_delay_alu instid0(VALU_DEP_4)
	v_add_co_ci_u32_e32 v32, vcc_lo, s3, v3, vcc_lo
	v_add_co_u32 v33, vcc_lo, s4, v2
	v_add_co_ci_u32_e32 v34, vcc_lo, s5, v3, vcc_lo
	s_lshl_b32 s14, s24, 2
	s_lshl_b32 s25, s24, 1
	s_mul_i32 s26, s24, 3
	s_lshl_b32 s27, s24, 6
	s_mov_b64 s[18:19], s[14:15]
	s_branch .LBB43_4
.LBB43_3:                               ;   in Loop: Header=BB43_4 Depth=1
	s_or_b32 exec_lo, exec_lo, s2
	v_add_co_u32 v17, vcc_lo, v17, s14
	v_add_co_ci_u32_e32 v18, vcc_lo, 0, v18, vcc_lo
	v_add_co_u32 v19, vcc_lo, v19, s27
	v_add_co_ci_u32_e32 v20, vcc_lo, 0, v20, vcc_lo
	;; [unrolled: 2-line block ×7, first 2 shown]
	v_cmp_lt_i64_e64 s2, s[18:19], s[6:7]
	v_cmp_gt_u64_e64 s3, 0x10000, s[18:19]
	v_add_co_u32 v31, vcc_lo, v31, s27
	v_add_co_ci_u32_e32 v32, vcc_lo, 0, v32, vcc_lo
	v_add_co_u32 v33, vcc_lo, v33, s27
	v_add_co_ci_u32_e32 v34, vcc_lo, 0, v34, vcc_lo
	s_and_b32 s2, s2, s3
	s_add_u32 s18, s18, s14
	s_addc_u32 s19, s19, 0
	s_and_b32 vcc_lo, exec_lo, s2
	s_cbranch_vccz .LBB43_20
.LBB43_4:                               ; =>This Inner Loop Header: Depth=1
	s_waitcnt vmcnt(0)
	v_mov_b32_e32 v3, 0
	v_mov_b32_e32 v4, 0
	v_cmp_gt_u64_e32 vcc_lo, s[16:17], v[17:18]
	s_delay_alu instid0(VALU_DEP_2)
	v_dual_mov_b32 v12, v4 :: v_dual_mov_b32 v11, v3
	v_dual_mov_b32 v10, v4 :: v_dual_mov_b32 v9, v3
	s_and_saveexec_b32 s3, vcc_lo
	s_cbranch_execz .LBB43_6
; %bb.5:                                ;   in Loop: Header=BB43_4 Depth=1
	v_add_co_u32 v1, s2, v19, s12
	s_delay_alu instid0(VALU_DEP_1)
	v_add_co_ci_u32_e64 v2, s2, s13, v20, s2
	global_load_b128 v[9:12], v[1:2], off offset:-8
.LBB43_6:                               ;   in Loop: Header=BB43_4 Depth=1
	s_or_b32 exec_lo, exec_lo, s3
	v_add_co_u32 v1, s2, s24, v17
	s_delay_alu instid0(VALU_DEP_1) | instskip(NEXT) | instid1(VALU_DEP_1)
	v_add_co_ci_u32_e64 v2, s2, 0, v18, s2
	v_cmp_gt_u64_e64 s2, s[16:17], v[1:2]
	v_dual_mov_b32 v1, v3 :: v_dual_mov_b32 v2, v4
	s_delay_alu instid0(VALU_DEP_2)
	s_and_saveexec_b32 s4, s2
	s_cbranch_execz .LBB43_8
; %bb.7:                                ;   in Loop: Header=BB43_4 Depth=1
	v_add_co_u32 v1, s3, v27, s12
	s_delay_alu instid0(VALU_DEP_1)
	v_add_co_ci_u32_e64 v2, s3, s13, v28, s3
	global_load_b128 v[1:4], v[1:2], off
.LBB43_8:                               ;   in Loop: Header=BB43_4 Depth=1
	s_or_b32 exec_lo, exec_lo, s4
	v_add_co_u32 v5, s3, s25, v17
	s_delay_alu instid0(VALU_DEP_1) | instskip(SKIP_2) | instid1(VALU_DEP_3)
	v_add_co_ci_u32_e64 v6, s3, 0, v18, s3
	v_mov_b32_e32 v7, 0
	v_mov_b32_e32 v8, 0
	v_cmp_gt_u64_e64 s3, s[16:17], v[5:6]
	s_delay_alu instid0(VALU_DEP_2) | instskip(SKIP_1) | instid1(VALU_DEP_3)
	v_dual_mov_b32 v16, v8 :: v_dual_mov_b32 v15, v7
	v_dual_mov_b32 v14, v8 :: v_dual_mov_b32 v13, v7
	s_and_saveexec_b32 s5, s3
	s_cbranch_execz .LBB43_10
; %bb.9:                                ;   in Loop: Header=BB43_4 Depth=1
	v_add_co_u32 v5, s4, v31, s12
	s_delay_alu instid0(VALU_DEP_1)
	v_add_co_ci_u32_e64 v6, s4, s13, v32, s4
	global_load_b128 v[13:16], v[5:6], off offset:-8
.LBB43_10:                              ;   in Loop: Header=BB43_4 Depth=1
	s_or_b32 exec_lo, exec_lo, s5
	v_add_co_u32 v5, s4, s26, v17
	s_delay_alu instid0(VALU_DEP_1) | instskip(NEXT) | instid1(VALU_DEP_1)
	v_add_co_ci_u32_e64 v6, s4, 0, v18, s4
	v_cmp_gt_u64_e64 s4, s[16:17], v[5:6]
	v_dual_mov_b32 v5, v7 :: v_dual_mov_b32 v6, v8
	s_delay_alu instid0(VALU_DEP_2)
	s_and_saveexec_b32 s15, s4
	s_cbranch_execnz .LBB43_15
; %bb.11:                               ;   in Loop: Header=BB43_4 Depth=1
	s_or_b32 exec_lo, exec_lo, s15
	s_and_saveexec_b32 s5, vcc_lo
	s_cbranch_execnz .LBB43_16
.LBB43_12:                              ;   in Loop: Header=BB43_4 Depth=1
	s_or_b32 exec_lo, exec_lo, s5
	s_and_saveexec_b32 s5, s2
	s_cbranch_execnz .LBB43_17
.LBB43_13:                              ;   in Loop: Header=BB43_4 Depth=1
	s_or_b32 exec_lo, exec_lo, s5
	s_and_saveexec_b32 s2, s3
	s_cbranch_execnz .LBB43_18
.LBB43_14:                              ;   in Loop: Header=BB43_4 Depth=1
	s_or_b32 exec_lo, exec_lo, s2
	s_and_saveexec_b32 s2, s4
	s_cbranch_execz .LBB43_3
	s_branch .LBB43_19
.LBB43_15:                              ;   in Loop: Header=BB43_4 Depth=1
	v_add_co_u32 v5, s5, v25, s12
	s_delay_alu instid0(VALU_DEP_1)
	v_add_co_ci_u32_e64 v6, s5, s13, v26, s5
	global_load_b128 v[5:8], v[5:6], off offset:-8
	s_or_b32 exec_lo, exec_lo, s15
	s_and_saveexec_b32 s5, vcc_lo
	s_cbranch_execz .LBB43_12
.LBB43_16:                              ;   in Loop: Header=BB43_4 Depth=1
	s_waitcnt vmcnt(0)
	v_mul_f64 v[35:36], s[10:11], v[9:10]
	v_mul_f64 v[37:38], s[10:11], v[11:12]
	s_delay_alu instid0(VALU_DEP_2) | instskip(NEXT) | instid1(VALU_DEP_2)
	v_fma_f64 v[11:12], s[8:9], v[11:12], v[35:36]
	v_fma_f64 v[9:10], s[8:9], v[9:10], -v[37:38]
	v_add_co_u32 v35, vcc_lo, v21, s12
	v_add_co_ci_u32_e32 v36, vcc_lo, s13, v22, vcc_lo
	global_store_b128 v[35:36], v[9:12], off offset:-8
	s_or_b32 exec_lo, exec_lo, s5
	s_and_saveexec_b32 s5, s2
	s_cbranch_execz .LBB43_13
.LBB43_17:                              ;   in Loop: Header=BB43_4 Depth=1
	s_waitcnt vmcnt(0)
	v_mul_f64 v[9:10], s[10:11], v[3:4]
	v_mul_f64 v[11:12], s[10:11], v[1:2]
	s_delay_alu instid0(VALU_DEP_2) | instskip(NEXT) | instid1(VALU_DEP_2)
	v_fma_f64 v[1:2], s[8:9], v[1:2], -v[9:10]
	v_fma_f64 v[3:4], s[8:9], v[3:4], v[11:12]
	v_add_co_u32 v9, vcc_lo, v23, s12
	v_add_co_ci_u32_e32 v10, vcc_lo, s13, v24, vcc_lo
	global_store_b128 v[9:10], v[1:4], off
	s_or_b32 exec_lo, exec_lo, s5
	s_and_saveexec_b32 s2, s3
	s_cbranch_execz .LBB43_14
.LBB43_18:                              ;   in Loop: Header=BB43_4 Depth=1
	s_waitcnt vmcnt(0)
	v_mul_f64 v[1:2], s[10:11], v[15:16]
	v_mul_f64 v[3:4], s[10:11], v[13:14]
	v_add_co_u32 v9, vcc_lo, v33, s12
	v_add_co_ci_u32_e32 v10, vcc_lo, s13, v34, vcc_lo
	s_delay_alu instid0(VALU_DEP_4) | instskip(NEXT) | instid1(VALU_DEP_4)
	v_fma_f64 v[1:2], s[8:9], v[13:14], -v[1:2]
	v_fma_f64 v[3:4], s[8:9], v[15:16], v[3:4]
	global_store_b128 v[9:10], v[1:4], off offset:-8
	s_or_b32 exec_lo, exec_lo, s2
	s_and_saveexec_b32 s2, s4
	s_cbranch_execz .LBB43_3
.LBB43_19:                              ;   in Loop: Header=BB43_4 Depth=1
	s_waitcnt vmcnt(0)
	v_mul_f64 v[1:2], s[10:11], v[7:8]
	v_mul_f64 v[3:4], s[10:11], v[5:6]
	s_delay_alu instid0(VALU_DEP_2) | instskip(NEXT) | instid1(VALU_DEP_2)
	v_fma_f64 v[1:2], s[8:9], v[5:6], -v[1:2]
	v_fma_f64 v[3:4], s[8:9], v[7:8], v[3:4]
	v_add_co_u32 v5, vcc_lo, v29, s12
	v_add_co_ci_u32_e32 v6, vcc_lo, s13, v30, vcc_lo
	global_store_b128 v[5:6], v[1:4], off offset:-8
	s_branch .LBB43_3
.LBB43_20:
	s_mov_b32 s14, 0
.LBB43_21:
	s_delay_alu instid0(SALU_CYCLE_1)
	s_and_not1_b32 vcc_lo, exec_lo, s14
	s_cbranch_vccnz .LBB43_25
; %bb.22:
	s_waitcnt vmcnt(0)
	v_dual_mov_b32 v2, 0 :: v_dual_lshlrev_b32 v1, 2, v0
	s_mov_b32 s2, 0
	s_mov_b32 s3, exec_lo
	s_delay_alu instid0(VALU_DEP_1)
	v_cmpx_gt_i64_e64 s[6:7], v[1:2]
	s_cbranch_execz .LBB43_25
; %bb.23:
	s_load_b32 s0, s[0:1], 0xfb4
	s_waitcnt lgkmcnt(0)
	s_and_b32 s0, s0, 0xffff
	s_delay_alu instid0(SALU_CYCLE_1)
	v_add_lshl_u32 v1, v0, s0, 2
	v_lshlrev_b32_e32 v0, 6, v0
	s_lshl_b32 s3, s0, 2
	s_lshl_b32 s4, s0, 6
.LBB43_24:                              ; =>This Inner Loop Header: Depth=1
	s_delay_alu instid0(VALU_DEP_1) | instskip(NEXT) | instid1(VALU_DEP_1)
	v_add_co_u32 v15, s0, s20, v0
	v_add_co_ci_u32_e64 v16, null, s21, 0, s0
	v_cmp_le_i64_e32 vcc_lo, s[6:7], v[1:2]
	v_cmp_lt_u64_e64 s0, 0xffff, v[1:2]
	s_clause 0x3
	global_load_b128 v[3:6], v[15:16], off
	global_load_b128 v[7:10], v[15:16], off offset:16
	global_load_b128 v[11:14], v[15:16], off offset:32
	;; [unrolled: 1-line block ×3, first 2 shown]
	s_or_b32 s0, vcc_lo, s0
	s_add_u32 s20, s20, s4
	s_addc_u32 s21, s21, 0
	s_waitcnt vmcnt(3)
	v_mul_f64 v[19:20], s[10:11], v[5:6]
	v_mul_f64 v[5:6], s[8:9], v[5:6]
	s_waitcnt vmcnt(2)
	v_mul_f64 v[21:22], s[10:11], v[9:10]
	v_mul_f64 v[9:10], s[8:9], v[9:10]
	;; [unrolled: 3-line block ×4, first 2 shown]
	v_fma_f64 v[17:18], s[8:9], v[3:4], -v[19:20]
	v_fma_f64 v[19:20], s[10:11], v[3:4], v[5:6]
	v_fma_f64 v[3:4], s[8:9], v[7:8], -v[21:22]
	v_fma_f64 v[5:6], s[10:11], v[7:8], v[9:10]
	;; [unrolled: 2-line block ×4, first 2 shown]
	v_add_co_u32 v15, s1, s22, v0
	s_delay_alu instid0(VALU_DEP_1)
	v_add_co_ci_u32_e64 v16, null, s23, 0, s1
	v_add_co_u32 v1, s1, v1, s3
	s_add_u32 s22, s22, s4
	v_add_co_ci_u32_e64 v2, s1, 0, v2, s1
	s_addc_u32 s23, s23, 0
	s_and_b32 s0, exec_lo, s0
	s_clause 0x3
	global_store_b128 v[15:16], v[17:20], off
	global_store_b128 v[15:16], v[3:6], off offset:16
	global_store_b128 v[15:16], v[7:10], off offset:32
	;; [unrolled: 1-line block ×3, first 2 shown]
	s_or_b32 s2, s0, s2
	s_delay_alu instid0(SALU_CYCLE_1)
	s_and_not1_b32 exec_lo, exec_lo, s2
	s_cbranch_execnz .LBB43_24
.LBB43_25:
	s_nop 0
	s_sendmsg sendmsg(MSG_DEALLOC_VGPRS)
	s_endpgm
	.section	.rodata,"a",@progbits
	.p2align	6, 0x0
	.amdhsa_kernel _ZN2at6native12_GLOBAL__N_125multi_tensor_apply_kernelINS1_28TensorListScalarListMetadataIN3c107complexIdEELi2EEENS1_25BinaryOpScalarListFunctorIS6_Li2ELi1ELi1EEEJSt10multipliesIS6_EEEEvT_T0_DpT1_
		.amdhsa_group_segment_fixed_size 0
		.amdhsa_private_segment_fixed_size 0
		.amdhsa_kernarg_size 4264
		.amdhsa_user_sgpr_count 15
		.amdhsa_user_sgpr_dispatch_ptr 0
		.amdhsa_user_sgpr_queue_ptr 0
		.amdhsa_user_sgpr_kernarg_segment_ptr 1
		.amdhsa_user_sgpr_dispatch_id 0
		.amdhsa_user_sgpr_private_segment_size 0
		.amdhsa_wavefront_size32 1
		.amdhsa_uses_dynamic_stack 0
		.amdhsa_enable_private_segment 0
		.amdhsa_system_sgpr_workgroup_id_x 1
		.amdhsa_system_sgpr_workgroup_id_y 0
		.amdhsa_system_sgpr_workgroup_id_z 0
		.amdhsa_system_sgpr_workgroup_info 0
		.amdhsa_system_vgpr_workitem_id 0
		.amdhsa_next_free_vgpr 39
		.amdhsa_next_free_sgpr 28
		.amdhsa_reserve_vcc 1
		.amdhsa_float_round_mode_32 0
		.amdhsa_float_round_mode_16_64 0
		.amdhsa_float_denorm_mode_32 3
		.amdhsa_float_denorm_mode_16_64 3
		.amdhsa_dx10_clamp 1
		.amdhsa_ieee_mode 1
		.amdhsa_fp16_overflow 0
		.amdhsa_workgroup_processor_mode 1
		.amdhsa_memory_ordered 1
		.amdhsa_forward_progress 0
		.amdhsa_shared_vgpr_count 0
		.amdhsa_exception_fp_ieee_invalid_op 0
		.amdhsa_exception_fp_denorm_src 0
		.amdhsa_exception_fp_ieee_div_zero 0
		.amdhsa_exception_fp_ieee_overflow 0
		.amdhsa_exception_fp_ieee_underflow 0
		.amdhsa_exception_fp_ieee_inexact 0
		.amdhsa_exception_int_div_zero 0
	.end_amdhsa_kernel
	.section	.text._ZN2at6native12_GLOBAL__N_125multi_tensor_apply_kernelINS1_28TensorListScalarListMetadataIN3c107complexIdEELi2EEENS1_25BinaryOpScalarListFunctorIS6_Li2ELi1ELi1EEEJSt10multipliesIS6_EEEEvT_T0_DpT1_,"axG",@progbits,_ZN2at6native12_GLOBAL__N_125multi_tensor_apply_kernelINS1_28TensorListScalarListMetadataIN3c107complexIdEELi2EEENS1_25BinaryOpScalarListFunctorIS6_Li2ELi1ELi1EEEJSt10multipliesIS6_EEEEvT_T0_DpT1_,comdat
.Lfunc_end43:
	.size	_ZN2at6native12_GLOBAL__N_125multi_tensor_apply_kernelINS1_28TensorListScalarListMetadataIN3c107complexIdEELi2EEENS1_25BinaryOpScalarListFunctorIS6_Li2ELi1ELi1EEEJSt10multipliesIS6_EEEEvT_T0_DpT1_, .Lfunc_end43-_ZN2at6native12_GLOBAL__N_125multi_tensor_apply_kernelINS1_28TensorListScalarListMetadataIN3c107complexIdEELi2EEENS1_25BinaryOpScalarListFunctorIS6_Li2ELi1ELi1EEEJSt10multipliesIS6_EEEEvT_T0_DpT1_
                                        ; -- End function
	.section	.AMDGPU.csdata,"",@progbits
; Kernel info:
; codeLenInByte = 1732
; NumSgprs: 30
; NumVgprs: 39
; ScratchSize: 0
; MemoryBound: 1
; FloatMode: 240
; IeeeMode: 1
; LDSByteSize: 0 bytes/workgroup (compile time only)
; SGPRBlocks: 3
; VGPRBlocks: 4
; NumSGPRsForWavesPerEU: 30
; NumVGPRsForWavesPerEU: 39
; Occupancy: 16
; WaveLimiterHint : 0
; COMPUTE_PGM_RSRC2:SCRATCH_EN: 0
; COMPUTE_PGM_RSRC2:USER_SGPR: 15
; COMPUTE_PGM_RSRC2:TRAP_HANDLER: 0
; COMPUTE_PGM_RSRC2:TGID_X_EN: 1
; COMPUTE_PGM_RSRC2:TGID_Y_EN: 0
; COMPUTE_PGM_RSRC2:TGID_Z_EN: 0
; COMPUTE_PGM_RSRC2:TIDIG_COMP_CNT: 0
	.section	.text._ZN2at6native12_GLOBAL__N_125multi_tensor_apply_kernelINS1_28TensorListScalarListMetadataIN3c107complexIfEELi2EEENS1_25BinaryOpScalarListFunctorIS6_Li2ELi1ELi1EEEJSt10multipliesIS6_EEEEvT_T0_DpT1_,"axG",@progbits,_ZN2at6native12_GLOBAL__N_125multi_tensor_apply_kernelINS1_28TensorListScalarListMetadataIN3c107complexIfEELi2EEENS1_25BinaryOpScalarListFunctorIS6_Li2ELi1ELi1EEEJSt10multipliesIS6_EEEEvT_T0_DpT1_,comdat
	.globl	_ZN2at6native12_GLOBAL__N_125multi_tensor_apply_kernelINS1_28TensorListScalarListMetadataIN3c107complexIfEELi2EEENS1_25BinaryOpScalarListFunctorIS6_Li2ELi1ELi1EEEJSt10multipliesIS6_EEEEvT_T0_DpT1_ ; -- Begin function _ZN2at6native12_GLOBAL__N_125multi_tensor_apply_kernelINS1_28TensorListScalarListMetadataIN3c107complexIfEELi2EEENS1_25BinaryOpScalarListFunctorIS6_Li2ELi1ELi1EEEJSt10multipliesIS6_EEEEvT_T0_DpT1_
	.p2align	8
	.type	_ZN2at6native12_GLOBAL__N_125multi_tensor_apply_kernelINS1_28TensorListScalarListMetadataIN3c107complexIfEELi2EEENS1_25BinaryOpScalarListFunctorIS6_Li2ELi1ELi1EEEJSt10multipliesIS6_EEEEvT_T0_DpT1_,@function
_ZN2at6native12_GLOBAL__N_125multi_tensor_apply_kernelINS1_28TensorListScalarListMetadataIN3c107complexIfEELi2EEENS1_25BinaryOpScalarListFunctorIS6_Li2ELi1ELi1EEEJSt10multipliesIS6_EEEEvT_T0_DpT1_: ; @_ZN2at6native12_GLOBAL__N_125multi_tensor_apply_kernelINS1_28TensorListScalarListMetadataIN3c107complexIfEELi2EEENS1_25BinaryOpScalarListFunctorIS6_Li2ELi1ELi1EEEJSt10multipliesIS6_EEEEvT_T0_DpT1_
; %bb.0:
	v_mov_b32_e32 v1, s15
	s_load_b64 s[8:9], s[0:1], 0x4
	s_mul_i32 s0, s15, 3
	s_mul_hi_u32 s1, s15, 3
	v_bfe_u32 v3, v0, 10, 10
	global_load_u8 v1, v1, s[2:3] offset:2048
	s_waitcnt lgkmcnt(0)
	s_lshr_b32 s10, s8, 16
	s_add_u32 s4, s2, s15
	s_addc_u32 s5, s3, 0
	s_add_u32 s0, s4, s0
	s_addc_u32 s1, s5, s1
	s_mul_i32 s10, s10, s9
	s_load_b32 s8, s[0:1], 0x940
	s_mov_b32 s15, 0
	s_delay_alu instid0(SALU_CYCLE_1)
	s_mov_b32 s17, s15
	s_mov_b32 s23, s15
	s_waitcnt vmcnt(0)
	v_readfirstlane_b32 s0, v1
	v_and_b32_e32 v1, 0x3ff, v0
	v_bfe_u32 v0, v0, 20, 10
	s_delay_alu instid0(VALU_DEP_3) | instskip(NEXT) | instid1(VALU_DEP_2)
	s_lshl_b32 s11, s0, 3
	v_mul_lo_u32 v2, s10, v1
	s_clause 0x3
	s_load_b64 s[0:1], s[2:3], s11 offset:0x0
	s_load_b64 s[6:7], s[2:3], s11 offset:0x600
	;; [unrolled: 1-line block ×4, first 2 shown]
	s_delay_alu instid0(VALU_DEP_1) | instskip(SKIP_2) | instid1(SALU_CYCLE_1)
	v_mad_u32_u24 v2, v3, s9, v2
	s_waitcnt lgkmcnt(0)
	s_ashr_i32 s9, s8, 31
	s_lshl_b64 s[10:11], s[8:9], 19
	s_delay_alu instid0(VALU_DEP_1)
	v_add_lshl_u32 v0, v2, v0, 3
	s_add_u32 s18, s0, s10
	s_addc_u32 s19, s1, s11
	s_add_u32 s20, s4, s10
	s_addc_u32 s21, s5, s11
	s_and_b32 s16, s18, 31
	s_and_b32 s22, s12, 3
	;; [unrolled: 1-line block ×3, first 2 shown]
	s_or_b64 s[16:17], s[16:17], s[22:23]
	s_lshl_b64 s[8:9], s[8:9], 16
	s_or_b64 s[14:15], s[14:15], s[16:17]
	s_sub_u32 s8, s12, s8
	s_subb_u32 s9, s13, s9
	s_cmp_eq_u64 s[14:15], 0
	s_mov_b32 s12, -1
	s_cbranch_scc1 .LBB44_19
; %bb.1:
	v_cmp_lt_i64_e64 s12, s[8:9], 1
	s_delay_alu instid0(VALU_DEP_1)
	s_and_b32 vcc_lo, exec_lo, s12
	s_cbranch_vccnz .LBB44_18
; %bb.2:
	s_load_b32 s12, s[2:3], 0xe54
	v_dual_mov_b32 v2, 0 :: v_dual_lshlrev_b32 v3, 3, v1
	s_mov_b64 s[14:15], src_shared_base
	v_cmp_gt_u64_e64 s14, 0x10000, s[8:9]
	v_mov_b32_e32 v13, s15
	s_delay_alu instid0(VALU_DEP_3) | instskip(SKIP_2) | instid1(VALU_DEP_2)
	v_or_b32_e32 v7, 4, v3
	v_mov_b32_e32 v4, v2
	s_mov_b32 s13, 0
	v_add_co_u32 v14, s15, s0, v7
	s_delay_alu instid0(VALU_DEP_1)
	v_add_co_ci_u32_e64 v15, null, s1, 0, s15
	s_waitcnt lgkmcnt(0)
	s_and_b32 s22, s12, 0xffff
	v_add_co_u32 v16, s12, s4, v7
	v_mad_u64_u32 v[5:6], null, s22, 24, v[3:4]
	v_add_co_ci_u32_e64 v17, null, s5, 0, s12
	s_and_b32 s12, s14, exec_lo
	s_cselect_b32 s15, s9, 0
	s_cselect_b32 s14, s8, 0x10000
	s_lshl_b32 s12, s22, 4
	s_delay_alu instid0(VALU_DEP_2)
	v_add_co_u32 v18, vcc_lo, s0, v5
	v_add_co_u32 v4, s12, v7, s12
	v_add_co_ci_u32_e32 v19, vcc_lo, s1, v6, vcc_lo
	v_add_co_u32 v20, vcc_lo, s4, v5
	v_add_co_ci_u32_e64 v5, null, 0, 0, s12
	v_add_co_ci_u32_e32 v21, vcc_lo, s5, v6, vcc_lo
	v_add_lshl_u32 v3, v1, s22, 3
	v_add_co_u32 v24, vcc_lo, s0, v4
	s_delay_alu instid0(VALU_DEP_4) | instskip(SKIP_1) | instid1(VALU_DEP_4)
	v_add_co_ci_u32_e32 v25, vcc_lo, s1, v5, vcc_lo
	v_add_co_u32 v28, vcc_lo, s4, v4
	v_add_co_u32 v22, s12, s4, v3
	v_add_co_u32 v26, s0, s0, v3
	v_add_co_ci_u32_e32 v29, vcc_lo, s5, v5, vcc_lo
	v_mov_b32_e32 v6, v2
	v_add_co_ci_u32_e64 v23, null, s5, 0, s12
	v_add_co_ci_u32_e64 v27, null, s1, 0, s0
	v_mov_b32_e32 v3, v2
	v_dual_mov_b32 v4, v2 :: v_dual_mov_b32 v5, v1
	s_lshl_b32 s12, s22, 2
	s_lshl_b32 s23, s22, 1
	s_mul_i32 s24, s22, 3
	s_lshl_b32 s5, s22, 5
	s_mov_b64 s[16:17], s[12:13]
	s_branch .LBB44_4
.LBB44_3:                               ;   in Loop: Header=BB44_4 Depth=1
	s_or_b32 exec_lo, exec_lo, s0
	v_add_co_u32 v5, vcc_lo, v5, s12
	v_add_co_ci_u32_e32 v6, vcc_lo, 0, v6, vcc_lo
	v_add_co_u32 v14, vcc_lo, v14, s5
	v_add_co_ci_u32_e32 v15, vcc_lo, 0, v15, vcc_lo
	;; [unrolled: 2-line block ×7, first 2 shown]
	v_cmp_lt_i64_e64 s0, s[16:17], s[8:9]
	v_cmp_gt_u64_e64 s1, 0x10000, s[16:17]
	v_add_co_u32 v26, vcc_lo, v26, s5
	v_add_co_ci_u32_e32 v27, vcc_lo, 0, v27, vcc_lo
	v_add_co_u32 v28, vcc_lo, v28, s5
	v_add_co_ci_u32_e32 v29, vcc_lo, 0, v29, vcc_lo
	s_and_b32 s0, s0, s1
	s_add_u32 s16, s16, s12
	s_addc_u32 s17, s17, 0
	s_and_b32 vcc_lo, exec_lo, s0
	s_cbranch_vccz .LBB44_18
.LBB44_4:                               ; =>This Inner Loop Header: Depth=1
	v_cmp_gt_u64_e32 vcc_lo, s[14:15], v[5:6]
	v_dual_mov_b32 v10, 0 :: v_dual_mov_b32 v9, 0
	s_and_saveexec_b32 s1, vcc_lo
	s_cbranch_execz .LBB44_6
; %bb.5:                                ;   in Loop: Header=BB44_4 Depth=1
	v_add_co_u32 v7, s0, v14, s10
	s_delay_alu instid0(VALU_DEP_1)
	v_add_co_ci_u32_e64 v8, s0, s11, v15, s0
	global_load_b64 v[9:10], v[7:8], off offset:-4
.LBB44_6:                               ;   in Loop: Header=BB44_4 Depth=1
	s_or_b32 exec_lo, exec_lo, s1
	v_add_co_u32 v11, s0, s22, v5
	s_delay_alu instid0(VALU_DEP_1) | instskip(SKIP_1) | instid1(VALU_DEP_2)
	v_add_co_ci_u32_e64 v12, s0, 0, v6, s0
	v_mov_b32_e32 v8, 0
	v_cmp_gt_u64_e64 s0, s[14:15], v[11:12]
	v_dual_mov_b32 v11, 0 :: v_dual_mov_b32 v12, 0
	s_delay_alu instid0(VALU_DEP_2)
	s_and_saveexec_b32 s4, s0
	s_cbranch_execz .LBB44_8
; %bb.7:                                ;   in Loop: Header=BB44_4 Depth=1
	v_add_co_u32 v11, s1, v26, s10
	s_delay_alu instid0(VALU_DEP_1)
	v_add_co_ci_u32_e64 v12, s1, s11, v27, s1
	global_load_b64 v[11:12], v[11:12], off
.LBB44_8:                               ;   in Loop: Header=BB44_4 Depth=1
	s_or_b32 exec_lo, exec_lo, s4
	v_add_co_u32 v30, s1, s23, v5
	s_delay_alu instid0(VALU_DEP_1) | instskip(SKIP_1) | instid1(VALU_DEP_2)
	v_add_co_ci_u32_e64 v31, s1, 0, v6, s1
	v_mov_b32_e32 v7, 0
	v_cmp_gt_u64_e64 s1, s[14:15], v[30:31]
	s_delay_alu instid0(VALU_DEP_1)
	s_and_saveexec_b32 s13, s1
	s_cbranch_execz .LBB44_10
; %bb.9:                                ;   in Loop: Header=BB44_4 Depth=1
	v_add_co_u32 v7, s4, v24, s10
	s_delay_alu instid0(VALU_DEP_1)
	v_add_co_ci_u32_e64 v8, s4, s11, v25, s4
	global_load_b64 v[7:8], v[7:8], off offset:-4
.LBB44_10:                              ;   in Loop: Header=BB44_4 Depth=1
	s_or_b32 exec_lo, exec_lo, s13
	v_add_co_u32 v30, s4, s24, v5
	s_delay_alu instid0(VALU_DEP_1) | instskip(SKIP_1) | instid1(VALU_DEP_1)
	v_add_co_ci_u32_e64 v31, s4, 0, v6, s4
	v_add_co_u32 v2, s4, v18, s10
	v_add_co_ci_u32_e64 v32, s4, s11, v19, s4
	s_delay_alu instid0(VALU_DEP_3)
	v_cmp_gt_u64_e64 s4, s[14:15], v[30:31]
	ds_store_b64 v0, v[3:4]
	v_cndmask_b32_e64 v31, v13, v32, s4
	v_cndmask_b32_e64 v30, v0, v2, s4
	flat_load_b64 v[30:31], v[30:31]
	s_waitcnt vmcnt(0) lgkmcnt(0)
	v_mul_f32_e32 v2, s7, v31
	v_mul_f32_e32 v32, s6, v31
	s_delay_alu instid0(VALU_DEP_2) | instskip(NEXT) | instid1(VALU_DEP_2)
	v_fma_f32 v31, s6, v30, -v2
	v_fmac_f32_e32 v32, s7, v30
	ds_store_b64 v0, v[31:32]
	s_and_saveexec_b32 s13, vcc_lo
	s_cbranch_execnz .LBB44_14
; %bb.11:                               ;   in Loop: Header=BB44_4 Depth=1
	s_or_b32 exec_lo, exec_lo, s13
	s_and_saveexec_b32 s13, s0
	s_cbranch_execnz .LBB44_15
.LBB44_12:                              ;   in Loop: Header=BB44_4 Depth=1
	s_or_b32 exec_lo, exec_lo, s13
	s_and_saveexec_b32 s0, s1
	s_cbranch_execnz .LBB44_16
.LBB44_13:                              ;   in Loop: Header=BB44_4 Depth=1
	s_or_b32 exec_lo, exec_lo, s0
	s_and_saveexec_b32 s0, s4
	s_cbranch_execz .LBB44_3
	s_branch .LBB44_17
.LBB44_14:                              ;   in Loop: Header=BB44_4 Depth=1
	v_dual_mul_f32 v2, s7, v10 :: v_dual_mul_f32 v31, s7, v9
	v_add_co_u32 v32, vcc_lo, v16, s10
	v_add_co_ci_u32_e32 v33, vcc_lo, s11, v17, vcc_lo
	s_delay_alu instid0(VALU_DEP_3) | instskip(NEXT) | instid1(VALU_DEP_4)
	v_fma_f32 v30, v9, s6, -v2
	v_fmac_f32_e32 v31, s6, v10
	global_store_b64 v[32:33], v[30:31], off offset:-4
	s_or_b32 exec_lo, exec_lo, s13
	s_and_saveexec_b32 s13, s0
	s_cbranch_execz .LBB44_12
.LBB44_15:                              ;   in Loop: Header=BB44_4 Depth=1
	v_mul_f32_e32 v2, s7, v12
	v_mul_f32_e32 v10, s7, v11
	s_delay_alu instid0(VALU_DEP_2) | instskip(SKIP_1) | instid1(VALU_DEP_3)
	v_fma_f32 v9, v11, s6, -v2
	v_add_co_u32 v11, vcc_lo, v22, s10
	v_fmac_f32_e32 v10, s6, v12
	v_add_co_ci_u32_e32 v12, vcc_lo, s11, v23, vcc_lo
	global_store_b64 v[11:12], v[9:10], off
	s_or_b32 exec_lo, exec_lo, s13
	s_and_saveexec_b32 s0, s1
	s_cbranch_execz .LBB44_13
.LBB44_16:                              ;   in Loop: Header=BB44_4 Depth=1
	v_mul_f32_e32 v2, s7, v8
	v_mul_f32_e32 v10, s7, v7
	s_delay_alu instid0(VALU_DEP_2) | instskip(SKIP_1) | instid1(VALU_DEP_3)
	v_fma_f32 v9, v7, s6, -v2
	v_add_co_u32 v7, vcc_lo, v28, s10
	v_fmac_f32_e32 v10, s6, v8
	v_add_co_ci_u32_e32 v8, vcc_lo, s11, v29, vcc_lo
	global_store_b64 v[7:8], v[9:10], off offset:-4
	s_or_b32 exec_lo, exec_lo, s0
	s_and_saveexec_b32 s0, s4
	s_cbranch_execz .LBB44_3
.LBB44_17:                              ;   in Loop: Header=BB44_4 Depth=1
	ds_load_b64 v[7:8], v0
	v_add_co_u32 v9, vcc_lo, v20, s10
	v_add_co_ci_u32_e32 v10, vcc_lo, s11, v21, vcc_lo
	s_waitcnt lgkmcnt(0)
	global_store_b64 v[9:10], v[7:8], off
	s_branch .LBB44_3
.LBB44_18:
	s_mov_b32 s12, 0
.LBB44_19:
	s_delay_alu instid0(SALU_CYCLE_1)
	s_and_not1_b32 vcc_lo, exec_lo, s12
	s_cbranch_vccnz .LBB44_23
; %bb.20:
	v_dual_mov_b32 v3, 0 :: v_dual_lshlrev_b32 v2, 2, v1
	s_mov_b32 s4, 0
	s_mov_b32 s0, exec_lo
	s_delay_alu instid0(VALU_DEP_1)
	v_cmpx_gt_i64_e64 s[8:9], v[2:3]
	s_cbranch_execz .LBB44_23
; %bb.21:
	s_load_b32 s0, s[2:3], 0xe54
	s_waitcnt lgkmcnt(0)
	s_and_b32 s0, s0, 0xffff
	s_delay_alu instid0(SALU_CYCLE_1)
	v_add_lshl_u32 v2, v1, s0, 2
	v_lshlrev_b32_e32 v1, 5, v1
	s_lshl_b32 s2, s0, 2
	s_lshl_b32 s3, s0, 5
.LBB44_22:                              ; =>This Inner Loop Header: Depth=1
	s_delay_alu instid0(VALU_DEP_1) | instskip(NEXT) | instid1(VALU_DEP_1)
	v_add_co_u32 v8, s0, s18, v1
	v_add_co_ci_u32_e64 v9, null, s19, 0, s0
	v_cmp_le_i64_e32 vcc_lo, s[8:9], v[2:3]
	v_cmp_lt_u64_e64 s0, 0xffff, v[2:3]
	v_add_co_u32 v15, s1, s20, v1
	s_clause 0x1
	global_load_b128 v[4:7], v[8:9], off
	global_load_b128 v[8:11], v[8:9], off offset:16
	v_add_co_ci_u32_e64 v16, null, s21, 0, s1
	s_or_b32 s0, vcc_lo, s0
	s_add_u32 s18, s18, s3
	v_add_co_u32 v2, s1, v2, s2
	s_addc_u32 s19, s19, 0
	s_add_u32 s20, s20, s3
	v_add_co_ci_u32_e64 v3, s1, 0, v3, s1
	s_addc_u32 s21, s21, 0
	s_and_b32 s0, exec_lo, s0
	s_delay_alu instid0(SALU_CYCLE_1)
	s_or_b32 s4, s0, s4
	s_waitcnt vmcnt(1)
	v_dual_mul_f32 v13, s7, v5 :: v_dual_mul_f32 v14, s6, v7
	v_dual_mul_f32 v12, s6, v5 :: v_dual_mul_f32 v17, s7, v7
	s_waitcnt vmcnt(0)
	v_mul_f32_e32 v18, s7, v9
	v_mul_f32_e32 v5, s6, v9
	s_delay_alu instid0(VALU_DEP_3) | instskip(SKIP_3) | instid1(VALU_DEP_4)
	v_dual_mul_f32 v9, s7, v11 :: v_dual_fmac_f32 v12, s7, v4
	v_dual_mul_f32 v7, s6, v11 :: v_dual_fmac_f32 v14, s7, v6
	v_fma_f32 v11, v4, s6, -v13
	v_fma_f32 v13, v6, s6, -v17
	;; [unrolled: 1-line block ×3, first 2 shown]
	s_delay_alu instid0(VALU_DEP_4)
	v_fmac_f32_e32 v7, s7, v10
	v_fma_f32 v4, v8, s6, -v18
	v_fmac_f32_e32 v5, s7, v8
	ds_store_b64 v0, v[6:7]
	s_clause 0x1
	global_store_b128 v[15:16], v[11:14], off
	global_store_b128 v[15:16], v[4:7], off offset:16
	s_and_not1_b32 exec_lo, exec_lo, s4
	s_cbranch_execnz .LBB44_22
.LBB44_23:
	s_nop 0
	s_sendmsg sendmsg(MSG_DEALLOC_VGPRS)
	s_endpgm
	.section	.rodata,"a",@progbits
	.p2align	6, 0x0
	.amdhsa_kernel _ZN2at6native12_GLOBAL__N_125multi_tensor_apply_kernelINS1_28TensorListScalarListMetadataIN3c107complexIfEELi2EEENS1_25BinaryOpScalarListFunctorIS6_Li2ELi1ELi1EEEJSt10multipliesIS6_EEEEvT_T0_DpT1_
		.amdhsa_group_segment_fixed_size 4096
		.amdhsa_private_segment_fixed_size 0
		.amdhsa_kernarg_size 3912
		.amdhsa_user_sgpr_count 15
		.amdhsa_user_sgpr_dispatch_ptr 1
		.amdhsa_user_sgpr_queue_ptr 0
		.amdhsa_user_sgpr_kernarg_segment_ptr 1
		.amdhsa_user_sgpr_dispatch_id 0
		.amdhsa_user_sgpr_private_segment_size 0
		.amdhsa_wavefront_size32 1
		.amdhsa_uses_dynamic_stack 0
		.amdhsa_enable_private_segment 0
		.amdhsa_system_sgpr_workgroup_id_x 1
		.amdhsa_system_sgpr_workgroup_id_y 0
		.amdhsa_system_sgpr_workgroup_id_z 0
		.amdhsa_system_sgpr_workgroup_info 0
		.amdhsa_system_vgpr_workitem_id 2
		.amdhsa_next_free_vgpr 34
		.amdhsa_next_free_sgpr 25
		.amdhsa_reserve_vcc 1
		.amdhsa_float_round_mode_32 0
		.amdhsa_float_round_mode_16_64 0
		.amdhsa_float_denorm_mode_32 3
		.amdhsa_float_denorm_mode_16_64 3
		.amdhsa_dx10_clamp 1
		.amdhsa_ieee_mode 1
		.amdhsa_fp16_overflow 0
		.amdhsa_workgroup_processor_mode 1
		.amdhsa_memory_ordered 1
		.amdhsa_forward_progress 0
		.amdhsa_shared_vgpr_count 0
		.amdhsa_exception_fp_ieee_invalid_op 0
		.amdhsa_exception_fp_denorm_src 0
		.amdhsa_exception_fp_ieee_div_zero 0
		.amdhsa_exception_fp_ieee_overflow 0
		.amdhsa_exception_fp_ieee_underflow 0
		.amdhsa_exception_fp_ieee_inexact 0
		.amdhsa_exception_int_div_zero 0
	.end_amdhsa_kernel
	.section	.text._ZN2at6native12_GLOBAL__N_125multi_tensor_apply_kernelINS1_28TensorListScalarListMetadataIN3c107complexIfEELi2EEENS1_25BinaryOpScalarListFunctorIS6_Li2ELi1ELi1EEEJSt10multipliesIS6_EEEEvT_T0_DpT1_,"axG",@progbits,_ZN2at6native12_GLOBAL__N_125multi_tensor_apply_kernelINS1_28TensorListScalarListMetadataIN3c107complexIfEELi2EEENS1_25BinaryOpScalarListFunctorIS6_Li2ELi1ELi1EEEJSt10multipliesIS6_EEEEvT_T0_DpT1_,comdat
.Lfunc_end44:
	.size	_ZN2at6native12_GLOBAL__N_125multi_tensor_apply_kernelINS1_28TensorListScalarListMetadataIN3c107complexIfEELi2EEENS1_25BinaryOpScalarListFunctorIS6_Li2ELi1ELi1EEEJSt10multipliesIS6_EEEEvT_T0_DpT1_, .Lfunc_end44-_ZN2at6native12_GLOBAL__N_125multi_tensor_apply_kernelINS1_28TensorListScalarListMetadataIN3c107complexIfEELi2EEENS1_25BinaryOpScalarListFunctorIS6_Li2ELi1ELi1EEEJSt10multipliesIS6_EEEEvT_T0_DpT1_
                                        ; -- End function
	.section	.AMDGPU.csdata,"",@progbits
; Kernel info:
; codeLenInByte = 1648
; NumSgprs: 27
; NumVgprs: 34
; ScratchSize: 0
; MemoryBound: 0
; FloatMode: 240
; IeeeMode: 1
; LDSByteSize: 4096 bytes/workgroup (compile time only)
; SGPRBlocks: 3
; VGPRBlocks: 4
; NumSGPRsForWavesPerEU: 27
; NumVGPRsForWavesPerEU: 34
; Occupancy: 16
; WaveLimiterHint : 1
; COMPUTE_PGM_RSRC2:SCRATCH_EN: 0
; COMPUTE_PGM_RSRC2:USER_SGPR: 15
; COMPUTE_PGM_RSRC2:TRAP_HANDLER: 0
; COMPUTE_PGM_RSRC2:TGID_X_EN: 1
; COMPUTE_PGM_RSRC2:TGID_Y_EN: 0
; COMPUTE_PGM_RSRC2:TGID_Z_EN: 0
; COMPUTE_PGM_RSRC2:TIDIG_COMP_CNT: 2
	.section	.text._ZN2at6native12_GLOBAL__N_125multi_tensor_apply_kernelINS1_28TensorListScalarListMetadataIbLi2EEENS1_25BinaryOpScalarListFunctorIbLi2ELi1ELi1EEEJSt10multipliesIbEEEEvT_T0_DpT1_,"axG",@progbits,_ZN2at6native12_GLOBAL__N_125multi_tensor_apply_kernelINS1_28TensorListScalarListMetadataIbLi2EEENS1_25BinaryOpScalarListFunctorIbLi2ELi1ELi1EEEJSt10multipliesIbEEEEvT_T0_DpT1_,comdat
	.globl	_ZN2at6native12_GLOBAL__N_125multi_tensor_apply_kernelINS1_28TensorListScalarListMetadataIbLi2EEENS1_25BinaryOpScalarListFunctorIbLi2ELi1ELi1EEEJSt10multipliesIbEEEEvT_T0_DpT1_ ; -- Begin function _ZN2at6native12_GLOBAL__N_125multi_tensor_apply_kernelINS1_28TensorListScalarListMetadataIbLi2EEENS1_25BinaryOpScalarListFunctorIbLi2ELi1ELi1EEEJSt10multipliesIbEEEEvT_T0_DpT1_
	.p2align	8
	.type	_ZN2at6native12_GLOBAL__N_125multi_tensor_apply_kernelINS1_28TensorListScalarListMetadataIbLi2EEENS1_25BinaryOpScalarListFunctorIbLi2ELi1ELi1EEEJSt10multipliesIbEEEEvT_T0_DpT1_,@function
_ZN2at6native12_GLOBAL__N_125multi_tensor_apply_kernelINS1_28TensorListScalarListMetadataIbLi2EEENS1_25BinaryOpScalarListFunctorIbLi2ELi1ELi1EEEJSt10multipliesIbEEEEvT_T0_DpT1_: ; @_ZN2at6native12_GLOBAL__N_125multi_tensor_apply_kernelINS1_28TensorListScalarListMetadataIbLi2EEENS1_25BinaryOpScalarListFunctorIbLi2ELi1ELi1EEEJSt10multipliesIbEEEEvT_T0_DpT1_
; %bb.0:
	v_mov_b32_e32 v1, s15
	s_mul_hi_u32 s3, s15, 3
	global_load_u8 v3, v1, s[0:1] offset:1600
	s_waitcnt vmcnt(0)
	v_add_co_u32 v1, s2, s0, v3
	s_delay_alu instid0(VALU_DEP_1)
	v_add_co_ci_u32_e64 v2, null, s1, 0, s2
	s_add_u32 s2, s0, s15
	s_mul_i32 s15, s15, 3
	s_addc_u32 s4, s1, 0
	global_load_u8 v1, v[1:2], off offset:1536
	s_add_u32 s2, s2, s15
	s_addc_u32 s3, s4, s3
	v_readfirstlane_b32 s5, v3
	s_load_b32 s6, s[2:3], 0x780
	s_delay_alu instid0(VALU_DEP_1)
	s_lshl_b32 s7, s5, 3
	s_clause 0x2
	s_load_b64 s[4:5], s[0:1], s7 offset:0x0
	s_load_b64 s[2:3], s[0:1], s7 offset:0x200
	;; [unrolled: 1-line block ×3, first 2 shown]
	s_waitcnt lgkmcnt(0)
	s_ashr_i32 s7, s6, 31
	s_delay_alu instid0(SALU_CYCLE_1) | instskip(NEXT) | instid1(SALU_CYCLE_1)
	s_lshl_b64 s[12:13], s[6:7], 16
	s_add_u32 s6, s4, s12
	s_addc_u32 s7, s5, s13
	s_add_u32 s14, s2, s12
	s_addc_u32 s15, s3, s13
	s_or_b64 s[10:11], s[8:9], s[6:7]
	s_delay_alu instid0(SALU_CYCLE_1) | instskip(NEXT) | instid1(SALU_CYCLE_1)
	s_or_b32 s10, s14, s10
	s_and_b32 s10, s10, 3
	s_waitcnt vmcnt(0)
	v_readfirstlane_b32 s11, v1
	s_delay_alu instid0(VALU_DEP_1)
	s_bitcmp1_b32 s11, 0
	s_cselect_b32 s16, -1, 0
	s_sub_u32 s8, s8, s12
	s_subb_u32 s9, s9, s13
	s_cmp_eq_u32 s10, 0
	s_mov_b32 s10, -1
	s_cbranch_scc1 .LBB45_21
; %bb.1:
	v_cmp_lt_i64_e64 s10, s[8:9], 1
	s_delay_alu instid0(VALU_DEP_1)
	s_and_b32 vcc_lo, exec_lo, s10
	s_cbranch_vccnz .LBB45_20
; %bb.2:
	s_load_b32 s10, s[0:1], 0xc94
	v_add_co_u32 v15, s11, s12, v0
	s_delay_alu instid0(VALU_DEP_1) | instskip(SKIP_1) | instid1(VALU_DEP_3)
	v_add_co_ci_u32_e64 v16, null, s13, 0, s11
	v_cmp_gt_u64_e64 s11, 0x10000, s[8:9]
	v_add_co_u32 v1, vcc_lo, s4, v15
	s_delay_alu instid0(VALU_DEP_3)
	v_add_co_ci_u32_e32 v2, vcc_lo, s5, v16, vcc_lo
	v_add_co_u32 v3, vcc_lo, s2, v15
	v_add_co_ci_u32_e32 v4, vcc_lo, s3, v16, vcc_lo
	s_waitcnt lgkmcnt(0)
	s_and_b32 s18, s10, 0xffff
	s_and_b32 s10, s11, exec_lo
	s_mul_i32 s20, s18, 3
	s_cselect_b32 s11, s9, 0
	s_cselect_b32 s10, s8, 0x10000
	s_lshl_b32 s19, s18, 1
	s_lshl_b32 s17, s18, 2
	s_add_u32 s21, s12, s20
	s_addc_u32 s22, s13, 0
	v_add_co_u32 v7, s21, s21, v0
	s_delay_alu instid0(VALU_DEP_1) | instskip(SKIP_1) | instid1(VALU_DEP_2)
	v_add_co_ci_u32_e64 v8, null, s22, 0, s21
	s_add_u32 s12, s12, s19
	v_add_co_u32 v5, vcc_lo, s4, v7
	s_addc_u32 s13, s13, 0
	v_add_co_u32 v13, s12, s12, v0
	v_add_co_ci_u32_e32 v6, vcc_lo, s5, v8, vcc_lo
	v_add_co_u32 v7, vcc_lo, s2, v7
	v_add_co_ci_u32_e64 v14, null, s13, 0, s12
	v_add_co_ci_u32_e32 v8, vcc_lo, s3, v8, vcc_lo
	v_add_co_u32 v11, vcc_lo, s4, v13
	s_delay_alu instid0(VALU_DEP_3)
	v_add_co_ci_u32_e32 v12, vcc_lo, s5, v14, vcc_lo
	v_add_co_u32 v13, vcc_lo, s2, v13
	v_add_co_ci_u32_e32 v14, vcc_lo, s3, v14, vcc_lo
	v_add_co_u32 v19, vcc_lo, v15, s18
	v_add_co_ci_u32_e32 v20, vcc_lo, 0, v16, vcc_lo
	v_add_co_u32 v9, s12, s20, v0
	s_delay_alu instid0(VALU_DEP_3) | instskip(NEXT) | instid1(VALU_DEP_3)
	v_add_co_u32 v17, vcc_lo, s4, v19
	v_add_co_ci_u32_e32 v18, vcc_lo, s5, v20, vcc_lo
	v_add_co_ci_u32_e64 v10, null, 0, 0, s12
	v_add_co_u32 v15, s12, s19, v0
	v_add_co_u32 v19, vcc_lo, s2, v19
	v_add_co_u32 v21, s2, v0, s18
	v_add_co_ci_u32_e64 v16, null, 0, 0, s12
	v_add_co_ci_u32_e32 v20, vcc_lo, s3, v20, vcc_lo
	v_add_co_ci_u32_e64 v22, null, 0, 0, s2
	s_mov_b64 s[12:13], 0
	s_branch .LBB45_4
.LBB45_3:                               ;   in Loop: Header=BB45_4 Depth=1
	s_or_b32 exec_lo, exec_lo, s2
	s_add_u32 s12, s12, s17
	s_addc_u32 s13, s13, 0
	s_delay_alu instid0(SALU_CYCLE_1) | instskip(SKIP_1) | instid1(VALU_DEP_1)
	v_cmp_lt_i64_e64 s2, s[12:13], s[8:9]
	v_cmp_gt_u64_e64 s3, 0x10000, s[12:13]
	s_and_b32 s2, s2, s3
	s_delay_alu instid0(SALU_CYCLE_1)
	s_and_b32 vcc_lo, exec_lo, s2
	s_cbranch_vccz .LBB45_20
.LBB45_4:                               ; =>This Inner Loop Header: Depth=1
	s_waitcnt vmcnt(0)
	v_add_co_u32 v23, s2, v0, s12
	s_delay_alu instid0(VALU_DEP_1) | instskip(NEXT) | instid1(VALU_DEP_1)
	v_add_co_ci_u32_e64 v24, null, 0, s13, s2
	v_cmp_gt_u64_e32 vcc_lo, s[10:11], v[23:24]
	v_mov_b32_e32 v24, 0
	s_and_saveexec_b32 s3, vcc_lo
	s_cbranch_execz .LBB45_6
; %bb.5:                                ;   in Loop: Header=BB45_4 Depth=1
	v_add_co_u32 v23, s2, v1, s12
	s_delay_alu instid0(VALU_DEP_1)
	v_add_co_ci_u32_e64 v24, s2, s13, v2, s2
	global_load_u8 v24, v[23:24], off
.LBB45_6:                               ;   in Loop: Header=BB45_4 Depth=1
	s_or_b32 exec_lo, exec_lo, s3
	v_add_co_u32 v25, s2, v21, s12
	s_delay_alu instid0(VALU_DEP_1) | instskip(NEXT) | instid1(VALU_DEP_1)
	v_add_co_ci_u32_e64 v26, s2, s13, v22, s2
	v_cmp_gt_u64_e64 s2, s[10:11], v[25:26]
	v_mov_b32_e32 v25, 0
	s_delay_alu instid0(VALU_DEP_2)
	s_and_saveexec_b32 s4, s2
	s_cbranch_execz .LBB45_8
; %bb.7:                                ;   in Loop: Header=BB45_4 Depth=1
	v_add_co_u32 v25, s3, v17, s12
	s_delay_alu instid0(VALU_DEP_1)
	v_add_co_ci_u32_e64 v26, s3, s13, v18, s3
	global_load_u8 v25, v[25:26], off
.LBB45_8:                               ;   in Loop: Header=BB45_4 Depth=1
	s_or_b32 exec_lo, exec_lo, s4
	v_add_co_u32 v26, s3, v15, s12
	s_delay_alu instid0(VALU_DEP_1) | instskip(SKIP_1) | instid1(VALU_DEP_2)
	v_add_co_ci_u32_e64 v27, s3, s13, v16, s3
	v_mov_b32_e32 v23, 0
	v_cmp_gt_u64_e64 s3, s[10:11], v[26:27]
	v_mov_b32_e32 v26, 0
	s_delay_alu instid0(VALU_DEP_2)
	s_and_saveexec_b32 s5, s3
	s_cbranch_execz .LBB45_10
; %bb.9:                                ;   in Loop: Header=BB45_4 Depth=1
	v_add_co_u32 v26, s4, v11, s12
	s_delay_alu instid0(VALU_DEP_1)
	v_add_co_ci_u32_e64 v27, s4, s13, v12, s4
	global_load_u8 v26, v[26:27], off
.LBB45_10:                              ;   in Loop: Header=BB45_4 Depth=1
	s_or_b32 exec_lo, exec_lo, s5
	v_add_co_u32 v27, s4, v9, s12
	s_delay_alu instid0(VALU_DEP_1) | instskip(NEXT) | instid1(VALU_DEP_1)
	v_add_co_ci_u32_e64 v28, s4, s13, v10, s4
	v_cmp_gt_u64_e64 s4, s[10:11], v[27:28]
	s_delay_alu instid0(VALU_DEP_1)
	s_and_saveexec_b32 s18, s4
	s_cbranch_execnz .LBB45_15
; %bb.11:                               ;   in Loop: Header=BB45_4 Depth=1
	s_or_b32 exec_lo, exec_lo, s18
	s_and_saveexec_b32 s5, vcc_lo
	s_cbranch_execnz .LBB45_16
.LBB45_12:                              ;   in Loop: Header=BB45_4 Depth=1
	s_or_b32 exec_lo, exec_lo, s5
	s_and_saveexec_b32 s5, s2
	s_cbranch_execnz .LBB45_17
.LBB45_13:                              ;   in Loop: Header=BB45_4 Depth=1
	s_or_b32 exec_lo, exec_lo, s5
	s_and_saveexec_b32 s2, s3
	s_cbranch_execnz .LBB45_18
.LBB45_14:                              ;   in Loop: Header=BB45_4 Depth=1
	s_or_b32 exec_lo, exec_lo, s2
	s_and_saveexec_b32 s2, s4
	s_cbranch_execz .LBB45_3
	s_branch .LBB45_19
.LBB45_15:                              ;   in Loop: Header=BB45_4 Depth=1
	v_add_co_u32 v27, s5, v5, s12
	s_delay_alu instid0(VALU_DEP_1)
	v_add_co_ci_u32_e64 v28, s5, s13, v6, s5
	global_load_u8 v23, v[27:28], off
	s_or_b32 exec_lo, exec_lo, s18
	s_and_saveexec_b32 s5, vcc_lo
	s_cbranch_execz .LBB45_12
.LBB45_16:                              ;   in Loop: Header=BB45_4 Depth=1
	s_waitcnt vmcnt(0)
	v_and_b32_e32 v24, 0xff, v24
	s_delay_alu instid0(VALU_DEP_1)
	v_cmp_ne_u16_e32 vcc_lo, 0, v24
	s_and_b32 s18, vcc_lo, s16
	v_add_co_u32 v27, vcc_lo, v3, s12
	v_cndmask_b32_e64 v24, 0, 1, s18
	v_add_co_ci_u32_e32 v28, vcc_lo, s13, v4, vcc_lo
	global_store_b8 v[27:28], v24, off
	s_or_b32 exec_lo, exec_lo, s5
	s_and_saveexec_b32 s5, s2
	s_cbranch_execz .LBB45_13
.LBB45_17:                              ;   in Loop: Header=BB45_4 Depth=1
	s_waitcnt vmcnt(0)
	v_and_b32_e32 v24, 0xff, v25
	s_delay_alu instid0(VALU_DEP_1)
	v_cmp_ne_u16_e32 vcc_lo, 0, v24
	s_and_b32 s2, vcc_lo, s16
	v_add_co_u32 v24, vcc_lo, v19, s12
	v_cndmask_b32_e64 v27, 0, 1, s2
	v_add_co_ci_u32_e32 v25, vcc_lo, s13, v20, vcc_lo
	global_store_b8 v[24:25], v27, off
	s_or_b32 exec_lo, exec_lo, s5
	s_and_saveexec_b32 s2, s3
	s_cbranch_execz .LBB45_14
.LBB45_18:                              ;   in Loop: Header=BB45_4 Depth=1
	s_waitcnt vmcnt(0)
	v_and_b32_e32 v24, 0xff, v26
	s_delay_alu instid0(VALU_DEP_1)
	v_cmp_ne_u16_e32 vcc_lo, 0, v24
	s_and_b32 s3, vcc_lo, s16
	v_add_co_u32 v24, vcc_lo, v13, s12
	v_cndmask_b32_e64 v26, 0, 1, s3
	v_add_co_ci_u32_e32 v25, vcc_lo, s13, v14, vcc_lo
	global_store_b8 v[24:25], v26, off
	s_or_b32 exec_lo, exec_lo, s2
	s_and_saveexec_b32 s2, s4
	s_cbranch_execz .LBB45_3
.LBB45_19:                              ;   in Loop: Header=BB45_4 Depth=1
	s_waitcnt vmcnt(0)
	v_and_b32_e32 v23, 0xff, v23
	s_delay_alu instid0(VALU_DEP_1)
	v_cmp_ne_u16_e32 vcc_lo, 0, v23
	s_and_b32 s3, vcc_lo, s16
	v_add_co_u32 v23, vcc_lo, v7, s12
	v_cndmask_b32_e64 v25, 0, 1, s3
	v_add_co_ci_u32_e32 v24, vcc_lo, s13, v8, vcc_lo
	global_store_b8 v[23:24], v25, off
	s_branch .LBB45_3
.LBB45_20:
	s_mov_b32 s10, 0
.LBB45_21:
	s_delay_alu instid0(SALU_CYCLE_1)
	s_and_not1_b32 vcc_lo, exec_lo, s10
	s_cbranch_vccnz .LBB45_25
; %bb.22:
	v_dual_mov_b32 v1, 0 :: v_dual_lshlrev_b32 v0, 2, v0
	s_mov_b32 s2, exec_lo
	s_delay_alu instid0(VALU_DEP_1)
	v_cmpx_gt_i64_e64 s[8:9], v[0:1]
	s_cbranch_execz .LBB45_25
; %bb.23:
	s_load_b32 s0, s[0:1], 0xc94
	s_mov_b32 s10, 0
	s_waitcnt lgkmcnt(0)
	s_and_b32 s0, s0, 0xffff
	s_delay_alu instid0(SALU_CYCLE_1)
	s_lshl_b32 s5, s0, 2
.LBB45_24:                              ; =>This Inner Loop Header: Depth=1
	v_add_co_u32 v2, vcc_lo, s6, v0
	v_add_co_ci_u32_e32 v3, vcc_lo, s7, v1, vcc_lo
	global_load_b32 v4, v[2:3], off
	v_add_co_u32 v2, vcc_lo, s14, v0
	v_add_co_ci_u32_e32 v3, vcc_lo, s15, v1, vcc_lo
	v_add_co_u32 v0, vcc_lo, s5, v0
	v_add_co_ci_u32_e32 v1, vcc_lo, 0, v1, vcc_lo
	s_delay_alu instid0(VALU_DEP_1) | instskip(SKIP_1) | instid1(VALU_DEP_1)
	v_cmp_le_i64_e32 vcc_lo, s[8:9], v[0:1]
	v_cmp_lt_u64_e64 s0, 0xffff, v[0:1]
	s_or_b32 s0, vcc_lo, s0
	s_waitcnt vmcnt(0)
	v_and_b32_e32 v5, 0xff0000, v4
	v_and_b32_e32 v7, 0xff00, v4
	v_cmp_lt_u32_e64 s1, 0xffffff, v4
	v_and_b32_e32 v6, 0xff, v4
	s_delay_alu instid0(VALU_DEP_4) | instskip(NEXT) | instid1(VALU_DEP_4)
	v_cmp_ne_u32_e64 s2, 0, v5
	v_cmp_ne_u32_e64 s4, 0, v7
	s_delay_alu instid0(VALU_DEP_4) | instskip(NEXT) | instid1(VALU_DEP_3)
	s_and_b32 s1, s1, s16
	v_cmp_ne_u32_e64 s3, 0, v6
	v_cndmask_b32_e64 v4, 0, 0x1000000, s1
	s_and_b32 s1, s2, s16
	s_delay_alu instid0(SALU_CYCLE_1) | instskip(SKIP_1) | instid1(SALU_CYCLE_1)
	v_cndmask_b32_e64 v5, 0, 0x10000, s1
	s_and_b32 s1, s4, s16
	v_cndmask_b32_e64 v6, 0, 0x100, s1
	s_and_b32 s1, s3, s16
	s_delay_alu instid0(VALU_DEP_2) | instskip(SKIP_2) | instid1(SALU_CYCLE_1)
	v_or_b32_e32 v4, v5, v4
	v_cndmask_b32_e64 v7, 0, 1, s1
	s_and_b32 s0, exec_lo, s0
	s_or_b32 s10, s0, s10
	s_delay_alu instid0(VALU_DEP_1)
	v_or3_b32 v4, v4, v6, v7
	global_store_b32 v[2:3], v4, off
	s_and_not1_b32 exec_lo, exec_lo, s10
	s_cbranch_execnz .LBB45_24
.LBB45_25:
	s_nop 0
	s_sendmsg sendmsg(MSG_DEALLOC_VGPRS)
	s_endpgm
	.section	.rodata,"a",@progbits
	.p2align	6, 0x0
	.amdhsa_kernel _ZN2at6native12_GLOBAL__N_125multi_tensor_apply_kernelINS1_28TensorListScalarListMetadataIbLi2EEENS1_25BinaryOpScalarListFunctorIbLi2ELi1ELi1EEEJSt10multipliesIbEEEEvT_T0_DpT1_
		.amdhsa_group_segment_fixed_size 0
		.amdhsa_private_segment_fixed_size 0
		.amdhsa_kernarg_size 3464
		.amdhsa_user_sgpr_count 15
		.amdhsa_user_sgpr_dispatch_ptr 0
		.amdhsa_user_sgpr_queue_ptr 0
		.amdhsa_user_sgpr_kernarg_segment_ptr 1
		.amdhsa_user_sgpr_dispatch_id 0
		.amdhsa_user_sgpr_private_segment_size 0
		.amdhsa_wavefront_size32 1
		.amdhsa_uses_dynamic_stack 0
		.amdhsa_enable_private_segment 0
		.amdhsa_system_sgpr_workgroup_id_x 1
		.amdhsa_system_sgpr_workgroup_id_y 0
		.amdhsa_system_sgpr_workgroup_id_z 0
		.amdhsa_system_sgpr_workgroup_info 0
		.amdhsa_system_vgpr_workitem_id 0
		.amdhsa_next_free_vgpr 29
		.amdhsa_next_free_sgpr 23
		.amdhsa_reserve_vcc 1
		.amdhsa_float_round_mode_32 0
		.amdhsa_float_round_mode_16_64 0
		.amdhsa_float_denorm_mode_32 3
		.amdhsa_float_denorm_mode_16_64 3
		.amdhsa_dx10_clamp 1
		.amdhsa_ieee_mode 1
		.amdhsa_fp16_overflow 0
		.amdhsa_workgroup_processor_mode 1
		.amdhsa_memory_ordered 1
		.amdhsa_forward_progress 0
		.amdhsa_shared_vgpr_count 0
		.amdhsa_exception_fp_ieee_invalid_op 0
		.amdhsa_exception_fp_denorm_src 0
		.amdhsa_exception_fp_ieee_div_zero 0
		.amdhsa_exception_fp_ieee_overflow 0
		.amdhsa_exception_fp_ieee_underflow 0
		.amdhsa_exception_fp_ieee_inexact 0
		.amdhsa_exception_int_div_zero 0
	.end_amdhsa_kernel
	.section	.text._ZN2at6native12_GLOBAL__N_125multi_tensor_apply_kernelINS1_28TensorListScalarListMetadataIbLi2EEENS1_25BinaryOpScalarListFunctorIbLi2ELi1ELi1EEEJSt10multipliesIbEEEEvT_T0_DpT1_,"axG",@progbits,_ZN2at6native12_GLOBAL__N_125multi_tensor_apply_kernelINS1_28TensorListScalarListMetadataIbLi2EEENS1_25BinaryOpScalarListFunctorIbLi2ELi1ELi1EEEJSt10multipliesIbEEEEvT_T0_DpT1_,comdat
.Lfunc_end45:
	.size	_ZN2at6native12_GLOBAL__N_125multi_tensor_apply_kernelINS1_28TensorListScalarListMetadataIbLi2EEENS1_25BinaryOpScalarListFunctorIbLi2ELi1ELi1EEEJSt10multipliesIbEEEEvT_T0_DpT1_, .Lfunc_end45-_ZN2at6native12_GLOBAL__N_125multi_tensor_apply_kernelINS1_28TensorListScalarListMetadataIbLi2EEENS1_25BinaryOpScalarListFunctorIbLi2ELi1ELi1EEEJSt10multipliesIbEEEEvT_T0_DpT1_
                                        ; -- End function
	.section	.AMDGPU.csdata,"",@progbits
; Kernel info:
; codeLenInByte = 1528
; NumSgprs: 25
; NumVgprs: 29
; ScratchSize: 0
; MemoryBound: 0
; FloatMode: 240
; IeeeMode: 1
; LDSByteSize: 0 bytes/workgroup (compile time only)
; SGPRBlocks: 3
; VGPRBlocks: 3
; NumSGPRsForWavesPerEU: 25
; NumVGPRsForWavesPerEU: 29
; Occupancy: 16
; WaveLimiterHint : 0
; COMPUTE_PGM_RSRC2:SCRATCH_EN: 0
; COMPUTE_PGM_RSRC2:USER_SGPR: 15
; COMPUTE_PGM_RSRC2:TRAP_HANDLER: 0
; COMPUTE_PGM_RSRC2:TGID_X_EN: 1
; COMPUTE_PGM_RSRC2:TGID_Y_EN: 0
; COMPUTE_PGM_RSRC2:TGID_Z_EN: 0
; COMPUTE_PGM_RSRC2:TIDIG_COMP_CNT: 0
	.section	.text._ZN2at6native12_GLOBAL__N_125multi_tensor_apply_kernelINS1_28TensorListScalarListMetadataIfLi2EEENS1_25BinaryOpScalarListFunctorIN3c104HalfELi2ELi1ELi1EEEJSt10multipliesIfEEEEvT_T0_DpT1_,"axG",@progbits,_ZN2at6native12_GLOBAL__N_125multi_tensor_apply_kernelINS1_28TensorListScalarListMetadataIfLi2EEENS1_25BinaryOpScalarListFunctorIN3c104HalfELi2ELi1ELi1EEEJSt10multipliesIfEEEEvT_T0_DpT1_,comdat
	.globl	_ZN2at6native12_GLOBAL__N_125multi_tensor_apply_kernelINS1_28TensorListScalarListMetadataIfLi2EEENS1_25BinaryOpScalarListFunctorIN3c104HalfELi2ELi1ELi1EEEJSt10multipliesIfEEEEvT_T0_DpT1_ ; -- Begin function _ZN2at6native12_GLOBAL__N_125multi_tensor_apply_kernelINS1_28TensorListScalarListMetadataIfLi2EEENS1_25BinaryOpScalarListFunctorIN3c104HalfELi2ELi1ELi1EEEJSt10multipliesIfEEEEvT_T0_DpT1_
	.p2align	8
	.type	_ZN2at6native12_GLOBAL__N_125multi_tensor_apply_kernelINS1_28TensorListScalarListMetadataIfLi2EEENS1_25BinaryOpScalarListFunctorIN3c104HalfELi2ELi1ELi1EEEJSt10multipliesIfEEEEvT_T0_DpT1_,@function
_ZN2at6native12_GLOBAL__N_125multi_tensor_apply_kernelINS1_28TensorListScalarListMetadataIfLi2EEENS1_25BinaryOpScalarListFunctorIN3c104HalfELi2ELi1ELi1EEEJSt10multipliesIfEEEEvT_T0_DpT1_: ; @_ZN2at6native12_GLOBAL__N_125multi_tensor_apply_kernelINS1_28TensorListScalarListMetadataIfLi2EEENS1_25BinaryOpScalarListFunctorIN3c104HalfELi2ELi1ELi1EEEJSt10multipliesIfEEEEvT_T0_DpT1_
; %bb.0:
	v_mov_b32_e32 v1, s15
	s_add_u32 s2, s0, s15
	s_mul_hi_u32 s3, s15, 3
	s_mul_i32 s15, s15, 3
	s_addc_u32 s4, s1, 0
	global_load_u8 v1, v1, s[0:1] offset:1792
	s_add_u32 s2, s2, s15
	s_addc_u32 s3, s4, s3
	s_mov_b32 s15, 0
	s_load_b32 s2, s[2:3], 0x840
	s_waitcnt vmcnt(0)
	v_readfirstlane_b32 s3, v1
	v_lshlrev_b32_e32 v1, 2, v1
	s_delay_alu instid0(VALU_DEP_2)
	s_lshl_b32 s8, s3, 3
	s_waitcnt lgkmcnt(0)
	s_ashr_i32 s3, s2, 31
	s_add_u32 s9, s0, s8
	s_addc_u32 s10, s1, 0
	v_sub_co_u32 v1, s9, s9, v1
	s_delay_alu instid0(VALU_DEP_1)
	v_sub_co_ci_u32_e64 v2, null, s10, 0, s9
	s_clause 0x2
	s_load_b64 s[4:5], s[0:1], s8 offset:0x400
	s_load_b64 s[6:7], s[0:1], s8 offset:0x0
	s_load_b64 s[8:9], s[0:1], s8 offset:0x200
	v_readfirstlane_b32 s10, v1
	v_readfirstlane_b32 s11, v2
	s_lshl_b64 s[12:13], s[2:3], 17
	s_lshl_b64 s[2:3], s[2:3], 16
	s_load_b32 s18, s[10:11], 0x600
	s_waitcnt lgkmcnt(0)
	s_and_b32 s11, s4, 3
	s_and_b32 s10, s6, 7
	;; [unrolled: 1-line block ×3, first 2 shown]
	s_or_b32 s10, s10, s11
	s_delay_alu instid0(SALU_CYCLE_1)
	s_or_b32 s14, s14, s10
	s_sub_u32 s10, s4, s2
	s_subb_u32 s11, s5, s3
	s_cmp_eq_u64 s[14:15], 0
	s_mov_b32 s2, -1
	s_cbranch_scc1 .LBB46_21
; %bb.1:
	v_cmp_lt_i64_e64 s2, s[10:11], 1
	s_delay_alu instid0(VALU_DEP_1)
	s_and_b32 vcc_lo, exec_lo, s2
	s_cbranch_vccnz .LBB46_20
; %bb.2:
	s_load_b32 s2, s[0:1], 0xd54
	v_dual_mov_b32 v10, 0 :: v_dual_lshlrev_b32 v9, 1, v0
	v_cmp_gt_u64_e64 s3, 0x10000, s[10:11]
	s_mov_b64 s[16:17], 0
	s_delay_alu instid0(VALU_DEP_2) | instskip(NEXT) | instid1(VALU_DEP_1)
	v_add_co_u32 v1, s4, s6, v9
	v_add_co_ci_u32_e64 v2, null, s7, 0, s4
	v_add_co_u32 v3, s4, s8, v9
	s_delay_alu instid0(VALU_DEP_1)
	v_add_co_ci_u32_e64 v4, null, s9, 0, s4
	s_waitcnt lgkmcnt(0)
	s_and_b32 s2, s2, 0xffff
	s_and_b32 s3, s3, exec_lo
	v_mad_u64_u32 v[7:8], null, s2, 6, v[9:10]
	s_cselect_b32 s15, s11, 0
	s_cselect_b32 s14, s10, 0x10000
	s_mul_i32 s4, s2, 3
	s_lshl_b32 s19, s2, 2
	s_lshl_b32 s3, s2, 1
	v_add_co_u32 v14, s5, s19, v9
	v_add_co_u32 v9, s4, s4, v0
	s_delay_alu instid0(VALU_DEP_1) | instskip(SKIP_3) | instid1(VALU_DEP_3)
	v_add_co_ci_u32_e64 v10, null, 0, 0, s4
	v_add_co_u32 v13, s4, v0, s2
	v_add_co_u32 v5, vcc_lo, s6, v7
	v_add_co_ci_u32_e32 v6, vcc_lo, s7, v8, vcc_lo
	v_lshlrev_b32_e32 v21, 1, v13
	v_add_co_u32 v7, vcc_lo, s8, v7
	v_add_co_ci_u32_e64 v15, null, 0, 0, s5
	v_add_co_ci_u32_e32 v8, vcc_lo, s9, v8, vcc_lo
	v_add_co_u32 v17, s3, s3, v0
	v_add_co_u32 v11, vcc_lo, s6, v14
	v_add_co_ci_u32_e64 v18, null, 0, 0, s3
	v_add_co_u32 v19, s3, s6, v21
	v_add_co_ci_u32_e32 v12, vcc_lo, s7, v15, vcc_lo
	v_add_co_u32 v14, vcc_lo, s8, v14
	v_add_co_ci_u32_e64 v20, null, s7, 0, s3
	v_add_co_u32 v21, s3, s8, v21
	v_add_co_ci_u32_e32 v15, vcc_lo, s9, v15, vcc_lo
	v_add_co_ci_u32_e64 v16, null, 0, 0, s4
	v_add_co_ci_u32_e64 v22, null, s9, 0, s3
	s_lshl_b32 s20, s2, 3
	s_branch .LBB46_4
.LBB46_3:                               ;   in Loop: Header=BB46_4 Depth=1
	s_or_b32 exec_lo, exec_lo, s2
	v_add_co_u32 v1, vcc_lo, v1, s20
	v_add_co_ci_u32_e32 v2, vcc_lo, 0, v2, vcc_lo
	v_add_co_u32 v3, vcc_lo, v3, s20
	v_add_co_ci_u32_e32 v4, vcc_lo, 0, v4, vcc_lo
	;; [unrolled: 2-line block ×5, first 2 shown]
	s_add_u32 s16, s16, s19
	v_add_co_u32 v14, vcc_lo, v14, s20
	s_addc_u32 s17, s17, 0
	v_add_co_ci_u32_e32 v15, vcc_lo, 0, v15, vcc_lo
	v_cmp_lt_i64_e64 s2, s[16:17], s[10:11]
	v_cmp_gt_u64_e64 s3, 0x10000, s[16:17]
	v_add_co_u32 v19, vcc_lo, v19, s20
	v_add_co_ci_u32_e32 v20, vcc_lo, 0, v20, vcc_lo
	v_add_co_u32 v21, vcc_lo, v21, s20
	v_add_co_ci_u32_e32 v22, vcc_lo, 0, v22, vcc_lo
	s_and_b32 s2, s2, s3
	s_delay_alu instid0(SALU_CYCLE_1)
	s_and_b32 vcc_lo, exec_lo, s2
	s_cbranch_vccz .LBB46_20
.LBB46_4:                               ; =>This Inner Loop Header: Depth=1
	s_waitcnt vmcnt(0)
	v_add_co_u32 v23, s2, v0, s16
	s_delay_alu instid0(VALU_DEP_1) | instskip(NEXT) | instid1(VALU_DEP_1)
	v_add_co_ci_u32_e64 v24, null, 0, s17, s2
	v_cmp_gt_u64_e32 vcc_lo, s[14:15], v[23:24]
	v_mov_b32_e32 v23, 0
	s_and_saveexec_b32 s3, vcc_lo
	s_cbranch_execz .LBB46_6
; %bb.5:                                ;   in Loop: Header=BB46_4 Depth=1
	v_add_co_u32 v23, s2, v1, s12
	s_delay_alu instid0(VALU_DEP_1)
	v_add_co_ci_u32_e64 v24, s2, s13, v2, s2
	global_load_u16 v23, v[23:24], off
.LBB46_6:                               ;   in Loop: Header=BB46_4 Depth=1
	s_or_b32 exec_lo, exec_lo, s3
	v_add_co_u32 v24, s2, v13, s16
	s_delay_alu instid0(VALU_DEP_1) | instskip(NEXT) | instid1(VALU_DEP_1)
	v_add_co_ci_u32_e64 v25, s2, s17, v16, s2
	v_cmp_gt_u64_e64 s2, s[14:15], v[24:25]
	v_mov_b32_e32 v25, 0
	s_delay_alu instid0(VALU_DEP_2)
	s_and_saveexec_b32 s4, s2
	s_cbranch_execz .LBB46_8
; %bb.7:                                ;   in Loop: Header=BB46_4 Depth=1
	v_add_co_u32 v24, s3, v19, s12
	s_delay_alu instid0(VALU_DEP_1)
	v_add_co_ci_u32_e64 v25, s3, s13, v20, s3
	global_load_u16 v25, v[24:25], off
.LBB46_8:                               ;   in Loop: Header=BB46_4 Depth=1
	s_or_b32 exec_lo, exec_lo, s4
	v_add_co_u32 v26, s3, v17, s16
	s_delay_alu instid0(VALU_DEP_1) | instskip(SKIP_1) | instid1(VALU_DEP_2)
	v_add_co_ci_u32_e64 v27, s3, s17, v18, s3
	v_mov_b32_e32 v24, 0
	v_cmp_gt_u64_e64 s3, s[14:15], v[26:27]
	v_mov_b32_e32 v26, 0
	s_delay_alu instid0(VALU_DEP_2)
	s_and_saveexec_b32 s5, s3
	s_cbranch_execz .LBB46_10
; %bb.9:                                ;   in Loop: Header=BB46_4 Depth=1
	v_add_co_u32 v26, s4, v11, s12
	s_delay_alu instid0(VALU_DEP_1)
	v_add_co_ci_u32_e64 v27, s4, s13, v12, s4
	global_load_u16 v26, v[26:27], off
.LBB46_10:                              ;   in Loop: Header=BB46_4 Depth=1
	s_or_b32 exec_lo, exec_lo, s5
	v_add_co_u32 v27, s4, v9, s16
	s_delay_alu instid0(VALU_DEP_1) | instskip(NEXT) | instid1(VALU_DEP_1)
	v_add_co_ci_u32_e64 v28, s4, s17, v10, s4
	v_cmp_gt_u64_e64 s4, s[14:15], v[27:28]
	s_delay_alu instid0(VALU_DEP_1)
	s_and_saveexec_b32 s21, s4
	s_cbranch_execnz .LBB46_15
; %bb.11:                               ;   in Loop: Header=BB46_4 Depth=1
	s_or_b32 exec_lo, exec_lo, s21
	s_and_saveexec_b32 s5, vcc_lo
	s_cbranch_execnz .LBB46_16
.LBB46_12:                              ;   in Loop: Header=BB46_4 Depth=1
	s_or_b32 exec_lo, exec_lo, s5
	s_and_saveexec_b32 s5, s2
	s_cbranch_execnz .LBB46_17
.LBB46_13:                              ;   in Loop: Header=BB46_4 Depth=1
	s_or_b32 exec_lo, exec_lo, s5
	s_and_saveexec_b32 s2, s3
	s_cbranch_execnz .LBB46_18
.LBB46_14:                              ;   in Loop: Header=BB46_4 Depth=1
	s_or_b32 exec_lo, exec_lo, s2
	s_and_saveexec_b32 s2, s4
	s_cbranch_execz .LBB46_3
	s_branch .LBB46_19
.LBB46_15:                              ;   in Loop: Header=BB46_4 Depth=1
	v_add_co_u32 v27, s5, v5, s12
	s_delay_alu instid0(VALU_DEP_1)
	v_add_co_ci_u32_e64 v28, s5, s13, v6, s5
	global_load_u16 v24, v[27:28], off
	s_or_b32 exec_lo, exec_lo, s21
	s_and_saveexec_b32 s5, vcc_lo
	s_cbranch_execz .LBB46_12
.LBB46_16:                              ;   in Loop: Header=BB46_4 Depth=1
	v_add_co_u32 v27, vcc_lo, v3, s12
	s_waitcnt vmcnt(0)
	v_fma_mixlo_f16 v23, s18, v23, 0 op_sel_hi:[0,1,0]
	v_add_co_ci_u32_e32 v28, vcc_lo, s13, v4, vcc_lo
	global_store_b16 v[27:28], v23, off
	s_or_b32 exec_lo, exec_lo, s5
	s_and_saveexec_b32 s5, s2
	s_cbranch_execz .LBB46_13
.LBB46_17:                              ;   in Loop: Header=BB46_4 Depth=1
	v_add_co_u32 v27, vcc_lo, v21, s12
	s_waitcnt vmcnt(0)
	v_fma_mixlo_f16 v23, s18, v25, 0 op_sel_hi:[0,1,0]
	v_add_co_ci_u32_e32 v28, vcc_lo, s13, v22, vcc_lo
	global_store_b16 v[27:28], v23, off
	s_or_b32 exec_lo, exec_lo, s5
	s_and_saveexec_b32 s2, s3
	s_cbranch_execz .LBB46_14
.LBB46_18:                              ;   in Loop: Header=BB46_4 Depth=1
	s_waitcnt vmcnt(0)
	v_add_co_u32 v25, vcc_lo, v14, s12
	v_fma_mixlo_f16 v23, s18, v26, 0 op_sel_hi:[0,1,0]
	v_add_co_ci_u32_e32 v26, vcc_lo, s13, v15, vcc_lo
	global_store_b16 v[25:26], v23, off
	s_or_b32 exec_lo, exec_lo, s2
	s_and_saveexec_b32 s2, s4
	s_cbranch_execz .LBB46_3
.LBB46_19:                              ;   in Loop: Header=BB46_4 Depth=1
	s_waitcnt vmcnt(0)
	v_add_co_u32 v23, vcc_lo, v7, s12
	v_fma_mixlo_f16 v25, s18, v24, 0 op_sel_hi:[0,1,0]
	v_add_co_ci_u32_e32 v24, vcc_lo, s13, v8, vcc_lo
	global_store_b16 v[23:24], v25, off
	s_branch .LBB46_3
.LBB46_20:
	s_mov_b32 s2, 0
.LBB46_21:
	s_delay_alu instid0(SALU_CYCLE_1)
	s_and_not1_b32 vcc_lo, exec_lo, s2
	s_cbranch_vccnz .LBB46_25
; %bb.22:
	v_dual_mov_b32 v2, 0 :: v_dual_lshlrev_b32 v1, 2, v0
	s_mov_b32 s2, 0
	s_mov_b32 s3, exec_lo
	s_delay_alu instid0(VALU_DEP_1)
	v_cmpx_gt_i64_e64 s[10:11], v[1:2]
	s_cbranch_execz .LBB46_25
; %bb.23:
	s_load_b32 s0, s[0:1], 0xd54
	v_lshlrev_b32_e32 v1, 3, v0
	s_mov_b32 s3, s18
	s_delay_alu instid0(VALU_DEP_1) | instskip(NEXT) | instid1(VALU_DEP_1)
	v_add_co_u32 v3, s1, s12, v1
	v_add_co_ci_u32_e64 v4, null, s13, 0, s1
	s_waitcnt lgkmcnt(0)
	s_and_b32 s0, s0, 0xffff
	s_delay_alu instid0(SALU_CYCLE_1)
	v_add_lshl_u32 v1, v0, s0, 2
	s_lshl_b32 s4, s0, 3
	s_lshl_b32 s5, s0, 2
	s_set_inst_prefetch_distance 0x1
	.p2align	6
.LBB46_24:                              ; =>This Inner Loop Header: Depth=1
	v_add_co_u32 v5, vcc_lo, s6, v3
	v_add_co_ci_u32_e32 v6, vcc_lo, s7, v4, vcc_lo
	v_add_co_u32 v7, vcc_lo, s8, v3
	v_add_co_ci_u32_e32 v8, vcc_lo, s9, v4, vcc_lo
	global_load_b64 v[5:6], v[5:6], off
	v_cmp_le_i64_e32 vcc_lo, s[10:11], v[1:2]
	v_cmp_lt_u64_e64 s0, 0xffff, v[1:2]
	v_add_co_u32 v3, s1, v3, s4
	s_delay_alu instid0(VALU_DEP_1) | instskip(SKIP_1) | instid1(VALU_DEP_4)
	v_add_co_ci_u32_e64 v4, s1, 0, v4, s1
	v_add_co_u32 v1, s1, v1, s5
	s_or_b32 s0, vcc_lo, s0
	v_add_co_ci_u32_e64 v2, s1, 0, v2, s1
	s_and_b32 s0, exec_lo, s0
	s_delay_alu instid0(SALU_CYCLE_1) | instskip(SKIP_3) | instid1(VALU_DEP_2)
	s_or_b32 s2, s0, s2
	s_waitcnt vmcnt(0)
	v_fma_mixlo_f16 v9, s18, v5, 0 op_sel_hi:[0,1,0]
	v_fma_mixlo_f16 v10, s18, v6, 0 op_sel_hi:[0,1,0]
	v_fma_mixhi_f16 v9, s3, v5, 0 op_sel:[0,1,0] op_sel_hi:[0,1,0]
	s_delay_alu instid0(VALU_DEP_2)
	v_fma_mixhi_f16 v10, s3, v6, 0 op_sel:[0,1,0] op_sel_hi:[0,1,0]
	global_store_b64 v[7:8], v[9:10], off
	s_and_not1_b32 exec_lo, exec_lo, s2
	s_cbranch_execnz .LBB46_24
.LBB46_25:
	s_set_inst_prefetch_distance 0x2
	s_nop 0
	s_sendmsg sendmsg(MSG_DEALLOC_VGPRS)
	s_endpgm
	.section	.rodata,"a",@progbits
	.p2align	6, 0x0
	.amdhsa_kernel _ZN2at6native12_GLOBAL__N_125multi_tensor_apply_kernelINS1_28TensorListScalarListMetadataIfLi2EEENS1_25BinaryOpScalarListFunctorIN3c104HalfELi2ELi1ELi1EEEJSt10multipliesIfEEEEvT_T0_DpT1_
		.amdhsa_group_segment_fixed_size 0
		.amdhsa_private_segment_fixed_size 0
		.amdhsa_kernarg_size 3656
		.amdhsa_user_sgpr_count 15
		.amdhsa_user_sgpr_dispatch_ptr 0
		.amdhsa_user_sgpr_queue_ptr 0
		.amdhsa_user_sgpr_kernarg_segment_ptr 1
		.amdhsa_user_sgpr_dispatch_id 0
		.amdhsa_user_sgpr_private_segment_size 0
		.amdhsa_wavefront_size32 1
		.amdhsa_uses_dynamic_stack 0
		.amdhsa_enable_private_segment 0
		.amdhsa_system_sgpr_workgroup_id_x 1
		.amdhsa_system_sgpr_workgroup_id_y 0
		.amdhsa_system_sgpr_workgroup_id_z 0
		.amdhsa_system_sgpr_workgroup_info 0
		.amdhsa_system_vgpr_workitem_id 0
		.amdhsa_next_free_vgpr 29
		.amdhsa_next_free_sgpr 22
		.amdhsa_reserve_vcc 1
		.amdhsa_float_round_mode_32 0
		.amdhsa_float_round_mode_16_64 0
		.amdhsa_float_denorm_mode_32 3
		.amdhsa_float_denorm_mode_16_64 3
		.amdhsa_dx10_clamp 1
		.amdhsa_ieee_mode 1
		.amdhsa_fp16_overflow 0
		.amdhsa_workgroup_processor_mode 1
		.amdhsa_memory_ordered 1
		.amdhsa_forward_progress 0
		.amdhsa_shared_vgpr_count 0
		.amdhsa_exception_fp_ieee_invalid_op 0
		.amdhsa_exception_fp_denorm_src 0
		.amdhsa_exception_fp_ieee_div_zero 0
		.amdhsa_exception_fp_ieee_overflow 0
		.amdhsa_exception_fp_ieee_underflow 0
		.amdhsa_exception_fp_ieee_inexact 0
		.amdhsa_exception_int_div_zero 0
	.end_amdhsa_kernel
	.section	.text._ZN2at6native12_GLOBAL__N_125multi_tensor_apply_kernelINS1_28TensorListScalarListMetadataIfLi2EEENS1_25BinaryOpScalarListFunctorIN3c104HalfELi2ELi1ELi1EEEJSt10multipliesIfEEEEvT_T0_DpT1_,"axG",@progbits,_ZN2at6native12_GLOBAL__N_125multi_tensor_apply_kernelINS1_28TensorListScalarListMetadataIfLi2EEENS1_25BinaryOpScalarListFunctorIN3c104HalfELi2ELi1ELi1EEEJSt10multipliesIfEEEEvT_T0_DpT1_,comdat
.Lfunc_end46:
	.size	_ZN2at6native12_GLOBAL__N_125multi_tensor_apply_kernelINS1_28TensorListScalarListMetadataIfLi2EEENS1_25BinaryOpScalarListFunctorIN3c104HalfELi2ELi1ELi1EEEJSt10multipliesIfEEEEvT_T0_DpT1_, .Lfunc_end46-_ZN2at6native12_GLOBAL__N_125multi_tensor_apply_kernelINS1_28TensorListScalarListMetadataIfLi2EEENS1_25BinaryOpScalarListFunctorIN3c104HalfELi2ELi1ELi1EEEJSt10multipliesIfEEEEvT_T0_DpT1_
                                        ; -- End function
	.section	.AMDGPU.csdata,"",@progbits
; Kernel info:
; codeLenInByte = 1468
; NumSgprs: 24
; NumVgprs: 29
; ScratchSize: 0
; MemoryBound: 0
; FloatMode: 240
; IeeeMode: 1
; LDSByteSize: 0 bytes/workgroup (compile time only)
; SGPRBlocks: 2
; VGPRBlocks: 3
; NumSGPRsForWavesPerEU: 24
; NumVGPRsForWavesPerEU: 29
; Occupancy: 16
; WaveLimiterHint : 0
; COMPUTE_PGM_RSRC2:SCRATCH_EN: 0
; COMPUTE_PGM_RSRC2:USER_SGPR: 15
; COMPUTE_PGM_RSRC2:TRAP_HANDLER: 0
; COMPUTE_PGM_RSRC2:TGID_X_EN: 1
; COMPUTE_PGM_RSRC2:TGID_Y_EN: 0
; COMPUTE_PGM_RSRC2:TGID_Z_EN: 0
; COMPUTE_PGM_RSRC2:TIDIG_COMP_CNT: 0
	.section	.text._ZN2at6native12_GLOBAL__N_125multi_tensor_apply_kernelINS1_28TensorListScalarListMetadataIfLi2EEENS1_25BinaryOpScalarListFunctorIN3c108BFloat16ELi2ELi1ELi1EEEJSt10multipliesIfEEEEvT_T0_DpT1_,"axG",@progbits,_ZN2at6native12_GLOBAL__N_125multi_tensor_apply_kernelINS1_28TensorListScalarListMetadataIfLi2EEENS1_25BinaryOpScalarListFunctorIN3c108BFloat16ELi2ELi1ELi1EEEJSt10multipliesIfEEEEvT_T0_DpT1_,comdat
	.globl	_ZN2at6native12_GLOBAL__N_125multi_tensor_apply_kernelINS1_28TensorListScalarListMetadataIfLi2EEENS1_25BinaryOpScalarListFunctorIN3c108BFloat16ELi2ELi1ELi1EEEJSt10multipliesIfEEEEvT_T0_DpT1_ ; -- Begin function _ZN2at6native12_GLOBAL__N_125multi_tensor_apply_kernelINS1_28TensorListScalarListMetadataIfLi2EEENS1_25BinaryOpScalarListFunctorIN3c108BFloat16ELi2ELi1ELi1EEEJSt10multipliesIfEEEEvT_T0_DpT1_
	.p2align	8
	.type	_ZN2at6native12_GLOBAL__N_125multi_tensor_apply_kernelINS1_28TensorListScalarListMetadataIfLi2EEENS1_25BinaryOpScalarListFunctorIN3c108BFloat16ELi2ELi1ELi1EEEJSt10multipliesIfEEEEvT_T0_DpT1_,@function
_ZN2at6native12_GLOBAL__N_125multi_tensor_apply_kernelINS1_28TensorListScalarListMetadataIfLi2EEENS1_25BinaryOpScalarListFunctorIN3c108BFloat16ELi2ELi1ELi1EEEJSt10multipliesIfEEEEvT_T0_DpT1_: ; @_ZN2at6native12_GLOBAL__N_125multi_tensor_apply_kernelINS1_28TensorListScalarListMetadataIfLi2EEENS1_25BinaryOpScalarListFunctorIN3c108BFloat16ELi2ELi1ELi1EEEJSt10multipliesIfEEEEvT_T0_DpT1_
; %bb.0:
	v_mov_b32_e32 v1, s15
	s_add_u32 s2, s0, s15
	s_mul_hi_u32 s3, s15, 3
	s_mul_i32 s15, s15, 3
	s_addc_u32 s4, s1, 0
	global_load_u8 v1, v1, s[0:1] offset:1792
	s_add_u32 s2, s2, s15
	s_addc_u32 s3, s4, s3
	s_mov_b32 s15, 0
	s_load_b32 s2, s[2:3], 0x840
	s_waitcnt vmcnt(0)
	v_readfirstlane_b32 s3, v1
	v_lshlrev_b32_e32 v1, 2, v1
	s_delay_alu instid0(VALU_DEP_2)
	s_lshl_b32 s8, s3, 3
	s_waitcnt lgkmcnt(0)
	s_ashr_i32 s3, s2, 31
	s_add_u32 s9, s0, s8
	s_addc_u32 s10, s1, 0
	v_sub_co_u32 v1, s9, s9, v1
	s_delay_alu instid0(VALU_DEP_1)
	v_sub_co_ci_u32_e64 v2, null, s10, 0, s9
	s_clause 0x2
	s_load_b64 s[4:5], s[0:1], s8 offset:0x400
	s_load_b64 s[6:7], s[0:1], s8 offset:0x0
	;; [unrolled: 1-line block ×3, first 2 shown]
	v_readfirstlane_b32 s10, v1
	v_readfirstlane_b32 s11, v2
	s_lshl_b64 s[12:13], s[2:3], 17
	s_lshl_b64 s[2:3], s[2:3], 16
	s_load_b32 s18, s[10:11], 0x600
	s_waitcnt lgkmcnt(0)
	s_and_b32 s11, s4, 3
	s_and_b32 s10, s6, 7
	;; [unrolled: 1-line block ×3, first 2 shown]
	s_or_b32 s10, s10, s11
	s_delay_alu instid0(SALU_CYCLE_1)
	s_or_b32 s14, s14, s10
	s_sub_u32 s10, s4, s2
	s_subb_u32 s11, s5, s3
	s_cmp_eq_u64 s[14:15], 0
	s_mov_b32 s2, -1
	s_cbranch_scc1 .LBB47_21
; %bb.1:
	v_cmp_lt_i64_e64 s2, s[10:11], 1
	s_delay_alu instid0(VALU_DEP_1)
	s_and_b32 vcc_lo, exec_lo, s2
	s_cbranch_vccnz .LBB47_20
; %bb.2:
	s_load_b32 s2, s[0:1], 0xd54
	v_dual_mov_b32 v10, 0 :: v_dual_lshlrev_b32 v9, 1, v0
	v_cmp_gt_u64_e64 s3, 0x10000, s[10:11]
	s_mov_b64 s[16:17], 0
	s_delay_alu instid0(VALU_DEP_2) | instskip(NEXT) | instid1(VALU_DEP_1)
	v_add_co_u32 v1, s4, s6, v9
	v_add_co_ci_u32_e64 v2, null, s7, 0, s4
	v_add_co_u32 v3, s4, s8, v9
	s_delay_alu instid0(VALU_DEP_1)
	v_add_co_ci_u32_e64 v4, null, s9, 0, s4
	s_waitcnt lgkmcnt(0)
	s_and_b32 s2, s2, 0xffff
	s_and_b32 s3, s3, exec_lo
	v_mad_u64_u32 v[7:8], null, s2, 6, v[9:10]
	s_cselect_b32 s15, s11, 0
	s_cselect_b32 s14, s10, 0x10000
	s_mul_i32 s4, s2, 3
	s_lshl_b32 s19, s2, 2
	s_lshl_b32 s3, s2, 1
	v_add_co_u32 v14, s5, s19, v9
	v_add_co_u32 v9, s4, s4, v0
	s_delay_alu instid0(VALU_DEP_1) | instskip(SKIP_3) | instid1(VALU_DEP_3)
	v_add_co_ci_u32_e64 v10, null, 0, 0, s4
	v_add_co_u32 v13, s4, v0, s2
	v_add_co_u32 v5, vcc_lo, s6, v7
	v_add_co_ci_u32_e32 v6, vcc_lo, s7, v8, vcc_lo
	v_lshlrev_b32_e32 v21, 1, v13
	v_add_co_u32 v7, vcc_lo, s8, v7
	v_add_co_ci_u32_e64 v15, null, 0, 0, s5
	v_add_co_ci_u32_e32 v8, vcc_lo, s9, v8, vcc_lo
	v_add_co_u32 v17, s3, s3, v0
	v_add_co_u32 v11, vcc_lo, s6, v14
	v_add_co_ci_u32_e64 v18, null, 0, 0, s3
	v_add_co_u32 v19, s3, s6, v21
	v_add_co_ci_u32_e32 v12, vcc_lo, s7, v15, vcc_lo
	v_add_co_u32 v14, vcc_lo, s8, v14
	v_add_co_ci_u32_e64 v20, null, s7, 0, s3
	v_add_co_u32 v21, s3, s8, v21
	v_add_co_ci_u32_e32 v15, vcc_lo, s9, v15, vcc_lo
	v_add_co_ci_u32_e64 v16, null, 0, 0, s4
	v_add_co_ci_u32_e64 v22, null, s9, 0, s3
	s_lshl_b32 s20, s2, 3
	s_branch .LBB47_4
.LBB47_3:                               ;   in Loop: Header=BB47_4 Depth=1
	s_or_b32 exec_lo, exec_lo, s2
	v_add_co_u32 v1, vcc_lo, v1, s20
	v_add_co_ci_u32_e32 v2, vcc_lo, 0, v2, vcc_lo
	v_add_co_u32 v3, vcc_lo, v3, s20
	v_add_co_ci_u32_e32 v4, vcc_lo, 0, v4, vcc_lo
	;; [unrolled: 2-line block ×5, first 2 shown]
	s_add_u32 s16, s16, s19
	v_add_co_u32 v14, vcc_lo, v14, s20
	s_addc_u32 s17, s17, 0
	v_add_co_ci_u32_e32 v15, vcc_lo, 0, v15, vcc_lo
	v_cmp_lt_i64_e64 s2, s[16:17], s[10:11]
	v_cmp_gt_u64_e64 s3, 0x10000, s[16:17]
	v_add_co_u32 v19, vcc_lo, v19, s20
	v_add_co_ci_u32_e32 v20, vcc_lo, 0, v20, vcc_lo
	v_add_co_u32 v21, vcc_lo, v21, s20
	v_add_co_ci_u32_e32 v22, vcc_lo, 0, v22, vcc_lo
	s_and_b32 s2, s2, s3
	s_delay_alu instid0(SALU_CYCLE_1)
	s_and_b32 vcc_lo, exec_lo, s2
	s_cbranch_vccz .LBB47_20
.LBB47_4:                               ; =>This Inner Loop Header: Depth=1
	s_waitcnt vmcnt(0)
	v_add_co_u32 v23, s2, v0, s16
	s_delay_alu instid0(VALU_DEP_1) | instskip(NEXT) | instid1(VALU_DEP_1)
	v_add_co_ci_u32_e64 v24, null, 0, s17, s2
	v_cmp_gt_u64_e64 s2, s[14:15], v[23:24]
	v_mov_b32_e32 v24, 0
	s_delay_alu instid0(VALU_DEP_2)
	s_and_saveexec_b32 s3, s2
	s_cbranch_execz .LBB47_6
; %bb.5:                                ;   in Loop: Header=BB47_4 Depth=1
	v_add_co_u32 v23, vcc_lo, v1, s12
	v_add_co_ci_u32_e32 v24, vcc_lo, s13, v2, vcc_lo
	global_load_u16 v24, v[23:24], off
.LBB47_6:                               ;   in Loop: Header=BB47_4 Depth=1
	s_or_b32 exec_lo, exec_lo, s3
	v_add_co_u32 v25, vcc_lo, v13, s16
	v_add_co_ci_u32_e32 v26, vcc_lo, s17, v16, vcc_lo
	s_delay_alu instid0(VALU_DEP_1)
	v_cmp_gt_u64_e32 vcc_lo, s[14:15], v[25:26]
	v_mov_b32_e32 v25, 0
	s_and_saveexec_b32 s4, vcc_lo
	s_cbranch_execz .LBB47_8
; %bb.7:                                ;   in Loop: Header=BB47_4 Depth=1
	v_add_co_u32 v25, s3, v19, s12
	s_delay_alu instid0(VALU_DEP_1)
	v_add_co_ci_u32_e64 v26, s3, s13, v20, s3
	global_load_u16 v25, v[25:26], off
.LBB47_8:                               ;   in Loop: Header=BB47_4 Depth=1
	s_or_b32 exec_lo, exec_lo, s4
	v_add_co_u32 v26, s3, v17, s16
	s_delay_alu instid0(VALU_DEP_1) | instskip(SKIP_1) | instid1(VALU_DEP_2)
	v_add_co_ci_u32_e64 v27, s3, s17, v18, s3
	v_mov_b32_e32 v23, 0
	v_cmp_gt_u64_e64 s3, s[14:15], v[26:27]
	v_mov_b32_e32 v26, 0
	s_delay_alu instid0(VALU_DEP_2)
	s_and_saveexec_b32 s5, s3
	s_cbranch_execz .LBB47_10
; %bb.9:                                ;   in Loop: Header=BB47_4 Depth=1
	v_add_co_u32 v26, s4, v11, s12
	s_delay_alu instid0(VALU_DEP_1)
	v_add_co_ci_u32_e64 v27, s4, s13, v12, s4
	global_load_u16 v26, v[26:27], off
.LBB47_10:                              ;   in Loop: Header=BB47_4 Depth=1
	s_or_b32 exec_lo, exec_lo, s5
	v_add_co_u32 v27, s4, v9, s16
	s_delay_alu instid0(VALU_DEP_1) | instskip(NEXT) | instid1(VALU_DEP_1)
	v_add_co_ci_u32_e64 v28, s4, s17, v10, s4
	v_cmp_gt_u64_e64 s4, s[14:15], v[27:28]
	s_delay_alu instid0(VALU_DEP_1)
	s_and_saveexec_b32 s21, s4
	s_cbranch_execnz .LBB47_15
; %bb.11:                               ;   in Loop: Header=BB47_4 Depth=1
	s_or_b32 exec_lo, exec_lo, s21
	s_and_saveexec_b32 s5, s2
	s_cbranch_execnz .LBB47_16
.LBB47_12:                              ;   in Loop: Header=BB47_4 Depth=1
	s_or_b32 exec_lo, exec_lo, s5
	s_and_saveexec_b32 s2, vcc_lo
	s_cbranch_execnz .LBB47_17
.LBB47_13:                              ;   in Loop: Header=BB47_4 Depth=1
	s_or_b32 exec_lo, exec_lo, s2
	s_and_saveexec_b32 s2, s3
	s_cbranch_execnz .LBB47_18
.LBB47_14:                              ;   in Loop: Header=BB47_4 Depth=1
	s_or_b32 exec_lo, exec_lo, s2
	s_and_saveexec_b32 s2, s4
	s_cbranch_execz .LBB47_3
	s_branch .LBB47_19
.LBB47_15:                              ;   in Loop: Header=BB47_4 Depth=1
	v_add_co_u32 v27, s5, v5, s12
	s_delay_alu instid0(VALU_DEP_1)
	v_add_co_ci_u32_e64 v28, s5, s13, v6, s5
	global_load_u16 v23, v[27:28], off
	s_or_b32 exec_lo, exec_lo, s21
	s_and_saveexec_b32 s5, s2
	s_cbranch_execz .LBB47_12
.LBB47_16:                              ;   in Loop: Header=BB47_4 Depth=1
	s_waitcnt vmcnt(0)
	v_lshlrev_b32_e32 v24, 16, v24
	s_delay_alu instid0(VALU_DEP_1) | instskip(NEXT) | instid1(VALU_DEP_1)
	v_mul_f32_e32 v24, s18, v24
	v_bfe_u32 v27, v24, 16, 1
	s_delay_alu instid0(VALU_DEP_1) | instskip(NEXT) | instid1(VALU_DEP_1)
	v_add3_u32 v27, v24, v27, 0x7fff
	v_lshrrev_b32_e32 v29, 16, v27
	v_add_co_u32 v27, s2, v3, s12
	s_delay_alu instid0(VALU_DEP_1) | instskip(SKIP_1) | instid1(VALU_DEP_1)
	v_add_co_ci_u32_e64 v28, s2, s13, v4, s2
	v_cmp_o_f32_e64 s2, v24, v24
	v_cndmask_b32_e64 v24, 0x7fc0, v29, s2
	global_store_b16 v[27:28], v24, off
	s_or_b32 exec_lo, exec_lo, s5
	s_and_saveexec_b32 s2, vcc_lo
	s_cbranch_execz .LBB47_13
.LBB47_17:                              ;   in Loop: Header=BB47_4 Depth=1
	s_waitcnt vmcnt(0)
	v_lshlrev_b32_e32 v24, 16, v25
	s_delay_alu instid0(VALU_DEP_1) | instskip(NEXT) | instid1(VALU_DEP_1)
	v_mul_f32_e32 v24, s18, v24
	v_bfe_u32 v25, v24, 16, 1
	v_cmp_o_f32_e32 vcc_lo, v24, v24
	s_delay_alu instid0(VALU_DEP_2) | instskip(NEXT) | instid1(VALU_DEP_1)
	v_add3_u32 v25, v24, v25, 0x7fff
	v_lshrrev_b32_e32 v25, 16, v25
	s_delay_alu instid0(VALU_DEP_1)
	v_cndmask_b32_e32 v27, 0x7fc0, v25, vcc_lo
	v_add_co_u32 v24, vcc_lo, v21, s12
	v_add_co_ci_u32_e32 v25, vcc_lo, s13, v22, vcc_lo
	global_store_b16 v[24:25], v27, off
	s_or_b32 exec_lo, exec_lo, s2
	s_and_saveexec_b32 s2, s3
	s_cbranch_execz .LBB47_14
.LBB47_18:                              ;   in Loop: Header=BB47_4 Depth=1
	s_waitcnt vmcnt(0)
	v_lshlrev_b32_e32 v24, 16, v26
	s_delay_alu instid0(VALU_DEP_1) | instskip(NEXT) | instid1(VALU_DEP_1)
	v_mul_f32_e32 v24, s18, v24
	v_bfe_u32 v25, v24, 16, 1
	v_cmp_o_f32_e32 vcc_lo, v24, v24
	s_delay_alu instid0(VALU_DEP_2) | instskip(NEXT) | instid1(VALU_DEP_1)
	v_add3_u32 v25, v24, v25, 0x7fff
	v_lshrrev_b32_e32 v25, 16, v25
	s_delay_alu instid0(VALU_DEP_1)
	v_cndmask_b32_e32 v26, 0x7fc0, v25, vcc_lo
	v_add_co_u32 v24, vcc_lo, v14, s12
	v_add_co_ci_u32_e32 v25, vcc_lo, s13, v15, vcc_lo
	global_store_b16 v[24:25], v26, off
	s_or_b32 exec_lo, exec_lo, s2
	s_and_saveexec_b32 s2, s4
	s_cbranch_execz .LBB47_3
.LBB47_19:                              ;   in Loop: Header=BB47_4 Depth=1
	s_waitcnt vmcnt(0)
	v_lshlrev_b32_e32 v23, 16, v23
	s_delay_alu instid0(VALU_DEP_1) | instskip(NEXT) | instid1(VALU_DEP_1)
	v_mul_f32_e32 v23, s18, v23
	v_bfe_u32 v24, v23, 16, 1
	v_cmp_o_f32_e32 vcc_lo, v23, v23
	s_delay_alu instid0(VALU_DEP_2) | instskip(NEXT) | instid1(VALU_DEP_1)
	v_add3_u32 v24, v23, v24, 0x7fff
	v_lshrrev_b32_e32 v24, 16, v24
	s_delay_alu instid0(VALU_DEP_1)
	v_cndmask_b32_e32 v25, 0x7fc0, v24, vcc_lo
	v_add_co_u32 v23, vcc_lo, v7, s12
	v_add_co_ci_u32_e32 v24, vcc_lo, s13, v8, vcc_lo
	global_store_b16 v[23:24], v25, off
	s_branch .LBB47_3
.LBB47_20:
	s_mov_b32 s2, 0
.LBB47_21:
	s_delay_alu instid0(SALU_CYCLE_1)
	s_and_not1_b32 vcc_lo, exec_lo, s2
	s_cbranch_vccnz .LBB47_25
; %bb.22:
	v_dual_mov_b32 v2, 0 :: v_dual_lshlrev_b32 v1, 2, v0
	s_mov_b32 s4, 0
	s_mov_b32 s2, exec_lo
	s_delay_alu instid0(VALU_DEP_1)
	v_cmpx_gt_i64_e64 s[10:11], v[1:2]
	s_cbranch_execz .LBB47_25
; %bb.23:
	s_load_b32 s0, s[0:1], 0xd54
	v_lshlrev_b32_e32 v1, 3, v0
	s_delay_alu instid0(VALU_DEP_1) | instskip(NEXT) | instid1(VALU_DEP_1)
	v_add_co_u32 v3, s1, s12, v1
	v_add_co_ci_u32_e64 v4, null, s13, 0, s1
	s_waitcnt lgkmcnt(0)
	s_and_b32 s0, s0, 0xffff
	s_delay_alu instid0(SALU_CYCLE_1)
	v_add_lshl_u32 v1, v0, s0, 2
	s_lshl_b32 s5, s0, 3
	s_lshl_b32 s12, s0, 2
.LBB47_24:                              ; =>This Inner Loop Header: Depth=1
	v_add_co_u32 v5, vcc_lo, s6, v3
	v_add_co_ci_u32_e32 v6, vcc_lo, s7, v4, vcc_lo
	v_add_co_u32 v7, vcc_lo, s8, v3
	v_add_co_ci_u32_e32 v8, vcc_lo, s9, v4, vcc_lo
	global_load_b64 v[5:6], v[5:6], off
	v_cmp_le_i64_e32 vcc_lo, s[10:11], v[1:2]
	v_cmp_lt_u64_e64 s0, 0xffff, v[1:2]
	v_add_co_u32 v3, s1, v3, s5
	s_delay_alu instid0(VALU_DEP_1) | instskip(SKIP_1) | instid1(VALU_DEP_4)
	v_add_co_ci_u32_e64 v4, s1, 0, v4, s1
	v_add_co_u32 v1, s1, v1, s12
	s_or_b32 s0, vcc_lo, s0
	v_add_co_ci_u32_e64 v2, s1, 0, v2, s1
	s_and_b32 s0, exec_lo, s0
	s_delay_alu instid0(SALU_CYCLE_1) | instskip(SKIP_3) | instid1(VALU_DEP_2)
	s_or_b32 s4, s0, s4
	s_waitcnt vmcnt(0)
	v_lshlrev_b32_e32 v0, 16, v5
	v_alignbit_b32 v9, v6, v5, 16
	v_dual_mul_f32 v0, s18, v0 :: v_dual_and_b32 v5, 0xffff0000, v5
	s_delay_alu instid0(VALU_DEP_1) | instskip(NEXT) | instid1(VALU_DEP_3)
	v_dual_mul_f32 v5, s18, v5 :: v_dual_and_b32 v6, 0xffff0000, v6
	v_and_b32_e32 v9, 0xffff0000, v9
	s_delay_alu instid0(VALU_DEP_3) | instskip(NEXT) | instid1(VALU_DEP_3)
	v_bfe_u32 v10, v0, 16, 1
	v_mul_f32_e32 v6, s18, v6
	s_delay_alu instid0(VALU_DEP_4)
	v_bfe_u32 v11, v5, 16, 1
	v_cmp_o_f32_e64 s2, v0, v0
	v_cmp_o_f32_e64 s3, v5, v5
	v_add3_u32 v10, v0, v10, 0x7fff
	v_bfe_u32 v12, v6, 16, 1
	v_add3_u32 v11, v5, v11, 0x7fff
	s_delay_alu instid0(VALU_DEP_3) | instskip(NEXT) | instid1(VALU_DEP_3)
	v_lshrrev_b32_e32 v10, 16, v10
	v_add3_u32 v12, v6, v12, 0x7fff
	v_mul_f32_e32 v9, s18, v9
	s_delay_alu instid0(VALU_DEP_4) | instskip(NEXT) | instid1(VALU_DEP_4)
	v_and_b32_e32 v11, 0xffff0000, v11
	v_cndmask_b32_e64 v10, 0x7fc0, v10, s2
	s_delay_alu instid0(VALU_DEP_4) | instskip(NEXT) | instid1(VALU_DEP_4)
	v_and_b32_e32 v12, 0xffff0000, v12
	v_bfe_u32 v13, v9, 16, 1
	v_cmp_o_f32_e64 s2, v6, v6
	v_cndmask_b32_e64 v5, 0x7fc00000, v11, s3
	s_delay_alu instid0(VALU_DEP_3) | instskip(NEXT) | instid1(VALU_DEP_3)
	v_add3_u32 v13, v9, v13, 0x7fff
	v_cndmask_b32_e64 v6, 0x7fc00000, v12, s2
	v_cmp_o_f32_e64 s2, v9, v9
	s_delay_alu instid0(VALU_DEP_4) | instskip(NEXT) | instid1(VALU_DEP_4)
	v_or_b32_e32 v5, v10, v5
	v_lshrrev_b32_e32 v0, 16, v13
	s_delay_alu instid0(VALU_DEP_2) | instskip(NEXT) | instid1(VALU_DEP_2)
	v_or3_b32 v5, v5, 0, 0
	v_cndmask_b32_e64 v0, 0x7fc0, v0, s2
	s_delay_alu instid0(VALU_DEP_1)
	v_or3_b32 v6, 0, v0, v6
	global_store_b64 v[7:8], v[5:6], off
	s_and_not1_b32 exec_lo, exec_lo, s4
	s_cbranch_execnz .LBB47_24
.LBB47_25:
	s_nop 0
	s_sendmsg sendmsg(MSG_DEALLOC_VGPRS)
	s_endpgm
	.section	.rodata,"a",@progbits
	.p2align	6, 0x0
	.amdhsa_kernel _ZN2at6native12_GLOBAL__N_125multi_tensor_apply_kernelINS1_28TensorListScalarListMetadataIfLi2EEENS1_25BinaryOpScalarListFunctorIN3c108BFloat16ELi2ELi1ELi1EEEJSt10multipliesIfEEEEvT_T0_DpT1_
		.amdhsa_group_segment_fixed_size 0
		.amdhsa_private_segment_fixed_size 0
		.amdhsa_kernarg_size 3656
		.amdhsa_user_sgpr_count 15
		.amdhsa_user_sgpr_dispatch_ptr 0
		.amdhsa_user_sgpr_queue_ptr 0
		.amdhsa_user_sgpr_kernarg_segment_ptr 1
		.amdhsa_user_sgpr_dispatch_id 0
		.amdhsa_user_sgpr_private_segment_size 0
		.amdhsa_wavefront_size32 1
		.amdhsa_uses_dynamic_stack 0
		.amdhsa_enable_private_segment 0
		.amdhsa_system_sgpr_workgroup_id_x 1
		.amdhsa_system_sgpr_workgroup_id_y 0
		.amdhsa_system_sgpr_workgroup_id_z 0
		.amdhsa_system_sgpr_workgroup_info 0
		.amdhsa_system_vgpr_workitem_id 0
		.amdhsa_next_free_vgpr 30
		.amdhsa_next_free_sgpr 22
		.amdhsa_reserve_vcc 1
		.amdhsa_float_round_mode_32 0
		.amdhsa_float_round_mode_16_64 0
		.amdhsa_float_denorm_mode_32 3
		.amdhsa_float_denorm_mode_16_64 3
		.amdhsa_dx10_clamp 1
		.amdhsa_ieee_mode 1
		.amdhsa_fp16_overflow 0
		.amdhsa_workgroup_processor_mode 1
		.amdhsa_memory_ordered 1
		.amdhsa_forward_progress 0
		.amdhsa_shared_vgpr_count 0
		.amdhsa_exception_fp_ieee_invalid_op 0
		.amdhsa_exception_fp_denorm_src 0
		.amdhsa_exception_fp_ieee_div_zero 0
		.amdhsa_exception_fp_ieee_overflow 0
		.amdhsa_exception_fp_ieee_underflow 0
		.amdhsa_exception_fp_ieee_inexact 0
		.amdhsa_exception_int_div_zero 0
	.end_amdhsa_kernel
	.section	.text._ZN2at6native12_GLOBAL__N_125multi_tensor_apply_kernelINS1_28TensorListScalarListMetadataIfLi2EEENS1_25BinaryOpScalarListFunctorIN3c108BFloat16ELi2ELi1ELi1EEEJSt10multipliesIfEEEEvT_T0_DpT1_,"axG",@progbits,_ZN2at6native12_GLOBAL__N_125multi_tensor_apply_kernelINS1_28TensorListScalarListMetadataIfLi2EEENS1_25BinaryOpScalarListFunctorIN3c108BFloat16ELi2ELi1ELi1EEEJSt10multipliesIfEEEEvT_T0_DpT1_,comdat
.Lfunc_end47:
	.size	_ZN2at6native12_GLOBAL__N_125multi_tensor_apply_kernelINS1_28TensorListScalarListMetadataIfLi2EEENS1_25BinaryOpScalarListFunctorIN3c108BFloat16ELi2ELi1ELi1EEEJSt10multipliesIfEEEEvT_T0_DpT1_, .Lfunc_end47-_ZN2at6native12_GLOBAL__N_125multi_tensor_apply_kernelINS1_28TensorListScalarListMetadataIfLi2EEENS1_25BinaryOpScalarListFunctorIN3c108BFloat16ELi2ELi1ELi1EEEJSt10multipliesIfEEEEvT_T0_DpT1_
                                        ; -- End function
	.section	.AMDGPU.csdata,"",@progbits
; Kernel info:
; codeLenInByte = 1908
; NumSgprs: 24
; NumVgprs: 30
; ScratchSize: 0
; MemoryBound: 0
; FloatMode: 240
; IeeeMode: 1
; LDSByteSize: 0 bytes/workgroup (compile time only)
; SGPRBlocks: 2
; VGPRBlocks: 3
; NumSGPRsForWavesPerEU: 24
; NumVGPRsForWavesPerEU: 30
; Occupancy: 16
; WaveLimiterHint : 0
; COMPUTE_PGM_RSRC2:SCRATCH_EN: 0
; COMPUTE_PGM_RSRC2:USER_SGPR: 15
; COMPUTE_PGM_RSRC2:TRAP_HANDLER: 0
; COMPUTE_PGM_RSRC2:TGID_X_EN: 1
; COMPUTE_PGM_RSRC2:TGID_Y_EN: 0
; COMPUTE_PGM_RSRC2:TGID_Z_EN: 0
; COMPUTE_PGM_RSRC2:TIDIG_COMP_CNT: 0
	.section	.text._ZN2at6native12_GLOBAL__N_125multi_tensor_apply_kernelINS1_28TensorListScalarListMetadataIhLi1EEENS1_25BinaryOpScalarListFunctorIhLi1ELi1ELi0EEEJSt7dividesIhEEEEvT_T0_DpT1_,"axG",@progbits,_ZN2at6native12_GLOBAL__N_125multi_tensor_apply_kernelINS1_28TensorListScalarListMetadataIhLi1EEENS1_25BinaryOpScalarListFunctorIhLi1ELi1ELi0EEEJSt7dividesIhEEEEvT_T0_DpT1_,comdat
	.globl	_ZN2at6native12_GLOBAL__N_125multi_tensor_apply_kernelINS1_28TensorListScalarListMetadataIhLi1EEENS1_25BinaryOpScalarListFunctorIhLi1ELi1ELi0EEEJSt7dividesIhEEEEvT_T0_DpT1_ ; -- Begin function _ZN2at6native12_GLOBAL__N_125multi_tensor_apply_kernelINS1_28TensorListScalarListMetadataIhLi1EEENS1_25BinaryOpScalarListFunctorIhLi1ELi1ELi0EEEJSt7dividesIhEEEEvT_T0_DpT1_
	.p2align	8
	.type	_ZN2at6native12_GLOBAL__N_125multi_tensor_apply_kernelINS1_28TensorListScalarListMetadataIhLi1EEENS1_25BinaryOpScalarListFunctorIhLi1ELi1ELi0EEEJSt7dividesIhEEEEvT_T0_DpT1_,@function
_ZN2at6native12_GLOBAL__N_125multi_tensor_apply_kernelINS1_28TensorListScalarListMetadataIhLi1EEENS1_25BinaryOpScalarListFunctorIhLi1ELi1ELi0EEEJSt7dividesIhEEEEvT_T0_DpT1_: ; @_ZN2at6native12_GLOBAL__N_125multi_tensor_apply_kernelINS1_28TensorListScalarListMetadataIhLi1EEENS1_25BinaryOpScalarListFunctorIhLi1ELi1ELi0EEEJSt7dividesIhEEEEvT_T0_DpT1_
; %bb.0:
	v_mov_b32_e32 v1, s15
	s_mul_i32 s4, s15, 3
	s_mul_hi_u32 s5, s15, 3
	global_load_u8 v3, v1, s[0:1] offset:1632
	s_waitcnt vmcnt(0)
	v_add_co_u32 v1, s2, s0, v3
	s_delay_alu instid0(VALU_DEP_1)
	v_add_co_ci_u32_e64 v2, null, s1, 0, s2
	s_add_u32 s2, s0, s15
	s_addc_u32 s3, s1, 0
	s_add_u32 s2, s2, s4
	global_load_u8 v2, v[1:2], off offset:1536
	v_readfirstlane_b32 s6, v3
	s_addc_u32 s3, s3, s5
	s_load_b32 s4, s[2:3], 0x7a0
	s_delay_alu instid0(VALU_DEP_1)
	s_lshl_b32 s5, s6, 3
	s_clause 0x1
	s_load_b64 s[2:3], s[0:1], s5 offset:0x0
	s_load_b64 s[8:9], s[0:1], s5 offset:0x300
	s_waitcnt lgkmcnt(0)
	s_ashr_i32 s5, s4, 31
	s_delay_alu instid0(SALU_CYCLE_1) | instskip(NEXT) | instid1(SALU_CYCLE_1)
	s_lshl_b64 s[4:5], s[4:5], 16
	s_add_u32 s12, s2, s4
	s_addc_u32 s13, s3, s5
	s_sub_u32 s6, s8, s4
	s_subb_u32 s7, s9, s5
	s_or_b32 s8, s8, s12
	s_delay_alu instid0(SALU_CYCLE_1) | instskip(NEXT) | instid1(SALU_CYCLE_1)
	s_and_b32 s8, s8, 3
	s_cmp_eq_u32 s8, 0
	s_cbranch_scc1 .LBB48_21
; %bb.1:
	v_cmp_lt_i64_e64 s8, s[6:7], 1
	s_delay_alu instid0(VALU_DEP_1)
	s_and_b32 vcc_lo, exec_lo, s8
	s_cbranch_vccnz .LBB48_20
; %bb.2:
	s_load_b32 s8, s[0:1], 0xcb4
	v_cmp_gt_u64_e64 s9, 0x10000, s[6:7]
	v_add_co_u32 v14, s10, s4, v0
	s_delay_alu instid0(VALU_DEP_1) | instskip(SKIP_2) | instid1(VALU_DEP_3)
	v_add_co_ci_u32_e64 v15, null, s5, 0, s10
	s_waitcnt vmcnt(0)
	v_cvt_f32_ubyte0_e32 v1, v2
	v_add_co_u32 v4, vcc_lo, s2, v14
	s_delay_alu instid0(VALU_DEP_3) | instskip(NEXT) | instid1(VALU_DEP_3)
	v_add_co_ci_u32_e32 v5, vcc_lo, s3, v15, vcc_lo
	v_rcp_iflag_f32_e32 v3, v1
	s_waitcnt lgkmcnt(0)
	s_and_b32 s10, s8, 0xffff
	s_and_b32 s8, s9, exec_lo
	s_mul_i32 s15, s10, 3
	s_cselect_b32 s9, s7, 0
	s_cselect_b32 s8, s6, 0x10000
	s_lshl_b32 s11, s10, 1
	s_lshl_b32 s14, s10, 2
	s_add_u32 s16, s4, s15
	s_addc_u32 s17, s5, 0
	s_add_u32 s16, s2, s16
	s_addc_u32 s17, s3, s17
	;; [unrolled: 2-line block ×4, first 2 shown]
	v_add_co_u32 v10, s4, s4, v0
	s_add_u32 s2, s2, s10
	v_add_co_u32 v6, s16, s16, v0
	v_add_co_u32 v8, s15, s15, v0
	v_add_co_ci_u32_e64 v11, null, s5, 0, s4
	v_add_co_u32 v12, s4, s11, v0
	s_addc_u32 s3, s3, 0
	v_add_co_u32 v14, vcc_lo, s2, v14
	v_add_co_u32 v16, s2, v0, s10
	v_add_co_ci_u32_e64 v7, null, s17, 0, s16
	v_add_co_ci_u32_e64 v9, null, 0, 0, s15
	;; [unrolled: 1-line block ×3, first 2 shown]
	v_add_co_ci_u32_e32 v15, vcc_lo, s3, v15, vcc_lo
	v_add_co_ci_u32_e64 v17, null, 0, 0, s2
	s_mov_b64 s[10:11], 0
	s_branch .LBB48_4
.LBB48_3:                               ;   in Loop: Header=BB48_4 Depth=1
	s_or_b32 exec_lo, exec_lo, s2
	s_add_u32 s10, s10, s14
	s_addc_u32 s11, s11, 0
	s_delay_alu instid0(SALU_CYCLE_1) | instskip(SKIP_1) | instid1(VALU_DEP_1)
	v_cmp_lt_i64_e64 s2, s[10:11], s[6:7]
	v_cmp_gt_u64_e64 s3, 0x10000, s[10:11]
	s_and_b32 s2, s2, s3
	s_delay_alu instid0(SALU_CYCLE_1)
	s_and_b32 vcc_lo, exec_lo, s2
	s_cbranch_vccz .LBB48_20
.LBB48_4:                               ; =>This Inner Loop Header: Depth=1
	s_waitcnt vmcnt(0)
	v_add_co_u32 v18, s2, v0, s10
	s_delay_alu instid0(VALU_DEP_1) | instskip(NEXT) | instid1(VALU_DEP_1)
	v_add_co_ci_u32_e64 v19, null, 0, s11, s2
	v_cmp_gt_u64_e64 s2, s[8:9], v[18:19]
	v_mov_b32_e32 v19, 0
	s_delay_alu instid0(VALU_DEP_2)
	s_and_saveexec_b32 s3, s2
	s_cbranch_execz .LBB48_6
; %bb.5:                                ;   in Loop: Header=BB48_4 Depth=1
	v_add_co_u32 v18, vcc_lo, v4, s10
	v_add_co_ci_u32_e32 v19, vcc_lo, s11, v5, vcc_lo
	global_load_u8 v19, v[18:19], off
.LBB48_6:                               ;   in Loop: Header=BB48_4 Depth=1
	s_or_b32 exec_lo, exec_lo, s3
	v_add_co_u32 v20, vcc_lo, v16, s10
	v_add_co_ci_u32_e32 v21, vcc_lo, s11, v17, vcc_lo
	s_delay_alu instid0(VALU_DEP_1)
	v_cmp_gt_u64_e32 vcc_lo, s[8:9], v[20:21]
	v_mov_b32_e32 v20, 0
	s_and_saveexec_b32 s4, vcc_lo
	s_cbranch_execz .LBB48_8
; %bb.7:                                ;   in Loop: Header=BB48_4 Depth=1
	v_add_co_u32 v20, s3, v14, s10
	s_delay_alu instid0(VALU_DEP_1)
	v_add_co_ci_u32_e64 v21, s3, s11, v15, s3
	global_load_u8 v20, v[20:21], off
.LBB48_8:                               ;   in Loop: Header=BB48_4 Depth=1
	s_or_b32 exec_lo, exec_lo, s4
	v_add_co_u32 v21, s3, v12, s10
	s_delay_alu instid0(VALU_DEP_1) | instskip(SKIP_1) | instid1(VALU_DEP_2)
	v_add_co_ci_u32_e64 v22, s3, s11, v13, s3
	v_mov_b32_e32 v18, 0
	v_cmp_gt_u64_e64 s3, s[8:9], v[21:22]
	v_mov_b32_e32 v21, 0
	s_delay_alu instid0(VALU_DEP_2)
	s_and_saveexec_b32 s5, s3
	s_cbranch_execz .LBB48_10
; %bb.9:                                ;   in Loop: Header=BB48_4 Depth=1
	v_add_co_u32 v21, s4, v10, s10
	s_delay_alu instid0(VALU_DEP_1)
	v_add_co_ci_u32_e64 v22, s4, s11, v11, s4
	global_load_u8 v21, v[21:22], off
.LBB48_10:                              ;   in Loop: Header=BB48_4 Depth=1
	s_or_b32 exec_lo, exec_lo, s5
	v_add_co_u32 v22, s4, v8, s10
	s_delay_alu instid0(VALU_DEP_1) | instskip(NEXT) | instid1(VALU_DEP_1)
	v_add_co_ci_u32_e64 v23, s4, s11, v9, s4
	v_cmp_gt_u64_e64 s4, s[8:9], v[22:23]
	s_delay_alu instid0(VALU_DEP_1)
	s_and_saveexec_b32 s15, s4
	s_cbranch_execnz .LBB48_15
; %bb.11:                               ;   in Loop: Header=BB48_4 Depth=1
	s_or_b32 exec_lo, exec_lo, s15
	s_and_saveexec_b32 s5, s2
	s_cbranch_execnz .LBB48_16
.LBB48_12:                              ;   in Loop: Header=BB48_4 Depth=1
	s_or_b32 exec_lo, exec_lo, s5
	s_and_saveexec_b32 s2, vcc_lo
	s_cbranch_execnz .LBB48_17
.LBB48_13:                              ;   in Loop: Header=BB48_4 Depth=1
	s_or_b32 exec_lo, exec_lo, s2
	s_and_saveexec_b32 s2, s3
	s_cbranch_execnz .LBB48_18
.LBB48_14:                              ;   in Loop: Header=BB48_4 Depth=1
	s_or_b32 exec_lo, exec_lo, s2
	s_and_saveexec_b32 s2, s4
	s_cbranch_execz .LBB48_3
	s_branch .LBB48_19
.LBB48_15:                              ;   in Loop: Header=BB48_4 Depth=1
	v_add_co_u32 v22, s5, v6, s10
	s_delay_alu instid0(VALU_DEP_1)
	v_add_co_ci_u32_e64 v23, s5, s11, v7, s5
	global_load_u8 v18, v[22:23], off
	s_or_b32 exec_lo, exec_lo, s15
	s_and_saveexec_b32 s5, s2
	s_cbranch_execz .LBB48_12
.LBB48_16:                              ;   in Loop: Header=BB48_4 Depth=1
	s_waitcnt vmcnt(0)
	v_cvt_f32_ubyte0_e32 v19, v19
	s_delay_alu instid0(VALU_DEP_1) | instskip(NEXT) | instid1(VALU_DEP_1)
	v_mul_f32_e32 v22, v19, v3
	v_trunc_f32_e32 v22, v22
	s_delay_alu instid0(VALU_DEP_1) | instskip(SKIP_2) | instid1(VALU_DEP_1)
	v_fma_f32 v19, -v22, v1, v19
	v_cvt_u32_f32_e32 v24, v22
	v_add_co_u32 v22, s2, v4, s10
	v_add_co_ci_u32_e64 v23, s2, s11, v5, s2
	s_delay_alu instid0(VALU_DEP_4) | instskip(NEXT) | instid1(VALU_DEP_1)
	v_cmp_ge_f32_e64 s2, |v19|, v1
	v_add_co_ci_u32_e64 v19, s2, 0, v24, s2
	global_store_b8 v[22:23], v19, off
	s_or_b32 exec_lo, exec_lo, s5
	s_and_saveexec_b32 s2, vcc_lo
	s_cbranch_execz .LBB48_13
.LBB48_17:                              ;   in Loop: Header=BB48_4 Depth=1
	s_waitcnt vmcnt(0)
	v_cvt_f32_ubyte0_e32 v19, v20
	s_delay_alu instid0(VALU_DEP_1) | instskip(NEXT) | instid1(VALU_DEP_1)
	v_mul_f32_e32 v20, v19, v3
	v_trunc_f32_e32 v20, v20
	s_delay_alu instid0(VALU_DEP_1) | instskip(SKIP_1) | instid1(VALU_DEP_2)
	v_fma_f32 v19, -v20, v1, v19
	v_cvt_u32_f32_e32 v20, v20
	v_cmp_ge_f32_e64 vcc_lo, |v19|, v1
	s_delay_alu instid0(VALU_DEP_2)
	v_add_co_ci_u32_e32 v22, vcc_lo, 0, v20, vcc_lo
	v_add_co_u32 v19, vcc_lo, v14, s10
	v_add_co_ci_u32_e32 v20, vcc_lo, s11, v15, vcc_lo
	global_store_b8 v[19:20], v22, off
	s_or_b32 exec_lo, exec_lo, s2
	s_and_saveexec_b32 s2, s3
	s_cbranch_execz .LBB48_14
.LBB48_18:                              ;   in Loop: Header=BB48_4 Depth=1
	s_waitcnt vmcnt(0)
	v_cvt_f32_ubyte0_e32 v19, v21
	s_delay_alu instid0(VALU_DEP_1) | instskip(NEXT) | instid1(VALU_DEP_1)
	v_mul_f32_e32 v20, v19, v3
	v_trunc_f32_e32 v20, v20
	s_delay_alu instid0(VALU_DEP_1) | instskip(SKIP_1) | instid1(VALU_DEP_2)
	v_fma_f32 v19, -v20, v1, v19
	v_cvt_u32_f32_e32 v20, v20
	v_cmp_ge_f32_e64 vcc_lo, |v19|, v1
	s_delay_alu instid0(VALU_DEP_2)
	v_add_co_ci_u32_e32 v21, vcc_lo, 0, v20, vcc_lo
	v_add_co_u32 v19, vcc_lo, v10, s10
	v_add_co_ci_u32_e32 v20, vcc_lo, s11, v11, vcc_lo
	global_store_b8 v[19:20], v21, off
	s_or_b32 exec_lo, exec_lo, s2
	s_and_saveexec_b32 s2, s4
	s_cbranch_execz .LBB48_3
.LBB48_19:                              ;   in Loop: Header=BB48_4 Depth=1
	s_waitcnt vmcnt(0)
	v_cvt_f32_ubyte0_e32 v18, v18
	s_delay_alu instid0(VALU_DEP_1) | instskip(NEXT) | instid1(VALU_DEP_1)
	v_mul_f32_e32 v19, v18, v3
	v_trunc_f32_e32 v19, v19
	s_delay_alu instid0(VALU_DEP_1) | instskip(SKIP_1) | instid1(VALU_DEP_2)
	v_fma_f32 v18, -v19, v1, v18
	v_cvt_u32_f32_e32 v19, v19
	v_cmp_ge_f32_e64 vcc_lo, |v18|, v1
	s_delay_alu instid0(VALU_DEP_2)
	v_add_co_ci_u32_e32 v20, vcc_lo, 0, v19, vcc_lo
	v_add_co_u32 v18, vcc_lo, v6, s10
	v_add_co_ci_u32_e32 v19, vcc_lo, s11, v7, vcc_lo
	global_store_b8 v[18:19], v20, off
	s_branch .LBB48_3
.LBB48_20:
	s_cbranch_execz .LBB48_22
	s_branch .LBB48_25
.LBB48_21:
.LBB48_22:
	v_dual_mov_b32 v1, 0 :: v_dual_lshlrev_b32 v0, 2, v0
	s_mov_b32 s2, exec_lo
	s_delay_alu instid0(VALU_DEP_1)
	v_cmpx_gt_i64_e64 s[6:7], v[0:1]
	s_cbranch_execz .LBB48_25
; %bb.23:
	s_load_b32 s0, s[0:1], 0xcb4
	s_waitcnt vmcnt(0)
	v_cvt_f32_ubyte0_e32 v2, v2
	s_mov_b32 s2, 0
	s_delay_alu instid0(VALU_DEP_1) | instskip(SKIP_2) | instid1(SALU_CYCLE_1)
	v_rcp_iflag_f32_e32 v3, v2
	s_waitcnt lgkmcnt(0)
	s_and_b32 s0, s0, 0xffff
	s_lshl_b32 s1, s0, 2
.LBB48_24:                              ; =>This Inner Loop Header: Depth=1
	v_add_co_u32 v4, vcc_lo, s12, v0
	v_add_co_ci_u32_e32 v5, vcc_lo, s13, v1, vcc_lo
	v_add_co_u32 v0, vcc_lo, s1, v0
	v_add_co_ci_u32_e32 v1, vcc_lo, 0, v1, vcc_lo
	global_load_b32 v6, v[4:5], off
	v_cmp_lt_u64_e64 s0, 0xffff, v[0:1]
	s_waitcnt vmcnt(0)
	v_cvt_f32_ubyte2_e32 v9, v6
	v_cvt_f32_ubyte0_e32 v7, v6
	v_cvt_f32_ubyte1_e32 v8, v6
	v_cvt_f32_ubyte3_e32 v6, v6
	s_delay_alu instid0(VALU_DEP_4) | instskip(NEXT) | instid1(VALU_DEP_3)
	v_mul_f32_e32 v12, v9, v3
	v_mul_f32_e32 v11, v8, v3
	s_delay_alu instid0(VALU_DEP_2) | instskip(NEXT) | instid1(VALU_DEP_2)
	v_trunc_f32_e32 v12, v12
	v_trunc_f32_e32 v11, v11
	s_delay_alu instid0(VALU_DEP_2) | instskip(SKIP_1) | instid1(VALU_DEP_3)
	v_fma_f32 v9, -v12, v2, v9
	v_cvt_u32_f32_e32 v12, v12
	v_fma_f32 v8, -v11, v2, v8
	v_cvt_u32_f32_e32 v11, v11
	s_delay_alu instid0(VALU_DEP_4) | instskip(NEXT) | instid1(VALU_DEP_4)
	v_cmp_ge_f32_e64 vcc_lo, |v9|, v2
	v_add_co_ci_u32_e32 v9, vcc_lo, 0, v12, vcc_lo
	s_delay_alu instid0(VALU_DEP_1) | instskip(NEXT) | instid1(VALU_DEP_1)
	v_dual_mul_f32 v10, v7, v3 :: v_dual_and_b32 v9, 0xff, v9
	v_trunc_f32_e32 v10, v10
	s_delay_alu instid0(VALU_DEP_2) | instskip(NEXT) | instid1(VALU_DEP_2)
	v_lshlrev_b32_e32 v9, 16, v9
	v_fma_f32 v7, -v10, v2, v7
	v_cvt_u32_f32_e32 v10, v10
	s_delay_alu instid0(VALU_DEP_2) | instskip(NEXT) | instid1(VALU_DEP_2)
	v_cmp_ge_f32_e64 vcc_lo, |v7|, v2
	v_add_co_ci_u32_e32 v7, vcc_lo, 0, v10, vcc_lo
	v_cmp_ge_f32_e64 vcc_lo, |v8|, v2
	s_delay_alu instid0(VALU_DEP_2) | instskip(SKIP_1) | instid1(VALU_DEP_1)
	v_and_b32_e32 v7, 0xff, v7
	v_add_co_ci_u32_e32 v8, vcc_lo, 0, v11, vcc_lo
	v_dual_mul_f32 v13, v6, v3 :: v_dual_and_b32 v8, 0xff, v8
	s_delay_alu instid0(VALU_DEP_1) | instskip(NEXT) | instid1(VALU_DEP_2)
	v_lshlrev_b32_e32 v8, 8, v8
	v_trunc_f32_e32 v13, v13
	s_delay_alu instid0(VALU_DEP_1) | instskip(SKIP_1) | instid1(VALU_DEP_2)
	v_fma_f32 v6, -v13, v2, v6
	v_cvt_u32_f32_e32 v13, v13
	v_cmp_ge_f32_e64 vcc_lo, |v6|, v2
	s_delay_alu instid0(VALU_DEP_2) | instskip(SKIP_1) | instid1(VALU_DEP_2)
	v_add_co_ci_u32_e32 v6, vcc_lo, 0, v13, vcc_lo
	v_cmp_le_i64_e32 vcc_lo, s[6:7], v[0:1]
	v_lshl_or_b32 v6, v6, 24, v9
	s_delay_alu instid0(VALU_DEP_4) | instskip(NEXT) | instid1(VALU_DEP_1)
	s_or_b32 s0, vcc_lo, s0
	v_or3_b32 v6, v6, v8, v7
	s_and_b32 s0, exec_lo, s0
	s_delay_alu instid0(SALU_CYCLE_1)
	s_or_b32 s2, s0, s2
	global_store_b32 v[4:5], v6, off
	s_and_not1_b32 exec_lo, exec_lo, s2
	s_cbranch_execnz .LBB48_24
.LBB48_25:
	s_nop 0
	s_sendmsg sendmsg(MSG_DEALLOC_VGPRS)
	s_endpgm
	.section	.rodata,"a",@progbits
	.p2align	6, 0x0
	.amdhsa_kernel _ZN2at6native12_GLOBAL__N_125multi_tensor_apply_kernelINS1_28TensorListScalarListMetadataIhLi1EEENS1_25BinaryOpScalarListFunctorIhLi1ELi1ELi0EEEJSt7dividesIhEEEEvT_T0_DpT1_
		.amdhsa_group_segment_fixed_size 0
		.amdhsa_private_segment_fixed_size 0
		.amdhsa_kernarg_size 3496
		.amdhsa_user_sgpr_count 15
		.amdhsa_user_sgpr_dispatch_ptr 0
		.amdhsa_user_sgpr_queue_ptr 0
		.amdhsa_user_sgpr_kernarg_segment_ptr 1
		.amdhsa_user_sgpr_dispatch_id 0
		.amdhsa_user_sgpr_private_segment_size 0
		.amdhsa_wavefront_size32 1
		.amdhsa_uses_dynamic_stack 0
		.amdhsa_enable_private_segment 0
		.amdhsa_system_sgpr_workgroup_id_x 1
		.amdhsa_system_sgpr_workgroup_id_y 0
		.amdhsa_system_sgpr_workgroup_id_z 0
		.amdhsa_system_sgpr_workgroup_info 0
		.amdhsa_system_vgpr_workitem_id 0
		.amdhsa_next_free_vgpr 25
		.amdhsa_next_free_sgpr 18
		.amdhsa_reserve_vcc 1
		.amdhsa_float_round_mode_32 0
		.amdhsa_float_round_mode_16_64 0
		.amdhsa_float_denorm_mode_32 3
		.amdhsa_float_denorm_mode_16_64 3
		.amdhsa_dx10_clamp 1
		.amdhsa_ieee_mode 1
		.amdhsa_fp16_overflow 0
		.amdhsa_workgroup_processor_mode 1
		.amdhsa_memory_ordered 1
		.amdhsa_forward_progress 0
		.amdhsa_shared_vgpr_count 0
		.amdhsa_exception_fp_ieee_invalid_op 0
		.amdhsa_exception_fp_denorm_src 0
		.amdhsa_exception_fp_ieee_div_zero 0
		.amdhsa_exception_fp_ieee_overflow 0
		.amdhsa_exception_fp_ieee_underflow 0
		.amdhsa_exception_fp_ieee_inexact 0
		.amdhsa_exception_int_div_zero 0
	.end_amdhsa_kernel
	.section	.text._ZN2at6native12_GLOBAL__N_125multi_tensor_apply_kernelINS1_28TensorListScalarListMetadataIhLi1EEENS1_25BinaryOpScalarListFunctorIhLi1ELi1ELi0EEEJSt7dividesIhEEEEvT_T0_DpT1_,"axG",@progbits,_ZN2at6native12_GLOBAL__N_125multi_tensor_apply_kernelINS1_28TensorListScalarListMetadataIhLi1EEENS1_25BinaryOpScalarListFunctorIhLi1ELi1ELi0EEEJSt7dividesIhEEEEvT_T0_DpT1_,comdat
.Lfunc_end48:
	.size	_ZN2at6native12_GLOBAL__N_125multi_tensor_apply_kernelINS1_28TensorListScalarListMetadataIhLi1EEENS1_25BinaryOpScalarListFunctorIhLi1ELi1ELi0EEEJSt7dividesIhEEEEvT_T0_DpT1_, .Lfunc_end48-_ZN2at6native12_GLOBAL__N_125multi_tensor_apply_kernelINS1_28TensorListScalarListMetadataIhLi1EEENS1_25BinaryOpScalarListFunctorIhLi1ELi1ELi0EEEJSt7dividesIhEEEEvT_T0_DpT1_
                                        ; -- End function
	.section	.AMDGPU.csdata,"",@progbits
; Kernel info:
; codeLenInByte = 1580
; NumSgprs: 20
; NumVgprs: 25
; ScratchSize: 0
; MemoryBound: 0
; FloatMode: 240
; IeeeMode: 1
; LDSByteSize: 0 bytes/workgroup (compile time only)
; SGPRBlocks: 2
; VGPRBlocks: 3
; NumSGPRsForWavesPerEU: 20
; NumVGPRsForWavesPerEU: 25
; Occupancy: 16
; WaveLimiterHint : 0
; COMPUTE_PGM_RSRC2:SCRATCH_EN: 0
; COMPUTE_PGM_RSRC2:USER_SGPR: 15
; COMPUTE_PGM_RSRC2:TRAP_HANDLER: 0
; COMPUTE_PGM_RSRC2:TGID_X_EN: 1
; COMPUTE_PGM_RSRC2:TGID_Y_EN: 0
; COMPUTE_PGM_RSRC2:TGID_Z_EN: 0
; COMPUTE_PGM_RSRC2:TIDIG_COMP_CNT: 0
	.section	.text._ZN2at6native12_GLOBAL__N_125multi_tensor_apply_kernelINS1_28TensorListScalarListMetadataIaLi1EEENS1_25BinaryOpScalarListFunctorIaLi1ELi1ELi0EEEJSt7dividesIaEEEEvT_T0_DpT1_,"axG",@progbits,_ZN2at6native12_GLOBAL__N_125multi_tensor_apply_kernelINS1_28TensorListScalarListMetadataIaLi1EEENS1_25BinaryOpScalarListFunctorIaLi1ELi1ELi0EEEJSt7dividesIaEEEEvT_T0_DpT1_,comdat
	.globl	_ZN2at6native12_GLOBAL__N_125multi_tensor_apply_kernelINS1_28TensorListScalarListMetadataIaLi1EEENS1_25BinaryOpScalarListFunctorIaLi1ELi1ELi0EEEJSt7dividesIaEEEEvT_T0_DpT1_ ; -- Begin function _ZN2at6native12_GLOBAL__N_125multi_tensor_apply_kernelINS1_28TensorListScalarListMetadataIaLi1EEENS1_25BinaryOpScalarListFunctorIaLi1ELi1ELi0EEEJSt7dividesIaEEEEvT_T0_DpT1_
	.p2align	8
	.type	_ZN2at6native12_GLOBAL__N_125multi_tensor_apply_kernelINS1_28TensorListScalarListMetadataIaLi1EEENS1_25BinaryOpScalarListFunctorIaLi1ELi1ELi0EEEJSt7dividesIaEEEEvT_T0_DpT1_,@function
_ZN2at6native12_GLOBAL__N_125multi_tensor_apply_kernelINS1_28TensorListScalarListMetadataIaLi1EEENS1_25BinaryOpScalarListFunctorIaLi1ELi1ELi0EEEJSt7dividesIaEEEEvT_T0_DpT1_: ; @_ZN2at6native12_GLOBAL__N_125multi_tensor_apply_kernelINS1_28TensorListScalarListMetadataIaLi1EEENS1_25BinaryOpScalarListFunctorIaLi1ELi1ELi0EEEJSt7dividesIaEEEEvT_T0_DpT1_
; %bb.0:
	v_mov_b32_e32 v1, s15
	s_mul_i32 s4, s15, 3
	s_mul_hi_u32 s5, s15, 3
	global_load_u8 v3, v1, s[0:1] offset:1632
	s_waitcnt vmcnt(0)
	v_add_co_u32 v1, s2, s0, v3
	s_delay_alu instid0(VALU_DEP_1)
	v_add_co_ci_u32_e64 v2, null, s1, 0, s2
	s_add_u32 s2, s0, s15
	s_addc_u32 s3, s1, 0
	s_add_u32 s2, s2, s4
	global_load_u8 v2, v[1:2], off offset:1536
	v_readfirstlane_b32 s6, v3
	s_addc_u32 s3, s3, s5
	s_load_b32 s4, s[2:3], 0x7a0
	s_delay_alu instid0(VALU_DEP_1)
	s_lshl_b32 s5, s6, 3
	s_clause 0x1
	s_load_b64 s[2:3], s[0:1], s5 offset:0x0
	s_load_b64 s[8:9], s[0:1], s5 offset:0x300
	s_waitcnt lgkmcnt(0)
	s_ashr_i32 s5, s4, 31
	s_delay_alu instid0(SALU_CYCLE_1) | instskip(NEXT) | instid1(SALU_CYCLE_1)
	s_lshl_b64 s[4:5], s[4:5], 16
	s_add_u32 s12, s2, s4
	s_addc_u32 s13, s3, s5
	s_sub_u32 s6, s8, s4
	s_subb_u32 s7, s9, s5
	s_or_b32 s8, s8, s12
	s_delay_alu instid0(SALU_CYCLE_1) | instskip(NEXT) | instid1(SALU_CYCLE_1)
	s_and_b32 s8, s8, 3
	s_cmp_eq_u32 s8, 0
	s_cbranch_scc1 .LBB49_21
; %bb.1:
	v_cmp_lt_i64_e64 s8, s[6:7], 1
	s_delay_alu instid0(VALU_DEP_1)
	s_and_b32 vcc_lo, exec_lo, s8
	s_cbranch_vccnz .LBB49_20
; %bb.2:
	s_load_b32 s8, s[0:1], 0xcb4
	v_cmp_gt_u64_e64 s9, 0x10000, s[6:7]
	v_add_co_u32 v15, s10, s4, v0
	s_delay_alu instid0(VALU_DEP_1) | instskip(SKIP_2) | instid1(VALU_DEP_3)
	v_add_co_ci_u32_e64 v16, null, s5, 0, s10
	s_waitcnt vmcnt(0)
	v_bfe_i32 v1, v2, 0, 8
	v_add_co_u32 v4, vcc_lo, s2, v15
	s_delay_alu instid0(VALU_DEP_3) | instskip(NEXT) | instid1(VALU_DEP_3)
	v_add_co_ci_u32_e32 v5, vcc_lo, s3, v16, vcc_lo
	v_cvt_f32_i32_e32 v3, v1
	s_delay_alu instid0(VALU_DEP_1)
	v_rcp_iflag_f32_e32 v6, v3
	s_waitcnt lgkmcnt(0)
	s_and_b32 s10, s8, 0xffff
	s_and_b32 s8, s9, exec_lo
	s_mul_i32 s15, s10, 3
	s_cselect_b32 s9, s7, 0
	s_cselect_b32 s8, s6, 0x10000
	s_lshl_b32 s11, s10, 1
	s_lshl_b32 s14, s10, 2
	s_add_u32 s16, s4, s15
	s_addc_u32 s17, s5, 0
	s_add_u32 s16, s2, s16
	s_addc_u32 s17, s3, s17
	;; [unrolled: 2-line block ×4, first 2 shown]
	v_add_co_u32 v11, s4, s4, v0
	s_add_u32 s2, s2, s10
	v_add_co_u32 v7, s16, s16, v0
	v_add_co_u32 v9, s15, s15, v0
	v_add_co_ci_u32_e64 v12, null, s5, 0, s4
	v_add_co_u32 v13, s4, s11, v0
	s_addc_u32 s3, s3, 0
	v_add_co_u32 v15, vcc_lo, s2, v15
	v_add_co_u32 v17, s2, v0, s10
	v_add_co_ci_u32_e64 v8, null, s17, 0, s16
	v_add_co_ci_u32_e64 v10, null, 0, 0, s15
	;; [unrolled: 1-line block ×3, first 2 shown]
	v_add_co_ci_u32_e32 v16, vcc_lo, s3, v16, vcc_lo
	v_add_co_ci_u32_e64 v18, null, 0, 0, s2
	s_mov_b64 s[10:11], 0
	s_branch .LBB49_4
.LBB49_3:                               ;   in Loop: Header=BB49_4 Depth=1
	s_or_b32 exec_lo, exec_lo, s2
	s_add_u32 s10, s10, s14
	s_addc_u32 s11, s11, 0
	s_delay_alu instid0(SALU_CYCLE_1) | instskip(SKIP_1) | instid1(VALU_DEP_1)
	v_cmp_lt_i64_e64 s2, s[10:11], s[6:7]
	v_cmp_gt_u64_e64 s3, 0x10000, s[10:11]
	s_and_b32 s2, s2, s3
	s_delay_alu instid0(SALU_CYCLE_1)
	s_and_b32 vcc_lo, exec_lo, s2
	s_cbranch_vccz .LBB49_20
.LBB49_4:                               ; =>This Inner Loop Header: Depth=1
	s_waitcnt vmcnt(0)
	v_add_co_u32 v19, s2, v0, s10
	s_delay_alu instid0(VALU_DEP_1) | instskip(SKIP_1) | instid1(VALU_DEP_2)
	v_add_co_ci_u32_e64 v20, null, 0, s11, s2
	v_mov_b32_e32 v22, 0
	v_cmp_gt_u64_e64 s4, s[8:9], v[19:20]
	s_delay_alu instid0(VALU_DEP_1)
	s_and_saveexec_b32 s2, s4
	s_cbranch_execz .LBB49_6
; %bb.5:                                ;   in Loop: Header=BB49_4 Depth=1
	v_add_co_u32 v19, vcc_lo, v4, s10
	v_add_co_ci_u32_e32 v20, vcc_lo, s11, v5, vcc_lo
	global_load_u8 v22, v[19:20], off
.LBB49_6:                               ;   in Loop: Header=BB49_4 Depth=1
	s_or_b32 exec_lo, exec_lo, s2
	v_add_co_u32 v19, vcc_lo, v17, s10
	v_add_co_ci_u32_e32 v20, vcc_lo, s11, v18, vcc_lo
	v_mov_b32_e32 v21, 0
	s_delay_alu instid0(VALU_DEP_2) | instskip(NEXT) | instid1(VALU_DEP_1)
	v_cmp_gt_u64_e64 s3, s[8:9], v[19:20]
	s_and_saveexec_b32 s2, s3
	s_cbranch_execz .LBB49_8
; %bb.7:                                ;   in Loop: Header=BB49_4 Depth=1
	v_add_co_u32 v19, vcc_lo, v15, s10
	v_add_co_ci_u32_e32 v20, vcc_lo, s11, v16, vcc_lo
	global_load_u8 v21, v[19:20], off
.LBB49_8:                               ;   in Loop: Header=BB49_4 Depth=1
	s_or_b32 exec_lo, exec_lo, s2
	v_add_co_u32 v19, vcc_lo, v13, s10
	v_add_co_ci_u32_e32 v20, vcc_lo, s11, v14, vcc_lo
	s_delay_alu instid0(VALU_DEP_1) | instskip(SKIP_1) | instid1(VALU_DEP_2)
	v_cmp_gt_u64_e64 s2, s[8:9], v[19:20]
	v_dual_mov_b32 v19, 0 :: v_dual_mov_b32 v20, 0
	s_and_saveexec_b32 s5, s2
	s_cbranch_execz .LBB49_10
; %bb.9:                                ;   in Loop: Header=BB49_4 Depth=1
	v_add_co_u32 v23, vcc_lo, v11, s10
	v_add_co_ci_u32_e32 v24, vcc_lo, s11, v12, vcc_lo
	global_load_u8 v20, v[23:24], off
.LBB49_10:                              ;   in Loop: Header=BB49_4 Depth=1
	s_or_b32 exec_lo, exec_lo, s5
	v_add_co_u32 v23, vcc_lo, v9, s10
	v_add_co_ci_u32_e32 v24, vcc_lo, s11, v10, vcc_lo
	s_delay_alu instid0(VALU_DEP_1)
	v_cmp_gt_u64_e32 vcc_lo, s[8:9], v[23:24]
	s_and_saveexec_b32 s15, vcc_lo
	s_cbranch_execnz .LBB49_15
; %bb.11:                               ;   in Loop: Header=BB49_4 Depth=1
	s_or_b32 exec_lo, exec_lo, s15
	s_and_saveexec_b32 s5, s4
	s_cbranch_execnz .LBB49_16
.LBB49_12:                              ;   in Loop: Header=BB49_4 Depth=1
	s_or_b32 exec_lo, exec_lo, s5
	s_and_saveexec_b32 s4, s3
	s_cbranch_execnz .LBB49_17
.LBB49_13:                              ;   in Loop: Header=BB49_4 Depth=1
	s_or_b32 exec_lo, exec_lo, s4
	s_and_saveexec_b32 s3, s2
	s_cbranch_execnz .LBB49_18
.LBB49_14:                              ;   in Loop: Header=BB49_4 Depth=1
	s_or_b32 exec_lo, exec_lo, s3
	s_and_saveexec_b32 s2, vcc_lo
	s_cbranch_execz .LBB49_3
	s_branch .LBB49_19
.LBB49_15:                              ;   in Loop: Header=BB49_4 Depth=1
	v_add_co_u32 v23, s5, v7, s10
	s_delay_alu instid0(VALU_DEP_1)
	v_add_co_ci_u32_e64 v24, s5, s11, v8, s5
	global_load_u8 v19, v[23:24], off
	s_or_b32 exec_lo, exec_lo, s15
	s_and_saveexec_b32 s5, s4
	s_cbranch_execz .LBB49_12
.LBB49_16:                              ;   in Loop: Header=BB49_4 Depth=1
	s_waitcnt vmcnt(0)
	v_bfe_i32 v22, v22, 0, 8
	s_delay_alu instid0(VALU_DEP_1) | instskip(SKIP_1) | instid1(VALU_DEP_2)
	v_cvt_f32_i32_e32 v23, v22
	v_xor_b32_e32 v22, v22, v1
	v_mul_f32_e32 v24, v23, v6
	s_delay_alu instid0(VALU_DEP_2) | instskip(NEXT) | instid1(VALU_DEP_2)
	v_ashrrev_i32_e32 v22, 30, v22
	v_trunc_f32_e32 v24, v24
	s_delay_alu instid0(VALU_DEP_2) | instskip(NEXT) | instid1(VALU_DEP_2)
	v_or_b32_e32 v22, 1, v22
	v_fma_f32 v23, -v24, v3, v23
	v_cvt_i32_f32_e32 v24, v24
	s_delay_alu instid0(VALU_DEP_2) | instskip(NEXT) | instid1(VALU_DEP_1)
	v_cmp_ge_f32_e64 s4, |v23|, |v3|
	v_cndmask_b32_e64 v25, 0, v22, s4
	v_add_co_u32 v22, s4, v4, s10
	s_delay_alu instid0(VALU_DEP_1) | instskip(NEXT) | instid1(VALU_DEP_3)
	v_add_co_ci_u32_e64 v23, s4, s11, v5, s4
	v_add_nc_u32_e32 v24, v24, v25
	global_store_b8 v[22:23], v24, off
	s_or_b32 exec_lo, exec_lo, s5
	s_and_saveexec_b32 s4, s3
	s_cbranch_execz .LBB49_13
.LBB49_17:                              ;   in Loop: Header=BB49_4 Depth=1
	s_waitcnt vmcnt(0)
	v_bfe_i32 v21, v21, 0, 8
	s_delay_alu instid0(VALU_DEP_1) | instskip(SKIP_1) | instid1(VALU_DEP_2)
	v_cvt_f32_i32_e32 v22, v21
	v_xor_b32_e32 v21, v21, v1
	v_mul_f32_e32 v23, v22, v6
	s_delay_alu instid0(VALU_DEP_2) | instskip(NEXT) | instid1(VALU_DEP_2)
	v_ashrrev_i32_e32 v21, 30, v21
	v_trunc_f32_e32 v23, v23
	s_delay_alu instid0(VALU_DEP_2) | instskip(NEXT) | instid1(VALU_DEP_2)
	v_or_b32_e32 v21, 1, v21
	v_fma_f32 v22, -v23, v3, v22
	v_cvt_i32_f32_e32 v23, v23
	s_delay_alu instid0(VALU_DEP_2) | instskip(NEXT) | instid1(VALU_DEP_1)
	v_cmp_ge_f32_e64 s3, |v22|, |v3|
	v_cndmask_b32_e64 v21, 0, v21, s3
	s_delay_alu instid0(VALU_DEP_1) | instskip(SKIP_1) | instid1(VALU_DEP_1)
	v_add_nc_u32_e32 v23, v23, v21
	v_add_co_u32 v21, s3, v15, s10
	v_add_co_ci_u32_e64 v22, s3, s11, v16, s3
	global_store_b8 v[21:22], v23, off
	s_or_b32 exec_lo, exec_lo, s4
	s_and_saveexec_b32 s3, s2
	s_cbranch_execz .LBB49_14
.LBB49_18:                              ;   in Loop: Header=BB49_4 Depth=1
	s_waitcnt vmcnt(0)
	v_bfe_i32 v20, v20, 0, 8
	s_delay_alu instid0(VALU_DEP_1) | instskip(SKIP_1) | instid1(VALU_DEP_2)
	v_cvt_f32_i32_e32 v21, v20
	v_xor_b32_e32 v20, v20, v1
	v_mul_f32_e32 v22, v21, v6
	s_delay_alu instid0(VALU_DEP_2) | instskip(NEXT) | instid1(VALU_DEP_2)
	v_ashrrev_i32_e32 v20, 30, v20
	v_trunc_f32_e32 v22, v22
	s_delay_alu instid0(VALU_DEP_2) | instskip(NEXT) | instid1(VALU_DEP_2)
	v_or_b32_e32 v20, 1, v20
	v_fma_f32 v21, -v22, v3, v21
	v_cvt_i32_f32_e32 v22, v22
	s_delay_alu instid0(VALU_DEP_2) | instskip(NEXT) | instid1(VALU_DEP_1)
	v_cmp_ge_f32_e64 s2, |v21|, |v3|
	v_cndmask_b32_e64 v20, 0, v20, s2
	s_delay_alu instid0(VALU_DEP_1) | instskip(SKIP_1) | instid1(VALU_DEP_1)
	v_add_nc_u32_e32 v22, v22, v20
	v_add_co_u32 v20, s2, v11, s10
	v_add_co_ci_u32_e64 v21, s2, s11, v12, s2
	global_store_b8 v[20:21], v22, off
	s_or_b32 exec_lo, exec_lo, s3
	s_and_saveexec_b32 s2, vcc_lo
	s_cbranch_execz .LBB49_3
.LBB49_19:                              ;   in Loop: Header=BB49_4 Depth=1
	s_waitcnt vmcnt(0)
	v_bfe_i32 v19, v19, 0, 8
	s_delay_alu instid0(VALU_DEP_1) | instskip(SKIP_1) | instid1(VALU_DEP_2)
	v_cvt_f32_i32_e32 v20, v19
	v_xor_b32_e32 v19, v19, v1
	v_mul_f32_e32 v21, v20, v6
	s_delay_alu instid0(VALU_DEP_2) | instskip(NEXT) | instid1(VALU_DEP_2)
	v_ashrrev_i32_e32 v19, 30, v19
	v_trunc_f32_e32 v21, v21
	s_delay_alu instid0(VALU_DEP_2) | instskip(NEXT) | instid1(VALU_DEP_2)
	v_or_b32_e32 v19, 1, v19
	v_fma_f32 v20, -v21, v3, v20
	v_cvt_i32_f32_e32 v21, v21
	s_delay_alu instid0(VALU_DEP_2) | instskip(NEXT) | instid1(VALU_DEP_4)
	v_cmp_ge_f32_e64 vcc_lo, |v20|, |v3|
	v_cndmask_b32_e32 v19, 0, v19, vcc_lo
	s_delay_alu instid0(VALU_DEP_1)
	v_add_nc_u32_e32 v21, v21, v19
	v_add_co_u32 v19, vcc_lo, v7, s10
	v_add_co_ci_u32_e32 v20, vcc_lo, s11, v8, vcc_lo
	global_store_b8 v[19:20], v21, off
	s_branch .LBB49_3
.LBB49_20:
	s_cbranch_execz .LBB49_22
	s_branch .LBB49_25
.LBB49_21:
.LBB49_22:
	v_dual_mov_b32 v1, 0 :: v_dual_lshlrev_b32 v0, 2, v0
	s_mov_b32 s2, exec_lo
	s_delay_alu instid0(VALU_DEP_1)
	v_cmpx_gt_i64_e64 s[6:7], v[0:1]
	s_cbranch_execz .LBB49_25
; %bb.23:
	s_load_b32 s0, s[0:1], 0xcb4
	s_waitcnt vmcnt(0)
	v_bfe_i32 v2, v2, 0, 8
	s_mov_b32 s2, 0
	s_delay_alu instid0(VALU_DEP_1) | instskip(NEXT) | instid1(VALU_DEP_1)
	v_cvt_f32_i32_e32 v3, v2
	v_rcp_iflag_f32_e32 v4, v3
	s_waitcnt lgkmcnt(0)
	s_and_b32 s0, s0, 0xffff
	s_delay_alu instid0(SALU_CYCLE_1)
	s_lshl_b32 s1, s0, 2
.LBB49_24:                              ; =>This Inner Loop Header: Depth=1
	v_add_co_u32 v5, vcc_lo, s12, v0
	v_add_co_ci_u32_e32 v6, vcc_lo, s13, v1, vcc_lo
	v_add_co_u32 v0, vcc_lo, s1, v0
	v_add_co_ci_u32_e32 v1, vcc_lo, 0, v1, vcc_lo
	global_load_b32 v7, v[5:6], off
	v_cmp_le_i64_e32 vcc_lo, s[6:7], v[0:1]
	s_waitcnt vmcnt(0)
	v_bfe_i32 v10, v7, 16, 8
	v_bfe_i32 v8, v7, 0, 8
	;; [unrolled: 1-line block ×3, first 2 shown]
	v_ashrrev_i32_e32 v7, 24, v7
	s_delay_alu instid0(VALU_DEP_4) | instskip(SKIP_2) | instid1(VALU_DEP_4)
	v_xor_b32_e32 v13, v10, v2
	v_cvt_f32_i32_e32 v10, v10
	v_xor_b32_e32 v11, v8, v2
	v_xor_b32_e32 v14, v7, v2
	v_cvt_f32_i32_e32 v7, v7
	v_ashrrev_i32_e32 v13, 30, v13
	v_mul_f32_e32 v17, v10, v4
	v_cvt_f32_i32_e32 v8, v8
	v_xor_b32_e32 v12, v9, v2
	v_mul_f32_e32 v18, v7, v4
	v_or_b32_e32 v13, 1, v13
	v_trunc_f32_e32 v17, v17
	v_cvt_f32_i32_e32 v9, v9
	v_ashrrev_i32_e32 v11, 30, v11
	v_trunc_f32_e32 v18, v18
	v_ashrrev_i32_e32 v12, 30, v12
	v_fma_f32 v10, -v17, v3, v10
	v_cvt_i32_f32_e32 v17, v17
	v_or_b32_e32 v11, 1, v11
	v_fma_f32 v7, -v18, v3, v7
	v_cvt_i32_f32_e32 v18, v18
	v_cmp_ge_f32_e64 s0, |v10|, |v3|
	v_mul_f32_e32 v16, v9, v4
	v_ashrrev_i32_e32 v14, 30, v14
	v_or_b32_e32 v12, 1, v12
	s_delay_alu instid0(VALU_DEP_4) | instskip(SKIP_3) | instid1(VALU_DEP_4)
	v_cndmask_b32_e64 v10, 0, v13, s0
	v_mul_f32_e32 v15, v8, v4
	v_trunc_f32_e32 v16, v16
	v_or_b32_e32 v14, 1, v14
	v_add_nc_u32_e32 v10, v17, v10
	s_delay_alu instid0(VALU_DEP_4) | instskip(NEXT) | instid1(VALU_DEP_4)
	v_trunc_f32_e32 v15, v15
	v_fma_f32 v9, -v16, v3, v9
	v_cvt_i32_f32_e32 v16, v16
	s_delay_alu instid0(VALU_DEP_4) | instskip(NEXT) | instid1(VALU_DEP_4)
	v_and_b32_e32 v10, 0xff, v10
	v_fma_f32 v8, -v15, v3, v8
	v_cvt_i32_f32_e32 v15, v15
	s_delay_alu instid0(VALU_DEP_3) | instskip(NEXT) | instid1(VALU_DEP_3)
	v_lshlrev_b32_e32 v10, 16, v10
	v_cmp_ge_f32_e64 s0, |v8|, |v3|
	s_delay_alu instid0(VALU_DEP_1) | instskip(SKIP_1) | instid1(VALU_DEP_2)
	v_cndmask_b32_e64 v8, 0, v11, s0
	v_cmp_ge_f32_e64 s0, |v9|, |v3|
	v_add_nc_u32_e32 v8, v15, v8
	s_delay_alu instid0(VALU_DEP_2) | instskip(SKIP_1) | instid1(VALU_DEP_3)
	v_cndmask_b32_e64 v9, 0, v12, s0
	v_cmp_ge_f32_e64 s0, |v7|, |v3|
	v_and_b32_e32 v8, 0xff, v8
	s_delay_alu instid0(VALU_DEP_3) | instskip(NEXT) | instid1(VALU_DEP_3)
	v_add_nc_u32_e32 v9, v16, v9
	v_cndmask_b32_e64 v7, 0, v14, s0
	v_cmp_lt_u64_e64 s0, 0xffff, v[0:1]
	s_delay_alu instid0(VALU_DEP_3) | instskip(NEXT) | instid1(VALU_DEP_3)
	v_lshlrev_b16 v9, 8, v9
	v_add_nc_u32_e32 v7, v18, v7
	s_delay_alu instid0(VALU_DEP_3) | instskip(NEXT) | instid1(VALU_DEP_2)
	s_or_b32 s0, vcc_lo, s0
	v_and_b32_e32 v9, 0xffff, v9
	s_delay_alu instid0(VALU_DEP_2) | instskip(SKIP_1) | instid1(SALU_CYCLE_1)
	v_lshl_or_b32 v7, v7, 24, v10
	s_and_b32 s0, exec_lo, s0
	s_or_b32 s2, s0, s2
	s_delay_alu instid0(VALU_DEP_1)
	v_or3_b32 v7, v7, v9, v8
	global_store_b32 v[5:6], v7, off
	s_and_not1_b32 exec_lo, exec_lo, s2
	s_cbranch_execnz .LBB49_24
.LBB49_25:
	s_nop 0
	s_sendmsg sendmsg(MSG_DEALLOC_VGPRS)
	s_endpgm
	.section	.rodata,"a",@progbits
	.p2align	6, 0x0
	.amdhsa_kernel _ZN2at6native12_GLOBAL__N_125multi_tensor_apply_kernelINS1_28TensorListScalarListMetadataIaLi1EEENS1_25BinaryOpScalarListFunctorIaLi1ELi1ELi0EEEJSt7dividesIaEEEEvT_T0_DpT1_
		.amdhsa_group_segment_fixed_size 0
		.amdhsa_private_segment_fixed_size 0
		.amdhsa_kernarg_size 3496
		.amdhsa_user_sgpr_count 15
		.amdhsa_user_sgpr_dispatch_ptr 0
		.amdhsa_user_sgpr_queue_ptr 0
		.amdhsa_user_sgpr_kernarg_segment_ptr 1
		.amdhsa_user_sgpr_dispatch_id 0
		.amdhsa_user_sgpr_private_segment_size 0
		.amdhsa_wavefront_size32 1
		.amdhsa_uses_dynamic_stack 0
		.amdhsa_enable_private_segment 0
		.amdhsa_system_sgpr_workgroup_id_x 1
		.amdhsa_system_sgpr_workgroup_id_y 0
		.amdhsa_system_sgpr_workgroup_id_z 0
		.amdhsa_system_sgpr_workgroup_info 0
		.amdhsa_system_vgpr_workitem_id 0
		.amdhsa_next_free_vgpr 26
		.amdhsa_next_free_sgpr 18
		.amdhsa_reserve_vcc 1
		.amdhsa_float_round_mode_32 0
		.amdhsa_float_round_mode_16_64 0
		.amdhsa_float_denorm_mode_32 3
		.amdhsa_float_denorm_mode_16_64 3
		.amdhsa_dx10_clamp 1
		.amdhsa_ieee_mode 1
		.amdhsa_fp16_overflow 0
		.amdhsa_workgroup_processor_mode 1
		.amdhsa_memory_ordered 1
		.amdhsa_forward_progress 0
		.amdhsa_shared_vgpr_count 0
		.amdhsa_exception_fp_ieee_invalid_op 0
		.amdhsa_exception_fp_denorm_src 0
		.amdhsa_exception_fp_ieee_div_zero 0
		.amdhsa_exception_fp_ieee_overflow 0
		.amdhsa_exception_fp_ieee_underflow 0
		.amdhsa_exception_fp_ieee_inexact 0
		.amdhsa_exception_int_div_zero 0
	.end_amdhsa_kernel
	.section	.text._ZN2at6native12_GLOBAL__N_125multi_tensor_apply_kernelINS1_28TensorListScalarListMetadataIaLi1EEENS1_25BinaryOpScalarListFunctorIaLi1ELi1ELi0EEEJSt7dividesIaEEEEvT_T0_DpT1_,"axG",@progbits,_ZN2at6native12_GLOBAL__N_125multi_tensor_apply_kernelINS1_28TensorListScalarListMetadataIaLi1EEENS1_25BinaryOpScalarListFunctorIaLi1ELi1ELi0EEEJSt7dividesIaEEEEvT_T0_DpT1_,comdat
.Lfunc_end49:
	.size	_ZN2at6native12_GLOBAL__N_125multi_tensor_apply_kernelINS1_28TensorListScalarListMetadataIaLi1EEENS1_25BinaryOpScalarListFunctorIaLi1ELi1ELi0EEEJSt7dividesIaEEEEvT_T0_DpT1_, .Lfunc_end49-_ZN2at6native12_GLOBAL__N_125multi_tensor_apply_kernelINS1_28TensorListScalarListMetadataIaLi1EEENS1_25BinaryOpScalarListFunctorIaLi1ELi1ELi0EEEJSt7dividesIaEEEEvT_T0_DpT1_
                                        ; -- End function
	.section	.AMDGPU.csdata,"",@progbits
; Kernel info:
; codeLenInByte = 1824
; NumSgprs: 20
; NumVgprs: 26
; ScratchSize: 0
; MemoryBound: 0
; FloatMode: 240
; IeeeMode: 1
; LDSByteSize: 0 bytes/workgroup (compile time only)
; SGPRBlocks: 2
; VGPRBlocks: 3
; NumSGPRsForWavesPerEU: 20
; NumVGPRsForWavesPerEU: 26
; Occupancy: 16
; WaveLimiterHint : 0
; COMPUTE_PGM_RSRC2:SCRATCH_EN: 0
; COMPUTE_PGM_RSRC2:USER_SGPR: 15
; COMPUTE_PGM_RSRC2:TRAP_HANDLER: 0
; COMPUTE_PGM_RSRC2:TGID_X_EN: 1
; COMPUTE_PGM_RSRC2:TGID_Y_EN: 0
; COMPUTE_PGM_RSRC2:TGID_Z_EN: 0
; COMPUTE_PGM_RSRC2:TIDIG_COMP_CNT: 0
	.section	.text._ZN2at6native12_GLOBAL__N_125multi_tensor_apply_kernelINS1_28TensorListScalarListMetadataIiLi1EEENS1_25BinaryOpScalarListFunctorIiLi1ELi1ELi0EEEJSt7dividesIiEEEEvT_T0_DpT1_,"axG",@progbits,_ZN2at6native12_GLOBAL__N_125multi_tensor_apply_kernelINS1_28TensorListScalarListMetadataIiLi1EEENS1_25BinaryOpScalarListFunctorIiLi1ELi1ELi0EEEJSt7dividesIiEEEEvT_T0_DpT1_,comdat
	.globl	_ZN2at6native12_GLOBAL__N_125multi_tensor_apply_kernelINS1_28TensorListScalarListMetadataIiLi1EEENS1_25BinaryOpScalarListFunctorIiLi1ELi1ELi0EEEJSt7dividesIiEEEEvT_T0_DpT1_ ; -- Begin function _ZN2at6native12_GLOBAL__N_125multi_tensor_apply_kernelINS1_28TensorListScalarListMetadataIiLi1EEENS1_25BinaryOpScalarListFunctorIiLi1ELi1ELi0EEEJSt7dividesIiEEEEvT_T0_DpT1_
	.p2align	8
	.type	_ZN2at6native12_GLOBAL__N_125multi_tensor_apply_kernelINS1_28TensorListScalarListMetadataIiLi1EEENS1_25BinaryOpScalarListFunctorIiLi1ELi1ELi0EEEJSt7dividesIiEEEEvT_T0_DpT1_,@function
_ZN2at6native12_GLOBAL__N_125multi_tensor_apply_kernelINS1_28TensorListScalarListMetadataIiLi1EEENS1_25BinaryOpScalarListFunctorIiLi1ELi1ELi0EEEJSt7dividesIiEEEEvT_T0_DpT1_: ; @_ZN2at6native12_GLOBAL__N_125multi_tensor_apply_kernelINS1_28TensorListScalarListMetadataIiLi1EEENS1_25BinaryOpScalarListFunctorIiLi1ELi1ELi0EEEJSt7dividesIiEEEEvT_T0_DpT1_
; %bb.0:
	v_mov_b32_e32 v1, s15
	s_add_u32 s2, s0, s15
	s_mul_i32 s4, s15, 3
	s_addc_u32 s3, s1, 0
	s_mul_hi_u32 s5, s15, 3
	global_load_u8 v1, v1, s[0:1] offset:1920
	s_add_u32 s2, s2, s4
	s_addc_u32 s3, s3, s5
	s_load_b32 s2, s[2:3], 0x8c0
	s_waitcnt lgkmcnt(0)
	s_ashr_i32 s3, s2, 31
	s_waitcnt vmcnt(0)
	v_readfirstlane_b32 s6, v1
	s_delay_alu instid0(VALU_DEP_1)
	s_lshl_b32 s7, s6, 3
	s_clause 0x1
	s_load_b64 s[8:9], s[0:1], s7 offset:0x0
	s_load_b64 s[4:5], s[0:1], s7 offset:0x300
	s_add_u32 s7, s0, s7
	s_addc_u32 s12, s1, 0
	s_lshl_b32 s6, s6, 2
	s_lshl_b64 s[10:11], s[2:3], 18
	s_waitcnt lgkmcnt(0)
	s_and_b32 s13, s8, 15
	s_sub_u32 s6, s7, s6
	s_subb_u32 s7, s12, 0
	s_lshl_b64 s[2:3], s[2:3], 16
	s_load_b32 s16, s[6:7], 0x600
	s_sub_u32 s6, s4, s2
	s_subb_u32 s7, s5, s3
	s_and_b32 s2, s4, 3
	s_mov_b32 s3, 0
	s_or_b32 s2, s13, s2
	s_delay_alu instid0(SALU_CYCLE_1)
	s_cmp_eq_u64 s[2:3], 0
	s_cbranch_scc1 .LBB50_21
; %bb.1:
	v_cmp_lt_i64_e64 s2, s[6:7], 1
	s_delay_alu instid0(VALU_DEP_1)
	s_and_b32 vcc_lo, exec_lo, s2
	s_cbranch_vccnz .LBB50_20
; %bb.2:
	s_load_b32 s2, s[0:1], 0xdd4
	v_cmp_gt_u64_e64 s3, 0x10000, s[6:7]
	s_waitcnt lgkmcnt(0)
	s_and_b32 s2, s2, 0xffff
	s_delay_alu instid0(VALU_DEP_1)
	s_and_b32 s3, s3, exec_lo
	s_cselect_b32 s13, s7, 0
	s_cselect_b32 s12, s6, 0x10000
	s_abs_i32 s17, s16
	v_add_co_u32 v5, s14, v0, s2
	v_cvt_f32_u32_e32 v1, s17
	s_sub_i32 s5, 0, s17
	s_lshl_b32 s3, s2, 1
	s_delay_alu instid0(VALU_DEP_2)
	v_lshlrev_b32_e32 v12, 2, v5
	s_mul_i32 s4, s2, 3
	v_rcp_iflag_f32_e32 v1, v1
	v_lshlrev_b32_e32 v2, 2, v0
	v_add_co_u32 v9, s3, s3, v0
	s_lshl_b32 s18, s2, 2
	s_ashr_i32 s19, s16, 31
	v_add_co_u32 v7, s4, s4, v0
	v_add_co_ci_u32_e64 v10, null, 0, 0, s3
	s_waitcnt_depctr 0xfff
	v_mul_f32_e32 v1, 0x4f7ffffe, v1
	s_add_u32 s3, s8, s10
	v_add_co_ci_u32_e64 v8, null, 0, 0, s4
	s_addc_u32 s4, s9, s11
	s_delay_alu instid0(VALU_DEP_2) | instskip(SKIP_3) | instid1(VALU_DEP_2)
	v_cvt_u32_f32_e32 v3, v1
	v_add_co_ci_u32_e64 v6, null, 0, 0, s14
	s_lshl_b32 s20, s2, 4
	s_mul_i32 s21, s2, 12
	v_mul_lo_u32 v1, s5, v3
	s_lshl_b32 s22, s2, 3
	s_mov_b64 s[14:15], 0
	s_delay_alu instid0(VALU_DEP_1) | instskip(SKIP_1) | instid1(VALU_DEP_1)
	v_mul_hi_u32 v4, v3, v1
	v_add_co_u32 v1, s5, s3, v2
	v_add_co_ci_u32_e64 v2, null, s4, 0, s5
	s_delay_alu instid0(VALU_DEP_3) | instskip(SKIP_1) | instid1(VALU_DEP_1)
	v_add_nc_u32_e32 v11, v3, v4
	v_add_co_u32 v3, s3, s3, v12
	v_add_co_ci_u32_e64 v4, null, s4, 0, s3
	s_branch .LBB50_4
.LBB50_3:                               ;   in Loop: Header=BB50_4 Depth=1
	s_or_b32 exec_lo, exec_lo, s2
	s_add_u32 s14, s14, s18
	s_addc_u32 s15, s15, 0
	v_add_co_u32 v1, vcc_lo, v1, s20
	v_cmp_lt_i64_e64 s2, s[14:15], s[6:7]
	v_cmp_gt_u64_e64 s3, 0x10000, s[14:15]
	v_add_co_ci_u32_e32 v2, vcc_lo, 0, v2, vcc_lo
	v_add_co_u32 v3, vcc_lo, v3, s20
	v_add_co_ci_u32_e32 v4, vcc_lo, 0, v4, vcc_lo
	s_delay_alu instid0(VALU_DEP_4) | instskip(NEXT) | instid1(SALU_CYCLE_1)
	s_and_b32 s2, s2, s3
	s_and_b32 vcc_lo, exec_lo, s2
	s_cbranch_vccz .LBB50_20
.LBB50_4:                               ; =>This Inner Loop Header: Depth=1
	s_waitcnt vmcnt(0)
	v_add_co_u32 v12, s2, v0, s14
	s_delay_alu instid0(VALU_DEP_1) | instskip(SKIP_1) | instid1(VALU_DEP_2)
	v_add_co_ci_u32_e64 v13, null, 0, s15, s2
	v_mov_b32_e32 v15, 0
	v_cmp_gt_u64_e64 s4, s[12:13], v[12:13]
	s_delay_alu instid0(VALU_DEP_1)
	s_and_saveexec_b32 s2, s4
	s_cbranch_execz .LBB50_6
; %bb.5:                                ;   in Loop: Header=BB50_4 Depth=1
	global_load_b32 v15, v[1:2], off
.LBB50_6:                               ;   in Loop: Header=BB50_4 Depth=1
	s_or_b32 exec_lo, exec_lo, s2
	v_add_co_u32 v12, vcc_lo, v5, s14
	v_add_co_ci_u32_e32 v13, vcc_lo, s15, v6, vcc_lo
	v_mov_b32_e32 v14, 0
	s_delay_alu instid0(VALU_DEP_2) | instskip(NEXT) | instid1(VALU_DEP_1)
	v_cmp_gt_u64_e64 s3, s[12:13], v[12:13]
	s_and_saveexec_b32 s2, s3
	s_cbranch_execz .LBB50_8
; %bb.7:                                ;   in Loop: Header=BB50_4 Depth=1
	global_load_b32 v14, v[3:4], off
.LBB50_8:                               ;   in Loop: Header=BB50_4 Depth=1
	s_or_b32 exec_lo, exec_lo, s2
	v_add_co_u32 v12, vcc_lo, v9, s14
	v_add_co_ci_u32_e32 v13, vcc_lo, s15, v10, vcc_lo
	s_delay_alu instid0(VALU_DEP_1) | instskip(SKIP_1) | instid1(VALU_DEP_2)
	v_cmp_gt_u64_e64 s2, s[12:13], v[12:13]
	v_dual_mov_b32 v12, 0 :: v_dual_mov_b32 v13, 0
	s_and_saveexec_b32 s5, s2
	s_cbranch_execz .LBB50_10
; %bb.9:                                ;   in Loop: Header=BB50_4 Depth=1
	v_add_co_u32 v16, vcc_lo, v1, s22
	v_add_co_ci_u32_e32 v17, vcc_lo, 0, v2, vcc_lo
	global_load_b32 v13, v[16:17], off
.LBB50_10:                              ;   in Loop: Header=BB50_4 Depth=1
	s_or_b32 exec_lo, exec_lo, s5
	v_add_co_u32 v16, vcc_lo, v7, s14
	v_add_co_ci_u32_e32 v17, vcc_lo, s15, v8, vcc_lo
	s_delay_alu instid0(VALU_DEP_1)
	v_cmp_gt_u64_e32 vcc_lo, s[12:13], v[16:17]
	s_and_saveexec_b32 s23, vcc_lo
	s_cbranch_execnz .LBB50_15
; %bb.11:                               ;   in Loop: Header=BB50_4 Depth=1
	s_or_b32 exec_lo, exec_lo, s23
	s_and_saveexec_b32 s5, s4
	s_cbranch_execnz .LBB50_16
.LBB50_12:                              ;   in Loop: Header=BB50_4 Depth=1
	s_or_b32 exec_lo, exec_lo, s5
	s_and_saveexec_b32 s4, s3
	s_cbranch_execnz .LBB50_17
.LBB50_13:                              ;   in Loop: Header=BB50_4 Depth=1
	s_or_b32 exec_lo, exec_lo, s4
	s_and_saveexec_b32 s3, s2
	s_cbranch_execnz .LBB50_18
.LBB50_14:                              ;   in Loop: Header=BB50_4 Depth=1
	s_or_b32 exec_lo, exec_lo, s3
	s_and_saveexec_b32 s2, vcc_lo
	s_cbranch_execz .LBB50_3
	s_branch .LBB50_19
.LBB50_15:                              ;   in Loop: Header=BB50_4 Depth=1
	v_add_co_u32 v16, s5, v1, s21
	s_delay_alu instid0(VALU_DEP_1)
	v_add_co_ci_u32_e64 v17, s5, 0, v2, s5
	global_load_b32 v12, v[16:17], off
	s_or_b32 exec_lo, exec_lo, s23
	s_and_saveexec_b32 s5, s4
	s_cbranch_execz .LBB50_12
.LBB50_16:                              ;   in Loop: Header=BB50_4 Depth=1
	s_waitcnt vmcnt(0)
	v_sub_nc_u32_e32 v16, 0, v15
	s_delay_alu instid0(VALU_DEP_1) | instskip(SKIP_1) | instid1(VALU_DEP_2)
	v_max_i32_e32 v16, v15, v16
	v_ashrrev_i32_e32 v15, 31, v15
	v_mul_hi_u32 v17, v16, v11
	s_delay_alu instid0(VALU_DEP_2) | instskip(NEXT) | instid1(VALU_DEP_2)
	v_xor_b32_e32 v15, s19, v15
	v_mul_lo_u32 v18, v17, s17
	s_delay_alu instid0(VALU_DEP_1) | instskip(SKIP_1) | instid1(VALU_DEP_2)
	v_sub_nc_u32_e32 v16, v16, v18
	v_add_nc_u32_e32 v18, 1, v17
	v_subrev_nc_u32_e32 v19, s17, v16
	v_cmp_le_u32_e64 s4, s17, v16
	s_delay_alu instid0(VALU_DEP_1) | instskip(NEXT) | instid1(VALU_DEP_3)
	v_cndmask_b32_e64 v17, v17, v18, s4
	v_cndmask_b32_e64 v16, v16, v19, s4
	s_delay_alu instid0(VALU_DEP_2) | instskip(NEXT) | instid1(VALU_DEP_2)
	v_add_nc_u32_e32 v18, 1, v17
	v_cmp_le_u32_e64 s4, s17, v16
	s_delay_alu instid0(VALU_DEP_1) | instskip(NEXT) | instid1(VALU_DEP_1)
	v_cndmask_b32_e64 v16, v17, v18, s4
	v_xor_b32_e32 v16, v16, v15
	s_delay_alu instid0(VALU_DEP_1)
	v_sub_nc_u32_e32 v15, v16, v15
	global_store_b32 v[1:2], v15, off
	s_or_b32 exec_lo, exec_lo, s5
	s_and_saveexec_b32 s4, s3
	s_cbranch_execz .LBB50_13
.LBB50_17:                              ;   in Loop: Header=BB50_4 Depth=1
	s_waitcnt vmcnt(0)
	v_sub_nc_u32_e32 v15, 0, v14
	s_delay_alu instid0(VALU_DEP_1) | instskip(SKIP_1) | instid1(VALU_DEP_2)
	v_max_i32_e32 v15, v14, v15
	v_ashrrev_i32_e32 v14, 31, v14
	v_mul_hi_u32 v16, v15, v11
	s_delay_alu instid0(VALU_DEP_2) | instskip(NEXT) | instid1(VALU_DEP_2)
	v_xor_b32_e32 v14, s19, v14
	v_mul_lo_u32 v17, v16, s17
	s_delay_alu instid0(VALU_DEP_1) | instskip(SKIP_1) | instid1(VALU_DEP_2)
	v_sub_nc_u32_e32 v15, v15, v17
	v_add_nc_u32_e32 v17, 1, v16
	v_subrev_nc_u32_e32 v18, s17, v15
	v_cmp_le_u32_e64 s3, s17, v15
	s_delay_alu instid0(VALU_DEP_1) | instskip(NEXT) | instid1(VALU_DEP_3)
	v_cndmask_b32_e64 v16, v16, v17, s3
	v_cndmask_b32_e64 v15, v15, v18, s3
	s_delay_alu instid0(VALU_DEP_2) | instskip(NEXT) | instid1(VALU_DEP_2)
	v_add_nc_u32_e32 v17, 1, v16
	v_cmp_le_u32_e64 s3, s17, v15
	s_delay_alu instid0(VALU_DEP_1) | instskip(NEXT) | instid1(VALU_DEP_1)
	v_cndmask_b32_e64 v15, v16, v17, s3
	v_xor_b32_e32 v15, v15, v14
	s_delay_alu instid0(VALU_DEP_1)
	v_sub_nc_u32_e32 v14, v15, v14
	global_store_b32 v[3:4], v14, off
	s_or_b32 exec_lo, exec_lo, s4
	s_and_saveexec_b32 s3, s2
	s_cbranch_execz .LBB50_14
.LBB50_18:                              ;   in Loop: Header=BB50_4 Depth=1
	s_waitcnt vmcnt(0)
	v_sub_nc_u32_e32 v14, 0, v13
	s_delay_alu instid0(VALU_DEP_1) | instskip(SKIP_1) | instid1(VALU_DEP_2)
	v_max_i32_e32 v14, v13, v14
	v_ashrrev_i32_e32 v13, 31, v13
	v_mul_hi_u32 v15, v14, v11
	s_delay_alu instid0(VALU_DEP_2) | instskip(NEXT) | instid1(VALU_DEP_2)
	v_xor_b32_e32 v13, s19, v13
	v_mul_lo_u32 v16, v15, s17
	s_delay_alu instid0(VALU_DEP_1) | instskip(SKIP_1) | instid1(VALU_DEP_2)
	v_sub_nc_u32_e32 v14, v14, v16
	v_add_nc_u32_e32 v16, 1, v15
	v_subrev_nc_u32_e32 v17, s17, v14
	v_cmp_le_u32_e64 s2, s17, v14
	s_delay_alu instid0(VALU_DEP_1) | instskip(NEXT) | instid1(VALU_DEP_3)
	v_cndmask_b32_e64 v15, v15, v16, s2
	v_cndmask_b32_e64 v14, v14, v17, s2
	s_delay_alu instid0(VALU_DEP_2) | instskip(NEXT) | instid1(VALU_DEP_2)
	v_add_nc_u32_e32 v16, 1, v15
	v_cmp_le_u32_e64 s2, s17, v14
	s_delay_alu instid0(VALU_DEP_1) | instskip(NEXT) | instid1(VALU_DEP_1)
	v_cndmask_b32_e64 v14, v15, v16, s2
	v_xor_b32_e32 v14, v14, v13
	s_delay_alu instid0(VALU_DEP_1) | instskip(SKIP_1) | instid1(VALU_DEP_1)
	v_sub_nc_u32_e32 v15, v14, v13
	v_add_co_u32 v13, s2, v1, s22
	v_add_co_ci_u32_e64 v14, s2, 0, v2, s2
	global_store_b32 v[13:14], v15, off
	s_or_b32 exec_lo, exec_lo, s3
	s_and_saveexec_b32 s2, vcc_lo
	s_cbranch_execz .LBB50_3
.LBB50_19:                              ;   in Loop: Header=BB50_4 Depth=1
	s_waitcnt vmcnt(0)
	v_sub_nc_u32_e32 v13, 0, v12
	s_delay_alu instid0(VALU_DEP_1) | instskip(SKIP_1) | instid1(VALU_DEP_2)
	v_max_i32_e32 v13, v12, v13
	v_ashrrev_i32_e32 v12, 31, v12
	v_mul_hi_u32 v14, v13, v11
	s_delay_alu instid0(VALU_DEP_2) | instskip(NEXT) | instid1(VALU_DEP_2)
	v_xor_b32_e32 v12, s19, v12
	v_mul_lo_u32 v15, v14, s17
	s_delay_alu instid0(VALU_DEP_1) | instskip(SKIP_1) | instid1(VALU_DEP_2)
	v_sub_nc_u32_e32 v13, v13, v15
	v_add_nc_u32_e32 v15, 1, v14
	v_subrev_nc_u32_e32 v16, s17, v13
	v_cmp_le_u32_e32 vcc_lo, s17, v13
	s_delay_alu instid0(VALU_DEP_2) | instskip(NEXT) | instid1(VALU_DEP_1)
	v_dual_cndmask_b32 v14, v14, v15 :: v_dual_cndmask_b32 v13, v13, v16
	v_add_nc_u32_e32 v15, 1, v14
	s_delay_alu instid0(VALU_DEP_2) | instskip(NEXT) | instid1(VALU_DEP_2)
	v_cmp_le_u32_e32 vcc_lo, s17, v13
	v_cndmask_b32_e32 v13, v14, v15, vcc_lo
	s_delay_alu instid0(VALU_DEP_1) | instskip(NEXT) | instid1(VALU_DEP_1)
	v_xor_b32_e32 v13, v13, v12
	v_sub_nc_u32_e32 v14, v13, v12
	v_add_co_u32 v12, vcc_lo, v1, s21
	v_add_co_ci_u32_e32 v13, vcc_lo, 0, v2, vcc_lo
	global_store_b32 v[12:13], v14, off
	s_branch .LBB50_3
.LBB50_20:
	s_cbranch_execz .LBB50_22
	s_branch .LBB50_25
.LBB50_21:
.LBB50_22:
	v_dual_mov_b32 v2, 0 :: v_dual_lshlrev_b32 v1, 2, v0
	s_mov_b32 s3, 0
	s_mov_b32 s2, exec_lo
	s_delay_alu instid0(VALU_DEP_1)
	v_cmpx_gt_i64_e64 s[6:7], v[1:2]
	s_cbranch_execz .LBB50_25
; %bb.23:
	s_waitcnt lgkmcnt(0)
	s_abs_i32 s4, s16
	s_load_b32 s0, s[0:1], 0xdd4
	v_cvt_f32_u32_e32 v1, s4
	s_sub_i32 s1, 0, s4
	v_lshlrev_b32_e32 v5, 4, v0
	s_ashr_i32 s5, s16, 31
	s_delay_alu instid0(VALU_DEP_2) | instskip(SKIP_4) | instid1(VALU_DEP_1)
	v_rcp_iflag_f32_e32 v1, v1
	s_waitcnt_depctr 0xfff
	v_mul_f32_e32 v1, 0x4f7ffffe, v1
	s_waitcnt lgkmcnt(0)
	s_and_b32 s0, s0, 0xffff
	v_cvt_u32_f32_e32 v3, v1
	v_add_lshl_u32 v1, v0, s0, 2
	s_lshl_b32 s12, s0, 2
	s_delay_alu instid0(VALU_DEP_2) | instskip(SKIP_3) | instid1(VALU_DEP_1)
	v_mul_lo_u32 v4, s1, v3
	s_add_u32 s1, s8, s10
	s_addc_u32 s2, s9, s11
	s_lshl_b32 s8, s0, 4
	v_mul_hi_u32 v0, v3, v4
	v_add_co_u32 v4, s1, s1, v5
	s_delay_alu instid0(VALU_DEP_1) | instskip(NEXT) | instid1(VALU_DEP_3)
	v_add_co_ci_u32_e64 v5, null, s2, 0, s1
	v_add_nc_u32_e32 v0, v3, v0
	s_delay_alu instid0(VALU_DEP_3) | instskip(NEXT) | instid1(VALU_DEP_3)
	v_add_co_u32 v3, vcc_lo, v4, 8
	v_add_co_ci_u32_e32 v4, vcc_lo, 0, v5, vcc_lo
.LBB50_24:                              ; =>This Inner Loop Header: Depth=1
	global_load_b128 v[5:8], v[3:4], off offset:-8
	s_waitcnt vmcnt(0)
	v_sub_nc_u32_e32 v10, 0, v5
	v_sub_nc_u32_e32 v12, 0, v6
	v_ashrrev_i32_e32 v9, 31, v5
	v_ashrrev_i32_e32 v11, 31, v6
	v_sub_nc_u32_e32 v13, 0, v7
	v_sub_nc_u32_e32 v14, 0, v8
	v_max_i32_e32 v5, v5, v10
	v_max_i32_e32 v6, v6, v12
	v_ashrrev_i32_e32 v10, 31, v7
	v_max_i32_e32 v7, v7, v13
	v_max_i32_e32 v12, v8, v14
	v_mul_hi_u32 v13, v5, v0
	v_mul_hi_u32 v14, v6, v0
	v_ashrrev_i32_e32 v8, 31, v8
	v_mul_hi_u32 v15, v7, v0
	v_mul_hi_u32 v16, v12, v0
	v_xor_b32_e32 v9, s5, v9
	v_xor_b32_e32 v11, s5, v11
	;; [unrolled: 1-line block ×3, first 2 shown]
	v_mul_lo_u32 v17, v13, s4
	v_mul_lo_u32 v18, v14, s4
	v_xor_b32_e32 v8, s5, v8
	v_mul_lo_u32 v19, v15, s4
	v_mul_lo_u32 v20, v16, s4
	v_sub_nc_u32_e32 v5, v5, v17
	v_sub_nc_u32_e32 v6, v6, v18
	v_add_nc_u32_e32 v17, 1, v16
	v_sub_nc_u32_e32 v7, v7, v19
	v_sub_nc_u32_e32 v12, v12, v20
	v_cmp_le_u32_e32 vcc_lo, s4, v5
	v_add_nc_u32_e32 v22, 1, v14
	v_cmp_le_u32_e64 s0, s4, v6
	v_subrev_nc_u32_e32 v19, s4, v6
	v_cmp_le_u32_e64 s2, s4, v12
	v_subrev_nc_u32_e32 v18, s4, v5
	v_cmp_le_u32_e64 s1, s4, v7
	v_cndmask_b32_e64 v14, v14, v22, s0
	v_cndmask_b32_e64 v6, v6, v19, s0
	;; [unrolled: 1-line block ×3, first 2 shown]
	v_subrev_nc_u32_e32 v17, s4, v12
	v_subrev_nc_u32_e32 v20, s4, v7
	v_add_nc_u32_e32 v19, 1, v14
	v_add_nc_u32_e32 v21, 1, v13
	v_cmp_lt_u64_e64 s0, 0xffff, v[1:2]
	v_cndmask_b32_e64 v12, v12, v17, s2
	v_add_nc_u32_e32 v17, 1, v16
	v_add_nc_u32_e32 v23, 1, v15
	v_cndmask_b32_e32 v13, v13, v21, vcc_lo
	v_cndmask_b32_e32 v5, v5, v18, vcc_lo
	v_cndmask_b32_e64 v7, v7, v20, s1
	s_delay_alu instid0(VALU_DEP_4) | instskip(NEXT) | instid1(VALU_DEP_4)
	v_cndmask_b32_e64 v15, v15, v23, s1
	v_add_nc_u32_e32 v18, 1, v13
	s_delay_alu instid0(VALU_DEP_4) | instskip(NEXT) | instid1(VALU_DEP_2)
	v_cmp_le_u32_e32 vcc_lo, s4, v5
	v_dual_cndmask_b32 v5, v13, v18 :: v_dual_add_nc_u32 v20, 1, v15
	v_cmp_le_u32_e32 vcc_lo, s4, v6
	s_delay_alu instid0(VALU_DEP_2) | instskip(SKIP_2) | instid1(VALU_DEP_3)
	v_xor_b32_e32 v5, v5, v9
	v_cndmask_b32_e32 v6, v14, v19, vcc_lo
	v_cmp_le_u32_e32 vcc_lo, s4, v7
	v_sub_nc_u32_e32 v5, v5, v9
	s_delay_alu instid0(VALU_DEP_3) | instskip(SKIP_2) | instid1(VALU_DEP_3)
	v_xor_b32_e32 v6, v6, v11
	v_cndmask_b32_e32 v7, v15, v20, vcc_lo
	v_cmp_le_u32_e32 vcc_lo, s4, v12
	v_sub_nc_u32_e32 v6, v6, v11
	s_delay_alu instid0(VALU_DEP_3) | instskip(SKIP_3) | instid1(VALU_DEP_4)
	v_xor_b32_e32 v7, v7, v10
	v_cndmask_b32_e32 v12, v16, v17, vcc_lo
	v_cmp_le_i64_e32 vcc_lo, s[6:7], v[1:2]
	v_add_co_u32 v1, s1, v1, s12
	v_sub_nc_u32_e32 v7, v7, v10
	s_delay_alu instid0(VALU_DEP_4) | instskip(SKIP_2) | instid1(VALU_DEP_2)
	v_xor_b32_e32 v12, v12, v8
	v_add_co_ci_u32_e64 v2, s1, 0, v2, s1
	s_or_b32 s0, vcc_lo, s0
	v_sub_nc_u32_e32 v8, v12, v8
	s_and_b32 s0, exec_lo, s0
	s_delay_alu instid0(SALU_CYCLE_1)
	s_or_b32 s3, s0, s3
	global_store_b128 v[3:4], v[5:8], off offset:-8
	v_add_co_u32 v3, vcc_lo, v3, s8
	v_add_co_ci_u32_e32 v4, vcc_lo, 0, v4, vcc_lo
	s_and_not1_b32 exec_lo, exec_lo, s3
	s_cbranch_execnz .LBB50_24
.LBB50_25:
	s_nop 0
	s_sendmsg sendmsg(MSG_DEALLOC_VGPRS)
	s_endpgm
	.section	.rodata,"a",@progbits
	.p2align	6, 0x0
	.amdhsa_kernel _ZN2at6native12_GLOBAL__N_125multi_tensor_apply_kernelINS1_28TensorListScalarListMetadataIiLi1EEENS1_25BinaryOpScalarListFunctorIiLi1ELi1ELi0EEEJSt7dividesIiEEEEvT_T0_DpT1_
		.amdhsa_group_segment_fixed_size 0
		.amdhsa_private_segment_fixed_size 0
		.amdhsa_kernarg_size 3784
		.amdhsa_user_sgpr_count 15
		.amdhsa_user_sgpr_dispatch_ptr 0
		.amdhsa_user_sgpr_queue_ptr 0
		.amdhsa_user_sgpr_kernarg_segment_ptr 1
		.amdhsa_user_sgpr_dispatch_id 0
		.amdhsa_user_sgpr_private_segment_size 0
		.amdhsa_wavefront_size32 1
		.amdhsa_uses_dynamic_stack 0
		.amdhsa_enable_private_segment 0
		.amdhsa_system_sgpr_workgroup_id_x 1
		.amdhsa_system_sgpr_workgroup_id_y 0
		.amdhsa_system_sgpr_workgroup_id_z 0
		.amdhsa_system_sgpr_workgroup_info 0
		.amdhsa_system_vgpr_workitem_id 0
		.amdhsa_next_free_vgpr 24
		.amdhsa_next_free_sgpr 24
		.amdhsa_reserve_vcc 1
		.amdhsa_float_round_mode_32 0
		.amdhsa_float_round_mode_16_64 0
		.amdhsa_float_denorm_mode_32 3
		.amdhsa_float_denorm_mode_16_64 3
		.amdhsa_dx10_clamp 1
		.amdhsa_ieee_mode 1
		.amdhsa_fp16_overflow 0
		.amdhsa_workgroup_processor_mode 1
		.amdhsa_memory_ordered 1
		.amdhsa_forward_progress 0
		.amdhsa_shared_vgpr_count 0
		.amdhsa_exception_fp_ieee_invalid_op 0
		.amdhsa_exception_fp_denorm_src 0
		.amdhsa_exception_fp_ieee_div_zero 0
		.amdhsa_exception_fp_ieee_overflow 0
		.amdhsa_exception_fp_ieee_underflow 0
		.amdhsa_exception_fp_ieee_inexact 0
		.amdhsa_exception_int_div_zero 0
	.end_amdhsa_kernel
	.section	.text._ZN2at6native12_GLOBAL__N_125multi_tensor_apply_kernelINS1_28TensorListScalarListMetadataIiLi1EEENS1_25BinaryOpScalarListFunctorIiLi1ELi1ELi0EEEJSt7dividesIiEEEEvT_T0_DpT1_,"axG",@progbits,_ZN2at6native12_GLOBAL__N_125multi_tensor_apply_kernelINS1_28TensorListScalarListMetadataIiLi1EEENS1_25BinaryOpScalarListFunctorIiLi1ELi1ELi0EEEJSt7dividesIiEEEEvT_T0_DpT1_,comdat
.Lfunc_end50:
	.size	_ZN2at6native12_GLOBAL__N_125multi_tensor_apply_kernelINS1_28TensorListScalarListMetadataIiLi1EEENS1_25BinaryOpScalarListFunctorIiLi1ELi1ELi0EEEJSt7dividesIiEEEEvT_T0_DpT1_, .Lfunc_end50-_ZN2at6native12_GLOBAL__N_125multi_tensor_apply_kernelINS1_28TensorListScalarListMetadataIiLi1EEENS1_25BinaryOpScalarListFunctorIiLi1ELi1ELi0EEEJSt7dividesIiEEEEvT_T0_DpT1_
                                        ; -- End function
	.section	.AMDGPU.csdata,"",@progbits
; Kernel info:
; codeLenInByte = 2044
; NumSgprs: 26
; NumVgprs: 24
; ScratchSize: 0
; MemoryBound: 0
; FloatMode: 240
; IeeeMode: 1
; LDSByteSize: 0 bytes/workgroup (compile time only)
; SGPRBlocks: 3
; VGPRBlocks: 2
; NumSGPRsForWavesPerEU: 26
; NumVGPRsForWavesPerEU: 24
; Occupancy: 16
; WaveLimiterHint : 0
; COMPUTE_PGM_RSRC2:SCRATCH_EN: 0
; COMPUTE_PGM_RSRC2:USER_SGPR: 15
; COMPUTE_PGM_RSRC2:TRAP_HANDLER: 0
; COMPUTE_PGM_RSRC2:TGID_X_EN: 1
; COMPUTE_PGM_RSRC2:TGID_Y_EN: 0
; COMPUTE_PGM_RSRC2:TGID_Z_EN: 0
; COMPUTE_PGM_RSRC2:TIDIG_COMP_CNT: 0
	.section	.text._ZN2at6native12_GLOBAL__N_125multi_tensor_apply_kernelINS1_28TensorListScalarListMetadataIlLi1EEENS1_25BinaryOpScalarListFunctorIlLi1ELi1ELi0EEEJSt7dividesIlEEEEvT_T0_DpT1_,"axG",@progbits,_ZN2at6native12_GLOBAL__N_125multi_tensor_apply_kernelINS1_28TensorListScalarListMetadataIlLi1EEENS1_25BinaryOpScalarListFunctorIlLi1ELi1ELi0EEEJSt7dividesIlEEEEvT_T0_DpT1_,comdat
	.globl	_ZN2at6native12_GLOBAL__N_125multi_tensor_apply_kernelINS1_28TensorListScalarListMetadataIlLi1EEENS1_25BinaryOpScalarListFunctorIlLi1ELi1ELi0EEEJSt7dividesIlEEEEvT_T0_DpT1_ ; -- Begin function _ZN2at6native12_GLOBAL__N_125multi_tensor_apply_kernelINS1_28TensorListScalarListMetadataIlLi1EEENS1_25BinaryOpScalarListFunctorIlLi1ELi1ELi0EEEJSt7dividesIlEEEEvT_T0_DpT1_
	.p2align	8
	.type	_ZN2at6native12_GLOBAL__N_125multi_tensor_apply_kernelINS1_28TensorListScalarListMetadataIlLi1EEENS1_25BinaryOpScalarListFunctorIlLi1ELi1ELi0EEEJSt7dividesIlEEEEvT_T0_DpT1_,@function
_ZN2at6native12_GLOBAL__N_125multi_tensor_apply_kernelINS1_28TensorListScalarListMetadataIlLi1EEENS1_25BinaryOpScalarListFunctorIlLi1ELi1ELi0EEEJSt7dividesIlEEEEvT_T0_DpT1_: ; @_ZN2at6native12_GLOBAL__N_125multi_tensor_apply_kernelINS1_28TensorListScalarListMetadataIlLi1EEENS1_25BinaryOpScalarListFunctorIlLi1ELi1ELi0EEEJSt7dividesIlEEEEvT_T0_DpT1_
; %bb.0:
	v_mov_b32_e32 v1, s15
	s_add_u32 s2, s0, s15
	s_mul_hi_u32 s3, s15, 3
	s_mul_i32 s15, s15, 3
	s_addc_u32 s4, s1, 0
	global_load_u8 v1, v1, s[0:1] offset:2304
	s_add_u32 s2, s2, s15
	s_addc_u32 s3, s4, s3
	s_mov_b32 s7, 0
	s_load_b32 s2, s[2:3], 0xa40
	s_waitcnt vmcnt(0)
	v_readfirstlane_b32 s5, v1
	s_delay_alu instid0(VALU_DEP_1)
	s_lshl_b32 s3, s5, 3
	s_clause 0x2
	s_load_b64 s[8:9], s[0:1], s3 offset:0x600
	s_load_b64 s[12:13], s[0:1], s3 offset:0x0
	;; [unrolled: 1-line block ×3, first 2 shown]
	s_waitcnt lgkmcnt(0)
	s_ashr_i32 s3, s2, 31
	s_delay_alu instid0(SALU_CYCLE_1)
	s_lshl_b64 s[14:15], s[2:3], 19
	s_lshl_b64 s[2:3], s[2:3], 16
	s_and_b32 s6, s12, 31
	s_sub_u32 s10, s4, s2
	s_subb_u32 s11, s5, s3
	s_and_b32 s2, s4, 3
	s_mov_b32 s3, s7
	s_delay_alu instid0(SALU_CYCLE_1) | instskip(NEXT) | instid1(SALU_CYCLE_1)
	s_or_b64 s[2:3], s[6:7], s[2:3]
	s_cmp_eq_u64 s[2:3], 0
	s_cbranch_scc1 .LBB51_37
; %bb.1:
	v_cmp_lt_i64_e64 s2, s[10:11], 1
	s_delay_alu instid0(VALU_DEP_1)
	s_and_b32 vcc_lo, exec_lo, s2
	s_cbranch_vccnz .LBB51_36
; %bb.2:
	s_load_b32 s2, s[0:1], 0xf54
	v_cvt_f32_u32_e32 v1, s8
	v_cmp_gt_u64_e64 s3, 0x10000, s[10:11]
	v_lshlrev_b32_e32 v3, 3, v0
	s_mov_b64 s[18:19], 0
	s_delay_alu instid0(VALU_DEP_3) | instskip(SKIP_4) | instid1(VALU_DEP_1)
	v_rcp_iflag_f32_e32 v1, v1
	s_waitcnt_depctr 0xfff
	v_dual_mul_f32 v2, 0x4f7ffffe, v1 :: v_dual_mov_b32 v1, 0
	s_waitcnt lgkmcnt(0)
	s_and_b32 s2, s2, 0xffff
	v_cvt_u32_f32_e32 v2, v2
	s_and_b32 s3, s3, exec_lo
	v_add_co_u32 v17, s5, v0, s2
	s_cselect_b32 s17, s11, 0
	s_cselect_b32 s16, s10, 0x10000
	s_lshl_b32 s3, s2, 1
	s_lshl_b32 s24, s2, 2
	v_add_co_ci_u32_e64 v18, null, 0, 0, s5
	s_add_u32 s5, s12, s14
	s_addc_u32 s6, s13, s15
	s_sub_i32 s7, 0, s8
	v_lshlrev_b32_e32 v6, 3, v17
	v_mul_lo_u32 v5, s7, v2
	s_mul_i32 s4, s2, 3
	v_add_co_u32 v21, s3, s3, v0
	v_add_co_u32 v19, s4, s4, v0
	s_delay_alu instid0(VALU_DEP_1) | instskip(NEXT) | instid1(VALU_DEP_4)
	v_add_co_ci_u32_e64 v20, null, 0, 0, s4
	v_mul_hi_u32 v7, v2, v5
	v_add_co_u32 v3, s4, s5, v3
	v_add_co_ci_u32_e64 v22, null, 0, 0, s3
	v_add_co_u32 v5, s3, s5, v6
	v_add_co_ci_u32_e64 v4, null, s6, 0, s4
	v_add_co_ci_u32_e64 v6, null, s6, 0, s3
	v_add_nc_u32_e32 v23, v2, v7
	s_mul_i32 s25, s2, 24
	s_lshl_b32 s26, s2, 5
	s_lshl_b32 s27, s2, 4
	s_ashr_i32 s20, s9, 31
	s_branch .LBB51_4
.LBB51_3:                               ;   in Loop: Header=BB51_4 Depth=1
	s_or_b32 exec_lo, exec_lo, s2
	s_add_u32 s18, s18, s24
	s_addc_u32 s19, s19, 0
	v_add_co_u32 v3, vcc_lo, v3, s26
	v_cmp_lt_i64_e64 s2, s[18:19], s[10:11]
	v_cmp_gt_u64_e64 s3, 0x10000, s[18:19]
	v_add_co_ci_u32_e32 v4, vcc_lo, 0, v4, vcc_lo
	v_add_co_u32 v5, vcc_lo, v5, s26
	v_add_co_ci_u32_e32 v6, vcc_lo, 0, v6, vcc_lo
	s_delay_alu instid0(VALU_DEP_4) | instskip(NEXT) | instid1(SALU_CYCLE_1)
	s_and_b32 s2, s2, s3
	s_and_b32 vcc_lo, exec_lo, s2
	s_cbranch_vccz .LBB51_36
.LBB51_4:                               ; =>This Inner Loop Header: Depth=1
	v_add_co_u32 v7, s2, v0, s18
	s_delay_alu instid0(VALU_DEP_1) | instskip(SKIP_2) | instid1(VALU_DEP_3)
	v_add_co_ci_u32_e64 v8, null, 0, s19, s2
	v_mov_b32_e32 v13, 0
	v_mov_b32_e32 v14, 0
	v_cmp_gt_u64_e64 s5, s[16:17], v[7:8]
	s_delay_alu instid0(VALU_DEP_2) | instskip(NEXT) | instid1(VALU_DEP_2)
	v_dual_mov_b32 v7, v13 :: v_dual_mov_b32 v8, v14
	s_and_saveexec_b32 s2, s5
	s_cbranch_execz .LBB51_6
; %bb.5:                                ;   in Loop: Header=BB51_4 Depth=1
	global_load_b64 v[7:8], v[3:4], off
.LBB51_6:                               ;   in Loop: Header=BB51_4 Depth=1
	s_or_b32 exec_lo, exec_lo, s2
	v_add_co_u32 v9, vcc_lo, v17, s18
	v_add_co_ci_u32_e32 v10, vcc_lo, s19, v18, vcc_lo
	s_delay_alu instid0(VALU_DEP_1) | instskip(NEXT) | instid1(VALU_DEP_1)
	v_cmp_gt_u64_e64 s2, s[16:17], v[9:10]
	s_and_saveexec_b32 s3, s2
	s_cbranch_execz .LBB51_8
; %bb.7:                                ;   in Loop: Header=BB51_4 Depth=1
	global_load_b64 v[13:14], v[5:6], off
.LBB51_8:                               ;   in Loop: Header=BB51_4 Depth=1
	s_or_b32 exec_lo, exec_lo, s3
	v_add_co_u32 v9, vcc_lo, v21, s18
	v_add_co_ci_u32_e32 v10, vcc_lo, s19, v22, vcc_lo
	v_mov_b32_e32 v11, 0
	v_mov_b32_e32 v12, 0
	s_delay_alu instid0(VALU_DEP_3) | instskip(NEXT) | instid1(VALU_DEP_2)
	v_cmp_gt_u64_e64 s3, s[16:17], v[9:10]
	v_dual_mov_b32 v16, v12 :: v_dual_mov_b32 v15, v11
	s_delay_alu instid0(VALU_DEP_2)
	s_and_saveexec_b32 s4, s3
	s_cbranch_execz .LBB51_10
; %bb.9:                                ;   in Loop: Header=BB51_4 Depth=1
	v_add_co_u32 v9, vcc_lo, v3, s27
	v_add_co_ci_u32_e32 v10, vcc_lo, 0, v4, vcc_lo
	global_load_b64 v[15:16], v[9:10], off
.LBB51_10:                              ;   in Loop: Header=BB51_4 Depth=1
	s_or_b32 exec_lo, exec_lo, s4
	v_add_co_u32 v9, vcc_lo, v19, s18
	v_add_co_ci_u32_e32 v10, vcc_lo, s19, v20, vcc_lo
	s_delay_alu instid0(VALU_DEP_1) | instskip(NEXT) | instid1(VALU_DEP_1)
	v_cmp_gt_u64_e64 s4, s[16:17], v[9:10]
	s_and_saveexec_b32 s6, s4
	s_cbranch_execz .LBB51_12
; %bb.11:                               ;   in Loop: Header=BB51_4 Depth=1
	v_add_co_u32 v9, vcc_lo, v3, s25
	v_add_co_ci_u32_e32 v10, vcc_lo, 0, v4, vcc_lo
	global_load_b64 v[11:12], v[9:10], off
.LBB51_12:                              ;   in Loop: Header=BB51_4 Depth=1
	s_or_b32 exec_lo, exec_lo, s6
	s_waitcnt vmcnt(0)
	v_or_b32_e32 v2, s9, v14
                                        ; implicit-def: $vgpr9_vgpr10
	s_mov_b32 s6, exec_lo
	s_delay_alu instid0(VALU_DEP_1)
	v_cmpx_ne_u64_e32 0, v[1:2]
	s_xor_b32 s7, exec_lo, s6
	s_cbranch_execz .LBB51_14
; %bb.13:                               ;   in Loop: Header=BB51_4 Depth=1
	s_add_u32 s22, s8, s20
	s_mov_b32 s21, s20
	s_addc_u32 s23, s9, s20
	s_delay_alu instid0(SALU_CYCLE_1) | instskip(NEXT) | instid1(SALU_CYCLE_1)
	s_xor_b64 s[22:23], s[22:23], s[20:21]
	v_cvt_f32_u32_e32 v2, s22
	v_cvt_f32_u32_e32 v9, s23
	s_sub_u32 s6, 0, s22
	s_subb_u32 s21, 0, s23
	s_delay_alu instid0(VALU_DEP_1) | instskip(NEXT) | instid1(VALU_DEP_1)
	v_fmac_f32_e32 v2, 0x4f800000, v9
	v_rcp_f32_e32 v2, v2
	s_waitcnt_depctr 0xfff
	v_mul_f32_e32 v2, 0x5f7ffffc, v2
	s_delay_alu instid0(VALU_DEP_1) | instskip(NEXT) | instid1(VALU_DEP_1)
	v_mul_f32_e32 v9, 0x2f800000, v2
	v_trunc_f32_e32 v9, v9
	s_delay_alu instid0(VALU_DEP_1) | instskip(SKIP_1) | instid1(VALU_DEP_2)
	v_fmac_f32_e32 v2, 0xcf800000, v9
	v_cvt_u32_f32_e32 v9, v9
	v_cvt_u32_f32_e32 v2, v2
	s_delay_alu instid0(VALU_DEP_2) | instskip(NEXT) | instid1(VALU_DEP_2)
	v_mul_lo_u32 v10, s6, v9
	v_mul_hi_u32 v24, s6, v2
	v_mul_lo_u32 v25, s21, v2
	s_delay_alu instid0(VALU_DEP_2) | instskip(SKIP_1) | instid1(VALU_DEP_2)
	v_add_nc_u32_e32 v10, v24, v10
	v_mul_lo_u32 v24, s6, v2
	v_add_nc_u32_e32 v10, v10, v25
	s_delay_alu instid0(VALU_DEP_2) | instskip(NEXT) | instid1(VALU_DEP_2)
	v_mul_hi_u32 v25, v2, v24
	v_mul_lo_u32 v26, v2, v10
	v_mul_hi_u32 v27, v2, v10
	v_mul_hi_u32 v28, v9, v24
	v_mul_lo_u32 v24, v9, v24
	v_mul_hi_u32 v29, v9, v10
	v_mul_lo_u32 v10, v9, v10
	v_add_co_u32 v25, vcc_lo, v25, v26
	v_add_co_ci_u32_e32 v26, vcc_lo, 0, v27, vcc_lo
	s_delay_alu instid0(VALU_DEP_2) | instskip(NEXT) | instid1(VALU_DEP_2)
	v_add_co_u32 v24, vcc_lo, v25, v24
	v_add_co_ci_u32_e32 v24, vcc_lo, v26, v28, vcc_lo
	v_add_co_ci_u32_e32 v25, vcc_lo, 0, v29, vcc_lo
	v_ashrrev_i32_e32 v28, 31, v14
	s_delay_alu instid0(VALU_DEP_3) | instskip(NEXT) | instid1(VALU_DEP_3)
	v_add_co_u32 v10, vcc_lo, v24, v10
	v_add_co_ci_u32_e32 v24, vcc_lo, 0, v25, vcc_lo
	s_delay_alu instid0(VALU_DEP_2) | instskip(NEXT) | instid1(VALU_DEP_2)
	v_add_co_u32 v2, vcc_lo, v2, v10
	v_add_co_ci_u32_e32 v9, vcc_lo, v9, v24, vcc_lo
	s_delay_alu instid0(VALU_DEP_2) | instskip(SKIP_1) | instid1(VALU_DEP_3)
	v_mul_hi_u32 v10, s6, v2
	v_mul_lo_u32 v25, s21, v2
	v_mul_lo_u32 v24, s6, v9
	s_delay_alu instid0(VALU_DEP_1) | instskip(SKIP_1) | instid1(VALU_DEP_2)
	v_add_nc_u32_e32 v10, v10, v24
	v_mul_lo_u32 v24, s6, v2
	v_add_nc_u32_e32 v10, v10, v25
	s_delay_alu instid0(VALU_DEP_2) | instskip(NEXT) | instid1(VALU_DEP_2)
	v_mul_hi_u32 v25, v2, v24
	v_mul_lo_u32 v26, v2, v10
	v_mul_hi_u32 v27, v2, v10
	v_mul_hi_u32 v29, v9, v24
	v_mul_lo_u32 v24, v9, v24
	v_mul_hi_u32 v30, v9, v10
	v_mul_lo_u32 v10, v9, v10
	v_add_co_u32 v25, vcc_lo, v25, v26
	v_add_co_ci_u32_e32 v26, vcc_lo, 0, v27, vcc_lo
	s_delay_alu instid0(VALU_DEP_2) | instskip(NEXT) | instid1(VALU_DEP_2)
	v_add_co_u32 v24, vcc_lo, v25, v24
	v_add_co_ci_u32_e32 v24, vcc_lo, v26, v29, vcc_lo
	v_add_co_ci_u32_e32 v25, vcc_lo, 0, v30, vcc_lo
	v_add_co_u32 v13, vcc_lo, v13, v28
	v_add_co_ci_u32_e32 v14, vcc_lo, v14, v28, vcc_lo
	s_delay_alu instid0(VALU_DEP_4) | instskip(NEXT) | instid1(VALU_DEP_4)
	v_add_co_u32 v10, vcc_lo, v24, v10
	v_add_co_ci_u32_e32 v24, vcc_lo, 0, v25, vcc_lo
	s_delay_alu instid0(VALU_DEP_4) | instskip(NEXT) | instid1(VALU_DEP_3)
	v_xor_b32_e32 v26, v13, v28
	v_add_co_u32 v2, vcc_lo, v2, v10
	s_delay_alu instid0(VALU_DEP_3) | instskip(SKIP_1) | instid1(VALU_DEP_3)
	v_add_co_ci_u32_e32 v27, vcc_lo, v9, v24, vcc_lo
	v_xor_b32_e32 v29, v14, v28
	v_mul_hi_u32 v30, v26, v2
	s_delay_alu instid0(VALU_DEP_3) | instskip(NEXT) | instid1(VALU_DEP_3)
	v_mad_u64_u32 v[9:10], null, v26, v27, 0
	v_mad_u64_u32 v[13:14], null, v29, v2, 0
	;; [unrolled: 1-line block ×3, first 2 shown]
	s_delay_alu instid0(VALU_DEP_3) | instskip(NEXT) | instid1(VALU_DEP_4)
	v_add_co_u32 v2, vcc_lo, v30, v9
	v_add_co_ci_u32_e32 v9, vcc_lo, 0, v10, vcc_lo
	s_delay_alu instid0(VALU_DEP_2) | instskip(NEXT) | instid1(VALU_DEP_2)
	v_add_co_u32 v2, vcc_lo, v2, v13
	v_add_co_ci_u32_e32 v2, vcc_lo, v9, v14, vcc_lo
	v_add_co_ci_u32_e32 v9, vcc_lo, 0, v25, vcc_lo
	s_delay_alu instid0(VALU_DEP_2) | instskip(NEXT) | instid1(VALU_DEP_2)
	v_add_co_u32 v2, vcc_lo, v2, v24
	v_add_co_ci_u32_e32 v13, vcc_lo, 0, v9, vcc_lo
	s_delay_alu instid0(VALU_DEP_2) | instskip(SKIP_1) | instid1(VALU_DEP_3)
	v_mul_lo_u32 v14, s23, v2
	v_mad_u64_u32 v[9:10], null, s22, v2, 0
	v_mul_lo_u32 v24, s22, v13
	s_delay_alu instid0(VALU_DEP_2) | instskip(NEXT) | instid1(VALU_DEP_2)
	v_sub_co_u32 v9, vcc_lo, v26, v9
	v_add3_u32 v10, v10, v24, v14
	s_delay_alu instid0(VALU_DEP_1) | instskip(NEXT) | instid1(VALU_DEP_1)
	v_sub_nc_u32_e32 v14, v29, v10
	v_subrev_co_ci_u32_e64 v14, s6, s23, v14, vcc_lo
	v_add_co_u32 v24, s6, v2, 2
	s_delay_alu instid0(VALU_DEP_1) | instskip(SKIP_3) | instid1(VALU_DEP_3)
	v_add_co_ci_u32_e64 v25, s6, 0, v13, s6
	v_sub_co_u32 v26, s6, v9, s22
	v_sub_co_ci_u32_e32 v10, vcc_lo, v29, v10, vcc_lo
	v_subrev_co_ci_u32_e64 v14, s6, 0, v14, s6
	v_cmp_le_u32_e32 vcc_lo, s22, v26
	s_delay_alu instid0(VALU_DEP_3) | instskip(SKIP_1) | instid1(VALU_DEP_4)
	v_cmp_eq_u32_e64 s6, s23, v10
	v_cndmask_b32_e64 v26, 0, -1, vcc_lo
	v_cmp_le_u32_e32 vcc_lo, s23, v14
	v_cndmask_b32_e64 v27, 0, -1, vcc_lo
	v_cmp_le_u32_e32 vcc_lo, s22, v9
	;; [unrolled: 2-line block ×3, first 2 shown]
	v_cndmask_b32_e64 v29, 0, -1, vcc_lo
	v_cmp_eq_u32_e32 vcc_lo, s23, v14
	s_delay_alu instid0(VALU_DEP_2) | instskip(SKIP_3) | instid1(VALU_DEP_3)
	v_cndmask_b32_e64 v9, v29, v9, s6
	v_cndmask_b32_e32 v14, v27, v26, vcc_lo
	v_add_co_u32 v26, vcc_lo, v2, 1
	v_add_co_ci_u32_e32 v27, vcc_lo, 0, v13, vcc_lo
	v_cmp_ne_u32_e32 vcc_lo, 0, v14
	s_delay_alu instid0(VALU_DEP_2) | instskip(NEXT) | instid1(VALU_DEP_4)
	v_cndmask_b32_e32 v10, v27, v25, vcc_lo
	v_cndmask_b32_e32 v14, v26, v24, vcc_lo
	v_cmp_ne_u32_e32 vcc_lo, 0, v9
	v_xor_b32_e32 v24, s20, v28
	s_delay_alu instid0(VALU_DEP_3) | instskip(SKIP_1) | instid1(VALU_DEP_2)
	v_cndmask_b32_e32 v2, v2, v14, vcc_lo
	v_cndmask_b32_e32 v9, v13, v10, vcc_lo
                                        ; implicit-def: $vgpr13_vgpr14
	v_xor_b32_e32 v2, v2, v24
	s_delay_alu instid0(VALU_DEP_2) | instskip(NEXT) | instid1(VALU_DEP_2)
	v_xor_b32_e32 v10, v9, v24
	v_sub_co_u32 v9, vcc_lo, v2, v24
	s_delay_alu instid0(VALU_DEP_2)
	v_sub_co_ci_u32_e32 v10, vcc_lo, v10, v24, vcc_lo
.LBB51_14:                              ;   in Loop: Header=BB51_4 Depth=1
	s_and_not1_saveexec_b32 s6, s7
; %bb.15:                               ;   in Loop: Header=BB51_4 Depth=1
	v_mul_hi_u32 v2, v13, v23
	s_delay_alu instid0(VALU_DEP_1) | instskip(NEXT) | instid1(VALU_DEP_1)
	v_mul_lo_u32 v9, v2, s8
	v_sub_nc_u32_e32 v9, v13, v9
	s_delay_alu instid0(VALU_DEP_1) | instskip(SKIP_1) | instid1(VALU_DEP_2)
	v_subrev_nc_u32_e32 v13, s8, v9
	v_cmp_le_u32_e32 vcc_lo, s8, v9
	v_dual_cndmask_b32 v9, v9, v13 :: v_dual_add_nc_u32 v10, 1, v2
	s_delay_alu instid0(VALU_DEP_1) | instskip(NEXT) | instid1(VALU_DEP_2)
	v_cndmask_b32_e32 v2, v2, v10, vcc_lo
	v_cmp_le_u32_e32 vcc_lo, s8, v9
	s_delay_alu instid0(VALU_DEP_2) | instskip(NEXT) | instid1(VALU_DEP_1)
	v_add_nc_u32_e32 v10, 1, v2
	v_dual_cndmask_b32 v9, v2, v10 :: v_dual_mov_b32 v10, v1
; %bb.16:                               ;   in Loop: Header=BB51_4 Depth=1
	s_or_b32 exec_lo, exec_lo, s6
	v_or_b32_e32 v2, s9, v16
                                        ; implicit-def: $vgpr13_vgpr14
	s_mov_b32 s6, exec_lo
	s_delay_alu instid0(VALU_DEP_1)
	v_cmpx_ne_u64_e32 0, v[1:2]
	s_xor_b32 s7, exec_lo, s6
	s_cbranch_execz .LBB51_18
; %bb.17:                               ;   in Loop: Header=BB51_4 Depth=1
	s_add_u32 s22, s8, s20
	s_mov_b32 s21, s20
	s_addc_u32 s23, s9, s20
	s_delay_alu instid0(SALU_CYCLE_1) | instskip(NEXT) | instid1(SALU_CYCLE_1)
	s_xor_b64 s[22:23], s[22:23], s[20:21]
	v_cvt_f32_u32_e32 v2, s22
	v_cvt_f32_u32_e32 v13, s23
	s_sub_u32 s6, 0, s22
	s_subb_u32 s21, 0, s23
	s_delay_alu instid0(VALU_DEP_1) | instskip(NEXT) | instid1(VALU_DEP_1)
	v_fmac_f32_e32 v2, 0x4f800000, v13
	v_rcp_f32_e32 v2, v2
	s_waitcnt_depctr 0xfff
	v_mul_f32_e32 v2, 0x5f7ffffc, v2
	s_delay_alu instid0(VALU_DEP_1) | instskip(NEXT) | instid1(VALU_DEP_1)
	v_mul_f32_e32 v13, 0x2f800000, v2
	v_trunc_f32_e32 v13, v13
	s_delay_alu instid0(VALU_DEP_1) | instskip(SKIP_1) | instid1(VALU_DEP_2)
	v_fmac_f32_e32 v2, 0xcf800000, v13
	v_cvt_u32_f32_e32 v13, v13
	v_cvt_u32_f32_e32 v2, v2
	s_delay_alu instid0(VALU_DEP_2) | instskip(NEXT) | instid1(VALU_DEP_2)
	v_mul_lo_u32 v14, s6, v13
	v_mul_hi_u32 v24, s6, v2
	v_mul_lo_u32 v25, s21, v2
	s_delay_alu instid0(VALU_DEP_2) | instskip(SKIP_1) | instid1(VALU_DEP_2)
	v_add_nc_u32_e32 v14, v24, v14
	v_mul_lo_u32 v24, s6, v2
	v_add_nc_u32_e32 v14, v14, v25
	s_delay_alu instid0(VALU_DEP_2) | instskip(NEXT) | instid1(VALU_DEP_2)
	v_mul_hi_u32 v25, v2, v24
	v_mul_lo_u32 v26, v2, v14
	v_mul_hi_u32 v27, v2, v14
	v_mul_hi_u32 v28, v13, v24
	v_mul_lo_u32 v24, v13, v24
	v_mul_hi_u32 v29, v13, v14
	v_mul_lo_u32 v14, v13, v14
	v_add_co_u32 v25, vcc_lo, v25, v26
	v_add_co_ci_u32_e32 v26, vcc_lo, 0, v27, vcc_lo
	s_delay_alu instid0(VALU_DEP_2) | instskip(NEXT) | instid1(VALU_DEP_2)
	v_add_co_u32 v24, vcc_lo, v25, v24
	v_add_co_ci_u32_e32 v24, vcc_lo, v26, v28, vcc_lo
	v_add_co_ci_u32_e32 v25, vcc_lo, 0, v29, vcc_lo
	v_ashrrev_i32_e32 v28, 31, v16
	s_delay_alu instid0(VALU_DEP_3) | instskip(NEXT) | instid1(VALU_DEP_3)
	v_add_co_u32 v14, vcc_lo, v24, v14
	v_add_co_ci_u32_e32 v24, vcc_lo, 0, v25, vcc_lo
	s_delay_alu instid0(VALU_DEP_2) | instskip(NEXT) | instid1(VALU_DEP_2)
	v_add_co_u32 v2, vcc_lo, v2, v14
	v_add_co_ci_u32_e32 v13, vcc_lo, v13, v24, vcc_lo
	s_delay_alu instid0(VALU_DEP_2) | instskip(SKIP_1) | instid1(VALU_DEP_3)
	v_mul_hi_u32 v14, s6, v2
	v_mul_lo_u32 v25, s21, v2
	v_mul_lo_u32 v24, s6, v13
	s_delay_alu instid0(VALU_DEP_1) | instskip(SKIP_1) | instid1(VALU_DEP_2)
	v_add_nc_u32_e32 v14, v14, v24
	v_mul_lo_u32 v24, s6, v2
	v_add_nc_u32_e32 v14, v14, v25
	s_delay_alu instid0(VALU_DEP_2) | instskip(NEXT) | instid1(VALU_DEP_2)
	v_mul_hi_u32 v25, v2, v24
	v_mul_lo_u32 v26, v2, v14
	v_mul_hi_u32 v27, v2, v14
	v_mul_hi_u32 v29, v13, v24
	v_mul_lo_u32 v24, v13, v24
	v_mul_hi_u32 v30, v13, v14
	v_mul_lo_u32 v14, v13, v14
	v_add_co_u32 v25, vcc_lo, v25, v26
	v_add_co_ci_u32_e32 v26, vcc_lo, 0, v27, vcc_lo
	s_delay_alu instid0(VALU_DEP_2) | instskip(NEXT) | instid1(VALU_DEP_2)
	v_add_co_u32 v24, vcc_lo, v25, v24
	v_add_co_ci_u32_e32 v24, vcc_lo, v26, v29, vcc_lo
	v_add_co_ci_u32_e32 v25, vcc_lo, 0, v30, vcc_lo
	v_add_co_u32 v15, vcc_lo, v15, v28
	v_add_co_ci_u32_e32 v16, vcc_lo, v16, v28, vcc_lo
	s_delay_alu instid0(VALU_DEP_4) | instskip(NEXT) | instid1(VALU_DEP_4)
	v_add_co_u32 v14, vcc_lo, v24, v14
	v_add_co_ci_u32_e32 v24, vcc_lo, 0, v25, vcc_lo
	s_delay_alu instid0(VALU_DEP_4) | instskip(NEXT) | instid1(VALU_DEP_3)
	v_xor_b32_e32 v26, v15, v28
	v_add_co_u32 v2, vcc_lo, v2, v14
	s_delay_alu instid0(VALU_DEP_3) | instskip(SKIP_1) | instid1(VALU_DEP_3)
	v_add_co_ci_u32_e32 v27, vcc_lo, v13, v24, vcc_lo
	v_xor_b32_e32 v29, v16, v28
	v_mul_hi_u32 v30, v26, v2
	s_delay_alu instid0(VALU_DEP_3) | instskip(NEXT) | instid1(VALU_DEP_3)
	v_mad_u64_u32 v[13:14], null, v26, v27, 0
	v_mad_u64_u32 v[15:16], null, v29, v2, 0
	;; [unrolled: 1-line block ×3, first 2 shown]
	s_delay_alu instid0(VALU_DEP_3) | instskip(NEXT) | instid1(VALU_DEP_4)
	v_add_co_u32 v2, vcc_lo, v30, v13
	v_add_co_ci_u32_e32 v13, vcc_lo, 0, v14, vcc_lo
	s_delay_alu instid0(VALU_DEP_2) | instskip(NEXT) | instid1(VALU_DEP_2)
	v_add_co_u32 v2, vcc_lo, v2, v15
	v_add_co_ci_u32_e32 v2, vcc_lo, v13, v16, vcc_lo
	v_add_co_ci_u32_e32 v13, vcc_lo, 0, v25, vcc_lo
	s_delay_alu instid0(VALU_DEP_2) | instskip(NEXT) | instid1(VALU_DEP_2)
	v_add_co_u32 v2, vcc_lo, v2, v24
	v_add_co_ci_u32_e32 v15, vcc_lo, 0, v13, vcc_lo
	s_delay_alu instid0(VALU_DEP_2) | instskip(SKIP_1) | instid1(VALU_DEP_3)
	v_mul_lo_u32 v16, s23, v2
	v_mad_u64_u32 v[13:14], null, s22, v2, 0
	v_mul_lo_u32 v24, s22, v15
	s_delay_alu instid0(VALU_DEP_2) | instskip(NEXT) | instid1(VALU_DEP_2)
	v_sub_co_u32 v13, vcc_lo, v26, v13
	v_add3_u32 v14, v14, v24, v16
	s_delay_alu instid0(VALU_DEP_1) | instskip(NEXT) | instid1(VALU_DEP_1)
	v_sub_nc_u32_e32 v16, v29, v14
	v_subrev_co_ci_u32_e64 v16, s6, s23, v16, vcc_lo
	v_add_co_u32 v24, s6, v2, 2
	s_delay_alu instid0(VALU_DEP_1) | instskip(SKIP_3) | instid1(VALU_DEP_3)
	v_add_co_ci_u32_e64 v25, s6, 0, v15, s6
	v_sub_co_u32 v26, s6, v13, s22
	v_sub_co_ci_u32_e32 v14, vcc_lo, v29, v14, vcc_lo
	v_subrev_co_ci_u32_e64 v16, s6, 0, v16, s6
	v_cmp_le_u32_e32 vcc_lo, s22, v26
	s_delay_alu instid0(VALU_DEP_3) | instskip(SKIP_1) | instid1(VALU_DEP_4)
	v_cmp_eq_u32_e64 s6, s23, v14
	v_cndmask_b32_e64 v26, 0, -1, vcc_lo
	v_cmp_le_u32_e32 vcc_lo, s23, v16
	v_cndmask_b32_e64 v27, 0, -1, vcc_lo
	v_cmp_le_u32_e32 vcc_lo, s22, v13
	;; [unrolled: 2-line block ×3, first 2 shown]
	v_cndmask_b32_e64 v29, 0, -1, vcc_lo
	v_cmp_eq_u32_e32 vcc_lo, s23, v16
	s_delay_alu instid0(VALU_DEP_2) | instskip(SKIP_3) | instid1(VALU_DEP_3)
	v_cndmask_b32_e64 v13, v29, v13, s6
	v_cndmask_b32_e32 v16, v27, v26, vcc_lo
	v_add_co_u32 v26, vcc_lo, v2, 1
	v_add_co_ci_u32_e32 v27, vcc_lo, 0, v15, vcc_lo
	v_cmp_ne_u32_e32 vcc_lo, 0, v16
	s_delay_alu instid0(VALU_DEP_2) | instskip(NEXT) | instid1(VALU_DEP_4)
	v_cndmask_b32_e32 v14, v27, v25, vcc_lo
	v_cndmask_b32_e32 v16, v26, v24, vcc_lo
	v_cmp_ne_u32_e32 vcc_lo, 0, v13
	v_xor_b32_e32 v24, s20, v28
	s_delay_alu instid0(VALU_DEP_3) | instskip(NEXT) | instid1(VALU_DEP_1)
	v_dual_cndmask_b32 v2, v2, v16 :: v_dual_cndmask_b32 v13, v15, v14
                                        ; implicit-def: $vgpr15_vgpr16
	v_xor_b32_e32 v2, v2, v24
	s_delay_alu instid0(VALU_DEP_2) | instskip(NEXT) | instid1(VALU_DEP_2)
	v_xor_b32_e32 v14, v13, v24
	v_sub_co_u32 v13, vcc_lo, v2, v24
	s_delay_alu instid0(VALU_DEP_2)
	v_sub_co_ci_u32_e32 v14, vcc_lo, v14, v24, vcc_lo
.LBB51_18:                              ;   in Loop: Header=BB51_4 Depth=1
	s_and_not1_saveexec_b32 s6, s7
; %bb.19:                               ;   in Loop: Header=BB51_4 Depth=1
	v_mul_hi_u32 v2, v15, v23
	s_delay_alu instid0(VALU_DEP_1) | instskip(NEXT) | instid1(VALU_DEP_1)
	v_mul_lo_u32 v13, v2, s8
	v_sub_nc_u32_e32 v13, v15, v13
	s_delay_alu instid0(VALU_DEP_1) | instskip(SKIP_1) | instid1(VALU_DEP_2)
	v_subrev_nc_u32_e32 v15, s8, v13
	v_cmp_le_u32_e32 vcc_lo, s8, v13
	v_dual_cndmask_b32 v13, v13, v15 :: v_dual_add_nc_u32 v14, 1, v2
	s_delay_alu instid0(VALU_DEP_1) | instskip(NEXT) | instid1(VALU_DEP_2)
	v_cndmask_b32_e32 v2, v2, v14, vcc_lo
	v_cmp_le_u32_e32 vcc_lo, s8, v13
	s_delay_alu instid0(VALU_DEP_2) | instskip(NEXT) | instid1(VALU_DEP_1)
	v_add_nc_u32_e32 v14, 1, v2
	v_dual_cndmask_b32 v13, v2, v14 :: v_dual_mov_b32 v14, v1
; %bb.20:                               ;   in Loop: Header=BB51_4 Depth=1
	s_or_b32 exec_lo, exec_lo, s6
	v_or_b32_e32 v2, s9, v12
                                        ; implicit-def: $vgpr15_vgpr16
	s_mov_b32 s6, exec_lo
	s_delay_alu instid0(VALU_DEP_1)
	v_cmpx_ne_u64_e32 0, v[1:2]
	s_xor_b32 s7, exec_lo, s6
	s_cbranch_execnz .LBB51_26
; %bb.21:                               ;   in Loop: Header=BB51_4 Depth=1
	s_and_not1_saveexec_b32 s6, s7
	s_cbranch_execnz .LBB51_27
.LBB51_22:                              ;   in Loop: Header=BB51_4 Depth=1
	s_or_b32 exec_lo, exec_lo, s6
	s_and_saveexec_b32 s22, s5
	s_cbranch_execnz .LBB51_28
.LBB51_23:                              ;   in Loop: Header=BB51_4 Depth=1
	s_or_b32 exec_lo, exec_lo, s22
	s_and_saveexec_b32 s5, s2
	s_cbranch_execnz .LBB51_33
.LBB51_24:                              ;   in Loop: Header=BB51_4 Depth=1
	s_or_b32 exec_lo, exec_lo, s5
	s_and_saveexec_b32 s2, s3
	s_cbranch_execnz .LBB51_34
.LBB51_25:                              ;   in Loop: Header=BB51_4 Depth=1
	s_or_b32 exec_lo, exec_lo, s2
	s_and_saveexec_b32 s2, s4
	s_cbranch_execz .LBB51_3
	s_branch .LBB51_35
.LBB51_26:                              ;   in Loop: Header=BB51_4 Depth=1
	s_add_u32 s22, s8, s20
	s_mov_b32 s21, s20
	s_addc_u32 s23, s9, s20
	s_delay_alu instid0(SALU_CYCLE_1) | instskip(NEXT) | instid1(SALU_CYCLE_1)
	s_xor_b64 s[22:23], s[22:23], s[20:21]
	v_cvt_f32_u32_e32 v2, s22
	v_cvt_f32_u32_e32 v15, s23
	s_sub_u32 s6, 0, s22
	s_subb_u32 s21, 0, s23
	s_delay_alu instid0(VALU_DEP_1) | instskip(NEXT) | instid1(VALU_DEP_1)
	v_fmac_f32_e32 v2, 0x4f800000, v15
	v_rcp_f32_e32 v2, v2
	s_waitcnt_depctr 0xfff
	v_mul_f32_e32 v2, 0x5f7ffffc, v2
	s_delay_alu instid0(VALU_DEP_1) | instskip(NEXT) | instid1(VALU_DEP_1)
	v_mul_f32_e32 v15, 0x2f800000, v2
	v_trunc_f32_e32 v15, v15
	s_delay_alu instid0(VALU_DEP_1) | instskip(SKIP_1) | instid1(VALU_DEP_2)
	v_fmac_f32_e32 v2, 0xcf800000, v15
	v_cvt_u32_f32_e32 v15, v15
	v_cvt_u32_f32_e32 v2, v2
	s_delay_alu instid0(VALU_DEP_2) | instskip(NEXT) | instid1(VALU_DEP_2)
	v_mul_lo_u32 v16, s6, v15
	v_mul_hi_u32 v24, s6, v2
	v_mul_lo_u32 v25, s21, v2
	s_delay_alu instid0(VALU_DEP_2) | instskip(SKIP_1) | instid1(VALU_DEP_2)
	v_add_nc_u32_e32 v16, v24, v16
	v_mul_lo_u32 v24, s6, v2
	v_add_nc_u32_e32 v16, v16, v25
	s_delay_alu instid0(VALU_DEP_2) | instskip(NEXT) | instid1(VALU_DEP_2)
	v_mul_hi_u32 v25, v2, v24
	v_mul_lo_u32 v26, v2, v16
	v_mul_hi_u32 v27, v2, v16
	v_mul_hi_u32 v28, v15, v24
	v_mul_lo_u32 v24, v15, v24
	v_mul_hi_u32 v29, v15, v16
	v_mul_lo_u32 v16, v15, v16
	v_add_co_u32 v25, vcc_lo, v25, v26
	v_add_co_ci_u32_e32 v26, vcc_lo, 0, v27, vcc_lo
	s_delay_alu instid0(VALU_DEP_2) | instskip(NEXT) | instid1(VALU_DEP_2)
	v_add_co_u32 v24, vcc_lo, v25, v24
	v_add_co_ci_u32_e32 v24, vcc_lo, v26, v28, vcc_lo
	v_add_co_ci_u32_e32 v25, vcc_lo, 0, v29, vcc_lo
	v_ashrrev_i32_e32 v28, 31, v12
	s_delay_alu instid0(VALU_DEP_3) | instskip(NEXT) | instid1(VALU_DEP_3)
	v_add_co_u32 v16, vcc_lo, v24, v16
	v_add_co_ci_u32_e32 v24, vcc_lo, 0, v25, vcc_lo
	s_delay_alu instid0(VALU_DEP_2) | instskip(NEXT) | instid1(VALU_DEP_2)
	v_add_co_u32 v2, vcc_lo, v2, v16
	v_add_co_ci_u32_e32 v15, vcc_lo, v15, v24, vcc_lo
	s_delay_alu instid0(VALU_DEP_2) | instskip(SKIP_1) | instid1(VALU_DEP_3)
	v_mul_hi_u32 v16, s6, v2
	v_mul_lo_u32 v25, s21, v2
	v_mul_lo_u32 v24, s6, v15
	s_delay_alu instid0(VALU_DEP_1) | instskip(SKIP_1) | instid1(VALU_DEP_2)
	v_add_nc_u32_e32 v16, v16, v24
	v_mul_lo_u32 v24, s6, v2
	v_add_nc_u32_e32 v16, v16, v25
	s_delay_alu instid0(VALU_DEP_2) | instskip(NEXT) | instid1(VALU_DEP_2)
	v_mul_hi_u32 v25, v2, v24
	v_mul_lo_u32 v26, v2, v16
	v_mul_hi_u32 v27, v2, v16
	v_mul_hi_u32 v29, v15, v24
	v_mul_lo_u32 v24, v15, v24
	v_mul_hi_u32 v30, v15, v16
	v_mul_lo_u32 v16, v15, v16
	v_add_co_u32 v25, vcc_lo, v25, v26
	v_add_co_ci_u32_e32 v26, vcc_lo, 0, v27, vcc_lo
	s_delay_alu instid0(VALU_DEP_2) | instskip(NEXT) | instid1(VALU_DEP_2)
	v_add_co_u32 v24, vcc_lo, v25, v24
	v_add_co_ci_u32_e32 v24, vcc_lo, v26, v29, vcc_lo
	v_add_co_ci_u32_e32 v25, vcc_lo, 0, v30, vcc_lo
	v_add_co_u32 v11, vcc_lo, v11, v28
	v_add_co_ci_u32_e32 v12, vcc_lo, v12, v28, vcc_lo
	s_delay_alu instid0(VALU_DEP_4) | instskip(NEXT) | instid1(VALU_DEP_4)
	v_add_co_u32 v16, vcc_lo, v24, v16
	v_add_co_ci_u32_e32 v24, vcc_lo, 0, v25, vcc_lo
	s_delay_alu instid0(VALU_DEP_4) | instskip(NEXT) | instid1(VALU_DEP_3)
	v_xor_b32_e32 v26, v11, v28
	v_add_co_u32 v2, vcc_lo, v2, v16
	s_delay_alu instid0(VALU_DEP_3) | instskip(SKIP_1) | instid1(VALU_DEP_3)
	v_add_co_ci_u32_e32 v27, vcc_lo, v15, v24, vcc_lo
	v_xor_b32_e32 v29, v12, v28
	v_mul_hi_u32 v30, v26, v2
	s_delay_alu instid0(VALU_DEP_3) | instskip(NEXT) | instid1(VALU_DEP_3)
	v_mad_u64_u32 v[11:12], null, v26, v27, 0
	v_mad_u64_u32 v[15:16], null, v29, v2, 0
	;; [unrolled: 1-line block ×3, first 2 shown]
	s_delay_alu instid0(VALU_DEP_3) | instskip(NEXT) | instid1(VALU_DEP_4)
	v_add_co_u32 v2, vcc_lo, v30, v11
	v_add_co_ci_u32_e32 v11, vcc_lo, 0, v12, vcc_lo
	s_delay_alu instid0(VALU_DEP_2) | instskip(NEXT) | instid1(VALU_DEP_2)
	v_add_co_u32 v2, vcc_lo, v2, v15
	v_add_co_ci_u32_e32 v2, vcc_lo, v11, v16, vcc_lo
	v_add_co_ci_u32_e32 v11, vcc_lo, 0, v25, vcc_lo
	s_delay_alu instid0(VALU_DEP_2) | instskip(NEXT) | instid1(VALU_DEP_2)
	v_add_co_u32 v2, vcc_lo, v2, v24
	v_add_co_ci_u32_e32 v15, vcc_lo, 0, v11, vcc_lo
	s_delay_alu instid0(VALU_DEP_2) | instskip(SKIP_1) | instid1(VALU_DEP_3)
	v_mul_lo_u32 v16, s23, v2
	v_mad_u64_u32 v[11:12], null, s22, v2, 0
	v_mul_lo_u32 v24, s22, v15
	s_delay_alu instid0(VALU_DEP_2) | instskip(NEXT) | instid1(VALU_DEP_2)
	v_sub_co_u32 v11, vcc_lo, v26, v11
	v_add3_u32 v12, v12, v24, v16
	s_delay_alu instid0(VALU_DEP_1) | instskip(NEXT) | instid1(VALU_DEP_1)
	v_sub_nc_u32_e32 v16, v29, v12
	v_subrev_co_ci_u32_e64 v16, s6, s23, v16, vcc_lo
	v_add_co_u32 v24, s6, v2, 2
	s_delay_alu instid0(VALU_DEP_1) | instskip(SKIP_3) | instid1(VALU_DEP_3)
	v_add_co_ci_u32_e64 v25, s6, 0, v15, s6
	v_sub_co_u32 v26, s6, v11, s22
	v_sub_co_ci_u32_e32 v12, vcc_lo, v29, v12, vcc_lo
	v_subrev_co_ci_u32_e64 v16, s6, 0, v16, s6
	v_cmp_le_u32_e32 vcc_lo, s22, v26
	s_delay_alu instid0(VALU_DEP_3) | instskip(SKIP_1) | instid1(VALU_DEP_4)
	v_cmp_eq_u32_e64 s6, s23, v12
	v_cndmask_b32_e64 v26, 0, -1, vcc_lo
	v_cmp_le_u32_e32 vcc_lo, s23, v16
	v_cndmask_b32_e64 v27, 0, -1, vcc_lo
	v_cmp_le_u32_e32 vcc_lo, s22, v11
	;; [unrolled: 2-line block ×3, first 2 shown]
	v_cndmask_b32_e64 v29, 0, -1, vcc_lo
	v_cmp_eq_u32_e32 vcc_lo, s23, v16
	s_delay_alu instid0(VALU_DEP_2) | instskip(SKIP_3) | instid1(VALU_DEP_3)
	v_cndmask_b32_e64 v11, v29, v11, s6
	v_cndmask_b32_e32 v16, v27, v26, vcc_lo
	v_add_co_u32 v26, vcc_lo, v2, 1
	v_add_co_ci_u32_e32 v27, vcc_lo, 0, v15, vcc_lo
	v_cmp_ne_u32_e32 vcc_lo, 0, v16
	s_delay_alu instid0(VALU_DEP_2) | instskip(NEXT) | instid1(VALU_DEP_4)
	v_cndmask_b32_e32 v12, v27, v25, vcc_lo
	v_cndmask_b32_e32 v16, v26, v24, vcc_lo
	v_cmp_ne_u32_e32 vcc_lo, 0, v11
	v_xor_b32_e32 v11, s20, v28
	s_delay_alu instid0(VALU_DEP_3) | instskip(SKIP_1) | instid1(VALU_DEP_2)
	v_cndmask_b32_e32 v2, v2, v16, vcc_lo
	v_cndmask_b32_e32 v12, v15, v12, vcc_lo
	v_xor_b32_e32 v2, v2, v11
	s_delay_alu instid0(VALU_DEP_2) | instskip(NEXT) | instid1(VALU_DEP_2)
	v_xor_b32_e32 v12, v12, v11
	v_sub_co_u32 v15, vcc_lo, v2, v11
	s_delay_alu instid0(VALU_DEP_2)
	v_sub_co_ci_u32_e32 v16, vcc_lo, v12, v11, vcc_lo
                                        ; implicit-def: $vgpr11_vgpr12
	s_and_not1_saveexec_b32 s6, s7
	s_cbranch_execz .LBB51_22
.LBB51_27:                              ;   in Loop: Header=BB51_4 Depth=1
	v_mul_hi_u32 v2, v11, v23
	v_mov_b32_e32 v16, v1
	s_delay_alu instid0(VALU_DEP_2) | instskip(NEXT) | instid1(VALU_DEP_1)
	v_mul_lo_u32 v12, v2, s8
	v_sub_nc_u32_e32 v11, v11, v12
	s_delay_alu instid0(VALU_DEP_1) | instskip(SKIP_1) | instid1(VALU_DEP_2)
	v_subrev_nc_u32_e32 v15, s8, v11
	v_cmp_le_u32_e32 vcc_lo, s8, v11
	v_dual_cndmask_b32 v11, v11, v15 :: v_dual_add_nc_u32 v12, 1, v2
	s_delay_alu instid0(VALU_DEP_1) | instskip(NEXT) | instid1(VALU_DEP_2)
	v_cndmask_b32_e32 v2, v2, v12, vcc_lo
	v_cmp_le_u32_e32 vcc_lo, s8, v11
	s_delay_alu instid0(VALU_DEP_2) | instskip(NEXT) | instid1(VALU_DEP_1)
	v_add_nc_u32_e32 v12, 1, v2
	v_cndmask_b32_e32 v15, v2, v12, vcc_lo
	s_or_b32 exec_lo, exec_lo, s6
	s_and_saveexec_b32 s22, s5
	s_cbranch_execz .LBB51_23
.LBB51_28:                              ;   in Loop: Header=BB51_4 Depth=1
	v_or_b32_e32 v2, s9, v8
                                        ; implicit-def: $vgpr11_vgpr12
	s_mov_b32 s5, exec_lo
	s_delay_alu instid0(VALU_DEP_1)
	v_cmpx_ne_u64_e32 0, v[1:2]
	s_xor_b32 s23, exec_lo, s5
	s_cbranch_execz .LBB51_30
; %bb.29:                               ;   in Loop: Header=BB51_4 Depth=1
	s_add_u32 s6, s8, s20
	s_mov_b32 s21, s20
	s_addc_u32 s7, s9, s20
	s_delay_alu instid0(SALU_CYCLE_1) | instskip(NEXT) | instid1(SALU_CYCLE_1)
	s_xor_b64 s[6:7], s[6:7], s[20:21]
	v_cvt_f32_u32_e32 v2, s6
	v_cvt_f32_u32_e32 v11, s7
	s_sub_u32 s5, 0, s6
	s_subb_u32 s21, 0, s7
	s_delay_alu instid0(VALU_DEP_1) | instskip(NEXT) | instid1(VALU_DEP_1)
	v_fmac_f32_e32 v2, 0x4f800000, v11
	v_rcp_f32_e32 v2, v2
	s_waitcnt_depctr 0xfff
	v_mul_f32_e32 v2, 0x5f7ffffc, v2
	s_delay_alu instid0(VALU_DEP_1) | instskip(NEXT) | instid1(VALU_DEP_1)
	v_mul_f32_e32 v11, 0x2f800000, v2
	v_trunc_f32_e32 v11, v11
	s_delay_alu instid0(VALU_DEP_1) | instskip(SKIP_1) | instid1(VALU_DEP_2)
	v_fmac_f32_e32 v2, 0xcf800000, v11
	v_cvt_u32_f32_e32 v11, v11
	v_cvt_u32_f32_e32 v2, v2
	s_delay_alu instid0(VALU_DEP_2) | instskip(NEXT) | instid1(VALU_DEP_2)
	v_mul_lo_u32 v12, s5, v11
	v_mul_hi_u32 v24, s5, v2
	v_mul_lo_u32 v25, s21, v2
	s_delay_alu instid0(VALU_DEP_2) | instskip(SKIP_1) | instid1(VALU_DEP_2)
	v_add_nc_u32_e32 v12, v24, v12
	v_mul_lo_u32 v24, s5, v2
	v_add_nc_u32_e32 v12, v12, v25
	s_delay_alu instid0(VALU_DEP_2) | instskip(NEXT) | instid1(VALU_DEP_2)
	v_mul_hi_u32 v25, v2, v24
	v_mul_lo_u32 v26, v2, v12
	v_mul_hi_u32 v27, v2, v12
	v_mul_hi_u32 v28, v11, v24
	v_mul_lo_u32 v24, v11, v24
	v_mul_hi_u32 v29, v11, v12
	v_mul_lo_u32 v12, v11, v12
	v_add_co_u32 v25, vcc_lo, v25, v26
	v_add_co_ci_u32_e32 v26, vcc_lo, 0, v27, vcc_lo
	s_delay_alu instid0(VALU_DEP_2) | instskip(NEXT) | instid1(VALU_DEP_2)
	v_add_co_u32 v24, vcc_lo, v25, v24
	v_add_co_ci_u32_e32 v24, vcc_lo, v26, v28, vcc_lo
	v_add_co_ci_u32_e32 v25, vcc_lo, 0, v29, vcc_lo
	v_ashrrev_i32_e32 v28, 31, v8
	s_delay_alu instid0(VALU_DEP_3) | instskip(NEXT) | instid1(VALU_DEP_3)
	v_add_co_u32 v12, vcc_lo, v24, v12
	v_add_co_ci_u32_e32 v24, vcc_lo, 0, v25, vcc_lo
	s_delay_alu instid0(VALU_DEP_2) | instskip(NEXT) | instid1(VALU_DEP_2)
	v_add_co_u32 v2, vcc_lo, v2, v12
	v_add_co_ci_u32_e32 v11, vcc_lo, v11, v24, vcc_lo
	s_delay_alu instid0(VALU_DEP_2) | instskip(SKIP_1) | instid1(VALU_DEP_3)
	v_mul_hi_u32 v12, s5, v2
	v_mul_lo_u32 v25, s21, v2
	v_mul_lo_u32 v24, s5, v11
	s_delay_alu instid0(VALU_DEP_1) | instskip(SKIP_1) | instid1(VALU_DEP_2)
	v_add_nc_u32_e32 v12, v12, v24
	v_mul_lo_u32 v24, s5, v2
	v_add_nc_u32_e32 v12, v12, v25
	s_delay_alu instid0(VALU_DEP_2) | instskip(NEXT) | instid1(VALU_DEP_2)
	v_mul_hi_u32 v25, v2, v24
	v_mul_lo_u32 v26, v2, v12
	v_mul_hi_u32 v27, v2, v12
	v_mul_hi_u32 v29, v11, v24
	v_mul_lo_u32 v24, v11, v24
	v_mul_hi_u32 v30, v11, v12
	v_mul_lo_u32 v12, v11, v12
	v_add_co_u32 v25, vcc_lo, v25, v26
	v_add_co_ci_u32_e32 v26, vcc_lo, 0, v27, vcc_lo
	s_delay_alu instid0(VALU_DEP_2) | instskip(NEXT) | instid1(VALU_DEP_2)
	v_add_co_u32 v24, vcc_lo, v25, v24
	v_add_co_ci_u32_e32 v24, vcc_lo, v26, v29, vcc_lo
	v_add_co_ci_u32_e32 v25, vcc_lo, 0, v30, vcc_lo
	v_add_co_u32 v7, vcc_lo, v7, v28
	v_add_co_ci_u32_e32 v8, vcc_lo, v8, v28, vcc_lo
	s_delay_alu instid0(VALU_DEP_4) | instskip(NEXT) | instid1(VALU_DEP_4)
	v_add_co_u32 v12, vcc_lo, v24, v12
	v_add_co_ci_u32_e32 v24, vcc_lo, 0, v25, vcc_lo
	s_delay_alu instid0(VALU_DEP_4) | instskip(NEXT) | instid1(VALU_DEP_3)
	v_xor_b32_e32 v26, v7, v28
	v_add_co_u32 v2, vcc_lo, v2, v12
	s_delay_alu instid0(VALU_DEP_3) | instskip(SKIP_1) | instid1(VALU_DEP_3)
	v_add_co_ci_u32_e32 v27, vcc_lo, v11, v24, vcc_lo
	v_xor_b32_e32 v29, v8, v28
	v_mul_hi_u32 v30, v26, v2
	s_delay_alu instid0(VALU_DEP_3) | instskip(NEXT) | instid1(VALU_DEP_3)
	v_mad_u64_u32 v[7:8], null, v26, v27, 0
	v_mad_u64_u32 v[11:12], null, v29, v2, 0
	v_mad_u64_u32 v[24:25], null, v29, v27, 0
	s_delay_alu instid0(VALU_DEP_3) | instskip(NEXT) | instid1(VALU_DEP_4)
	v_add_co_u32 v2, vcc_lo, v30, v7
	v_add_co_ci_u32_e32 v7, vcc_lo, 0, v8, vcc_lo
	s_delay_alu instid0(VALU_DEP_2) | instskip(NEXT) | instid1(VALU_DEP_2)
	v_add_co_u32 v2, vcc_lo, v2, v11
	v_add_co_ci_u32_e32 v2, vcc_lo, v7, v12, vcc_lo
	v_add_co_ci_u32_e32 v7, vcc_lo, 0, v25, vcc_lo
	s_delay_alu instid0(VALU_DEP_2) | instskip(NEXT) | instid1(VALU_DEP_2)
	v_add_co_u32 v2, vcc_lo, v2, v24
	v_add_co_ci_u32_e32 v11, vcc_lo, 0, v7, vcc_lo
	s_delay_alu instid0(VALU_DEP_2) | instskip(SKIP_1) | instid1(VALU_DEP_3)
	v_mul_lo_u32 v12, s7, v2
	v_mad_u64_u32 v[7:8], null, s6, v2, 0
	v_mul_lo_u32 v24, s6, v11
	s_delay_alu instid0(VALU_DEP_2) | instskip(NEXT) | instid1(VALU_DEP_2)
	v_sub_co_u32 v7, vcc_lo, v26, v7
	v_add3_u32 v8, v8, v24, v12
	s_delay_alu instid0(VALU_DEP_1) | instskip(NEXT) | instid1(VALU_DEP_1)
	v_sub_nc_u32_e32 v12, v29, v8
	v_subrev_co_ci_u32_e64 v12, s5, s7, v12, vcc_lo
	v_add_co_u32 v24, s5, v2, 2
	s_delay_alu instid0(VALU_DEP_1) | instskip(SKIP_3) | instid1(VALU_DEP_3)
	v_add_co_ci_u32_e64 v25, s5, 0, v11, s5
	v_sub_co_u32 v26, s5, v7, s6
	v_sub_co_ci_u32_e32 v8, vcc_lo, v29, v8, vcc_lo
	v_subrev_co_ci_u32_e64 v12, s5, 0, v12, s5
	v_cmp_le_u32_e32 vcc_lo, s6, v26
	s_delay_alu instid0(VALU_DEP_3) | instskip(SKIP_1) | instid1(VALU_DEP_4)
	v_cmp_eq_u32_e64 s5, s7, v8
	v_cndmask_b32_e64 v26, 0, -1, vcc_lo
	v_cmp_le_u32_e32 vcc_lo, s7, v12
	v_cndmask_b32_e64 v27, 0, -1, vcc_lo
	v_cmp_le_u32_e32 vcc_lo, s6, v7
	;; [unrolled: 2-line block ×3, first 2 shown]
	v_cndmask_b32_e64 v29, 0, -1, vcc_lo
	v_cmp_eq_u32_e32 vcc_lo, s7, v12
	s_delay_alu instid0(VALU_DEP_2) | instskip(SKIP_3) | instid1(VALU_DEP_3)
	v_cndmask_b32_e64 v7, v29, v7, s5
	v_cndmask_b32_e32 v12, v27, v26, vcc_lo
	v_add_co_u32 v26, vcc_lo, v2, 1
	v_add_co_ci_u32_e32 v27, vcc_lo, 0, v11, vcc_lo
	v_cmp_ne_u32_e32 vcc_lo, 0, v12
	s_delay_alu instid0(VALU_DEP_2) | instskip(NEXT) | instid1(VALU_DEP_4)
	v_cndmask_b32_e32 v8, v27, v25, vcc_lo
	v_cndmask_b32_e32 v12, v26, v24, vcc_lo
	v_cmp_ne_u32_e32 vcc_lo, 0, v7
	v_xor_b32_e32 v7, s20, v28
	s_delay_alu instid0(VALU_DEP_3) | instskip(SKIP_1) | instid1(VALU_DEP_2)
	v_cndmask_b32_e32 v2, v2, v12, vcc_lo
	v_cndmask_b32_e32 v8, v11, v8, vcc_lo
	v_xor_b32_e32 v2, v2, v7
	s_delay_alu instid0(VALU_DEP_2) | instskip(NEXT) | instid1(VALU_DEP_2)
	v_xor_b32_e32 v8, v8, v7
	v_sub_co_u32 v11, vcc_lo, v2, v7
	s_delay_alu instid0(VALU_DEP_2)
	v_sub_co_ci_u32_e32 v12, vcc_lo, v8, v7, vcc_lo
                                        ; implicit-def: $vgpr7_vgpr8
.LBB51_30:                              ;   in Loop: Header=BB51_4 Depth=1
	s_and_not1_saveexec_b32 s5, s23
; %bb.31:                               ;   in Loop: Header=BB51_4 Depth=1
	v_mul_hi_u32 v2, v7, v23
	v_mov_b32_e32 v12, v1
	s_delay_alu instid0(VALU_DEP_2) | instskip(NEXT) | instid1(VALU_DEP_1)
	v_mul_lo_u32 v8, v2, s8
	v_sub_nc_u32_e32 v7, v7, v8
	s_delay_alu instid0(VALU_DEP_1) | instskip(SKIP_1) | instid1(VALU_DEP_2)
	v_subrev_nc_u32_e32 v11, s8, v7
	v_cmp_le_u32_e32 vcc_lo, s8, v7
	v_dual_cndmask_b32 v7, v7, v11 :: v_dual_add_nc_u32 v8, 1, v2
	s_delay_alu instid0(VALU_DEP_1) | instskip(NEXT) | instid1(VALU_DEP_2)
	v_cndmask_b32_e32 v2, v2, v8, vcc_lo
	v_cmp_le_u32_e32 vcc_lo, s8, v7
	s_delay_alu instid0(VALU_DEP_2) | instskip(NEXT) | instid1(VALU_DEP_1)
	v_add_nc_u32_e32 v8, 1, v2
	v_cndmask_b32_e32 v11, v2, v8, vcc_lo
; %bb.32:                               ;   in Loop: Header=BB51_4 Depth=1
	s_or_b32 exec_lo, exec_lo, s5
	global_store_b64 v[3:4], v[11:12], off
	s_or_b32 exec_lo, exec_lo, s22
	s_and_saveexec_b32 s5, s2
	s_cbranch_execz .LBB51_24
.LBB51_33:                              ;   in Loop: Header=BB51_4 Depth=1
	global_store_b64 v[5:6], v[9:10], off
	s_or_b32 exec_lo, exec_lo, s5
	s_and_saveexec_b32 s2, s3
	s_cbranch_execz .LBB51_25
.LBB51_34:                              ;   in Loop: Header=BB51_4 Depth=1
	v_add_co_u32 v7, vcc_lo, v3, s27
	v_add_co_ci_u32_e32 v8, vcc_lo, 0, v4, vcc_lo
	global_store_b64 v[7:8], v[13:14], off
	s_or_b32 exec_lo, exec_lo, s2
	s_and_saveexec_b32 s2, s4
	s_cbranch_execz .LBB51_3
.LBB51_35:                              ;   in Loop: Header=BB51_4 Depth=1
	v_add_co_u32 v7, vcc_lo, v3, s25
	v_add_co_ci_u32_e32 v8, vcc_lo, 0, v4, vcc_lo
	global_store_b64 v[7:8], v[15:16], off
	s_branch .LBB51_3
.LBB51_36:
	s_cbranch_execz .LBB51_38
	s_branch .LBB51_57
.LBB51_37:
.LBB51_38:
	v_dual_mov_b32 v12, 0 :: v_dual_lshlrev_b32 v1, 2, v0
	s_mov_b32 s6, 0
	s_mov_b32 s2, exec_lo
	s_delay_alu instid0(VALU_DEP_1) | instskip(NEXT) | instid1(VALU_DEP_1)
	v_mov_b32_e32 v2, v12
	v_cmpx_gt_i64_e64 s[10:11], v[1:2]
	s_cbranch_execz .LBB51_57
; %bb.39:
	s_load_b32 s0, s[0:1], 0xf54
	v_cvt_f32_u32_e32 v1, s8
	v_lshlrev_b32_e32 v3, 5, v0
	s_delay_alu instid0(VALU_DEP_2) | instskip(SKIP_4) | instid1(VALU_DEP_1)
	v_rcp_iflag_f32_e32 v1, v1
	s_waitcnt_depctr 0xfff
	v_mul_f32_e32 v1, 0x4f7ffffe, v1
	s_waitcnt lgkmcnt(0)
	s_and_b32 s0, s0, 0xffff
	v_cvt_u32_f32_e32 v1, v1
	s_lshl_b32 s1, s0, 2
	s_add_u32 s2, s12, s14
	s_addc_u32 s3, s13, s15
	s_sub_i32 s4, 0, s8
	v_add_lshl_u32 v14, v0, s0, 2
	v_mul_lo_u32 v2, s4, v1
	s_lshl_b32 s7, s0, 5
	s_delay_alu instid0(VALU_DEP_1) | instskip(SKIP_1) | instid1(VALU_DEP_1)
	v_mul_hi_u32 v0, v1, v2
	v_add_co_u32 v2, s2, s2, v3
	v_add_co_ci_u32_e64 v3, null, s3, 0, s2
	v_mov_b32_e32 v15, v12
	s_delay_alu instid0(VALU_DEP_3) | instskip(SKIP_1) | instid1(VALU_DEP_4)
	v_add_co_u32 v16, vcc_lo, v2, 16
	v_add_nc_u32_e32 v18, v1, v0
	v_add_co_ci_u32_e32 v17, vcc_lo, 0, v3, vcc_lo
	s_ashr_i32 s2, s9, 31
	s_branch .LBB51_41
.LBB51_40:                              ;   in Loop: Header=BB51_41 Depth=1
	s_or_b32 exec_lo, exec_lo, s0
	v_cmp_le_i64_e32 vcc_lo, s[10:11], v[14:15]
	v_cmp_lt_u64_e64 s0, 0xffff, v[14:15]
	s_clause 0x1
	global_store_b128 v[16:17], v[4:7], off offset:-16
	global_store_b128 v[16:17], v[8:11], off
	s_or_b32 s0, vcc_lo, s0
	v_add_co_u32 v14, vcc_lo, v14, s1
	v_add_co_ci_u32_e32 v15, vcc_lo, 0, v15, vcc_lo
	v_add_co_u32 v16, vcc_lo, v16, s7
	v_add_co_ci_u32_e32 v17, vcc_lo, 0, v17, vcc_lo
	s_and_b32 s0, exec_lo, s0
	s_delay_alu instid0(SALU_CYCLE_1) | instskip(NEXT) | instid1(SALU_CYCLE_1)
	s_or_b32 s6, s0, s6
	s_and_not1_b32 exec_lo, exec_lo, s6
	s_cbranch_execz .LBB51_57
.LBB51_41:                              ; =>This Inner Loop Header: Depth=1
	s_clause 0x1
	global_load_b128 v[6:9], v[16:17], off offset:-16
	global_load_b128 v[0:3], v[16:17], off
                                        ; implicit-def: $vgpr4_vgpr5
	s_mov_b32 s0, exec_lo
	s_waitcnt vmcnt(1)
	v_or_b32_e32 v13, s9, v7
	s_delay_alu instid0(VALU_DEP_1)
	v_cmpx_ne_u64_e32 0, v[12:13]
	s_xor_b32 s12, exec_lo, s0
	s_cbranch_execz .LBB51_43
; %bb.42:                               ;   in Loop: Header=BB51_41 Depth=1
	s_add_u32 s4, s8, s2
	s_mov_b32 s3, s2
	s_addc_u32 s5, s9, s2
	s_delay_alu instid0(SALU_CYCLE_1) | instskip(NEXT) | instid1(SALU_CYCLE_1)
	s_xor_b64 s[4:5], s[4:5], s[2:3]
	v_cvt_f32_u32_e32 v4, s4
	v_cvt_f32_u32_e32 v5, s5
	s_sub_u32 s0, 0, s4
	s_subb_u32 s3, 0, s5
	s_delay_alu instid0(VALU_DEP_1) | instskip(NEXT) | instid1(VALU_DEP_1)
	v_fmac_f32_e32 v4, 0x4f800000, v5
	v_rcp_f32_e32 v4, v4
	s_waitcnt_depctr 0xfff
	v_mul_f32_e32 v4, 0x5f7ffffc, v4
	s_delay_alu instid0(VALU_DEP_1) | instskip(NEXT) | instid1(VALU_DEP_1)
	v_mul_f32_e32 v5, 0x2f800000, v4
	v_trunc_f32_e32 v5, v5
	s_delay_alu instid0(VALU_DEP_1) | instskip(SKIP_1) | instid1(VALU_DEP_2)
	v_fmac_f32_e32 v4, 0xcf800000, v5
	v_cvt_u32_f32_e32 v5, v5
	v_cvt_u32_f32_e32 v4, v4
	s_delay_alu instid0(VALU_DEP_2) | instskip(NEXT) | instid1(VALU_DEP_2)
	v_mul_lo_u32 v10, s0, v5
	v_mul_hi_u32 v11, s0, v4
	v_mul_lo_u32 v13, s3, v4
	s_delay_alu instid0(VALU_DEP_2) | instskip(SKIP_1) | instid1(VALU_DEP_2)
	v_add_nc_u32_e32 v10, v11, v10
	v_mul_lo_u32 v11, s0, v4
	v_add_nc_u32_e32 v10, v10, v13
	s_delay_alu instid0(VALU_DEP_2) | instskip(NEXT) | instid1(VALU_DEP_2)
	v_mul_hi_u32 v13, v4, v11
	v_mul_lo_u32 v19, v4, v10
	v_mul_hi_u32 v20, v4, v10
	v_mul_hi_u32 v21, v5, v11
	v_mul_lo_u32 v11, v5, v11
	v_mul_hi_u32 v22, v5, v10
	v_mul_lo_u32 v10, v5, v10
	v_add_co_u32 v13, vcc_lo, v13, v19
	v_add_co_ci_u32_e32 v19, vcc_lo, 0, v20, vcc_lo
	s_delay_alu instid0(VALU_DEP_2) | instskip(NEXT) | instid1(VALU_DEP_2)
	v_add_co_u32 v11, vcc_lo, v13, v11
	v_add_co_ci_u32_e32 v11, vcc_lo, v19, v21, vcc_lo
	v_add_co_ci_u32_e32 v13, vcc_lo, 0, v22, vcc_lo
	v_ashrrev_i32_e32 v21, 31, v7
	s_delay_alu instid0(VALU_DEP_3) | instskip(NEXT) | instid1(VALU_DEP_3)
	v_add_co_u32 v10, vcc_lo, v11, v10
	v_add_co_ci_u32_e32 v11, vcc_lo, 0, v13, vcc_lo
	s_delay_alu instid0(VALU_DEP_2) | instskip(NEXT) | instid1(VALU_DEP_2)
	v_add_co_u32 v4, vcc_lo, v4, v10
	v_add_co_ci_u32_e32 v5, vcc_lo, v5, v11, vcc_lo
	s_delay_alu instid0(VALU_DEP_2) | instskip(SKIP_1) | instid1(VALU_DEP_3)
	v_mul_hi_u32 v10, s0, v4
	v_mul_lo_u32 v13, s3, v4
	v_mul_lo_u32 v11, s0, v5
	s_delay_alu instid0(VALU_DEP_1) | instskip(SKIP_1) | instid1(VALU_DEP_2)
	v_add_nc_u32_e32 v10, v10, v11
	v_mul_lo_u32 v11, s0, v4
	v_add_nc_u32_e32 v10, v10, v13
	s_delay_alu instid0(VALU_DEP_2) | instskip(NEXT) | instid1(VALU_DEP_2)
	v_mul_hi_u32 v13, v4, v11
	v_mul_lo_u32 v19, v4, v10
	v_mul_hi_u32 v20, v4, v10
	v_mul_hi_u32 v22, v5, v11
	v_mul_lo_u32 v11, v5, v11
	v_mul_hi_u32 v23, v5, v10
	v_mul_lo_u32 v10, v5, v10
	v_add_co_u32 v13, vcc_lo, v13, v19
	v_add_co_ci_u32_e32 v19, vcc_lo, 0, v20, vcc_lo
	s_delay_alu instid0(VALU_DEP_2) | instskip(NEXT) | instid1(VALU_DEP_2)
	v_add_co_u32 v11, vcc_lo, v13, v11
	v_add_co_ci_u32_e32 v11, vcc_lo, v19, v22, vcc_lo
	v_add_co_ci_u32_e32 v13, vcc_lo, 0, v23, vcc_lo
	v_add_co_u32 v6, vcc_lo, v6, v21
	v_add_co_ci_u32_e32 v7, vcc_lo, v7, v21, vcc_lo
	s_delay_alu instid0(VALU_DEP_4) | instskip(NEXT) | instid1(VALU_DEP_4)
	v_add_co_u32 v10, vcc_lo, v11, v10
	v_add_co_ci_u32_e32 v11, vcc_lo, 0, v13, vcc_lo
	s_delay_alu instid0(VALU_DEP_4) | instskip(NEXT) | instid1(VALU_DEP_3)
	v_xor_b32_e32 v13, v6, v21
	v_add_co_u32 v10, vcc_lo, v4, v10
	s_delay_alu instid0(VALU_DEP_3) | instskip(SKIP_1) | instid1(VALU_DEP_3)
	v_add_co_ci_u32_e32 v19, vcc_lo, v5, v11, vcc_lo
	v_xor_b32_e32 v20, v7, v21
	v_mul_hi_u32 v22, v13, v10
	s_delay_alu instid0(VALU_DEP_3) | instskip(NEXT) | instid1(VALU_DEP_3)
	v_mad_u64_u32 v[4:5], null, v13, v19, 0
	v_mad_u64_u32 v[6:7], null, v20, v10, 0
	;; [unrolled: 1-line block ×3, first 2 shown]
	s_delay_alu instid0(VALU_DEP_3) | instskip(NEXT) | instid1(VALU_DEP_4)
	v_add_co_u32 v4, vcc_lo, v22, v4
	v_add_co_ci_u32_e32 v5, vcc_lo, 0, v5, vcc_lo
	s_delay_alu instid0(VALU_DEP_2) | instskip(NEXT) | instid1(VALU_DEP_2)
	v_add_co_u32 v4, vcc_lo, v4, v6
	v_add_co_ci_u32_e32 v4, vcc_lo, v5, v7, vcc_lo
	v_add_co_ci_u32_e32 v5, vcc_lo, 0, v11, vcc_lo
	s_delay_alu instid0(VALU_DEP_2) | instskip(NEXT) | instid1(VALU_DEP_2)
	v_add_co_u32 v6, vcc_lo, v4, v10
	v_add_co_ci_u32_e32 v7, vcc_lo, 0, v5, vcc_lo
	s_delay_alu instid0(VALU_DEP_2) | instskip(SKIP_1) | instid1(VALU_DEP_3)
	v_mul_lo_u32 v10, s5, v6
	v_mad_u64_u32 v[4:5], null, s4, v6, 0
	v_mul_lo_u32 v11, s4, v7
	s_delay_alu instid0(VALU_DEP_2) | instskip(NEXT) | instid1(VALU_DEP_2)
	v_sub_co_u32 v4, vcc_lo, v13, v4
	v_add3_u32 v5, v5, v11, v10
	s_delay_alu instid0(VALU_DEP_1) | instskip(NEXT) | instid1(VALU_DEP_1)
	v_sub_nc_u32_e32 v10, v20, v5
	v_subrev_co_ci_u32_e64 v10, s0, s5, v10, vcc_lo
	v_add_co_u32 v11, s0, v6, 2
	s_delay_alu instid0(VALU_DEP_1) | instskip(SKIP_3) | instid1(VALU_DEP_3)
	v_add_co_ci_u32_e64 v13, s0, 0, v7, s0
	v_sub_co_u32 v19, s0, v4, s4
	v_sub_co_ci_u32_e32 v5, vcc_lo, v20, v5, vcc_lo
	v_subrev_co_ci_u32_e64 v10, s0, 0, v10, s0
	v_cmp_le_u32_e32 vcc_lo, s4, v19
	s_delay_alu instid0(VALU_DEP_3) | instskip(SKIP_1) | instid1(VALU_DEP_4)
	v_cmp_eq_u32_e64 s0, s5, v5
	v_cndmask_b32_e64 v19, 0, -1, vcc_lo
	v_cmp_le_u32_e32 vcc_lo, s5, v10
	v_cndmask_b32_e64 v20, 0, -1, vcc_lo
	v_cmp_le_u32_e32 vcc_lo, s4, v4
	;; [unrolled: 2-line block ×3, first 2 shown]
	v_cndmask_b32_e64 v22, 0, -1, vcc_lo
	v_cmp_eq_u32_e32 vcc_lo, s5, v10
	s_delay_alu instid0(VALU_DEP_2) | instskip(SKIP_3) | instid1(VALU_DEP_3)
	v_cndmask_b32_e64 v4, v22, v4, s0
	v_cndmask_b32_e32 v10, v20, v19, vcc_lo
	v_add_co_u32 v19, vcc_lo, v6, 1
	v_add_co_ci_u32_e32 v20, vcc_lo, 0, v7, vcc_lo
	v_cmp_ne_u32_e32 vcc_lo, 0, v10
	s_delay_alu instid0(VALU_DEP_2) | instskip(SKIP_2) | instid1(VALU_DEP_3)
	v_dual_cndmask_b32 v5, v20, v13 :: v_dual_cndmask_b32 v10, v19, v11
	v_cmp_ne_u32_e32 vcc_lo, 0, v4
	v_xor_b32_e32 v11, s2, v21
	v_dual_cndmask_b32 v4, v7, v5 :: v_dual_cndmask_b32 v5, v6, v10
	s_delay_alu instid0(VALU_DEP_1) | instskip(NEXT) | instid1(VALU_DEP_2)
	v_xor_b32_e32 v6, v4, v11
	v_xor_b32_e32 v5, v5, v11
	s_delay_alu instid0(VALU_DEP_1) | instskip(NEXT) | instid1(VALU_DEP_3)
	v_sub_co_u32 v4, vcc_lo, v5, v11
	v_sub_co_ci_u32_e32 v5, vcc_lo, v6, v11, vcc_lo
.LBB51_43:                              ;   in Loop: Header=BB51_41 Depth=1
	s_and_not1_saveexec_b32 s0, s12
; %bb.44:                               ;   in Loop: Header=BB51_41 Depth=1
	v_mul_hi_u32 v4, v6, v18
	s_delay_alu instid0(VALU_DEP_1) | instskip(NEXT) | instid1(VALU_DEP_1)
	v_mul_lo_u32 v5, v4, s8
	v_sub_nc_u32_e32 v5, v6, v5
	s_delay_alu instid0(VALU_DEP_1) | instskip(SKIP_1) | instid1(VALU_DEP_2)
	v_subrev_nc_u32_e32 v7, s8, v5
	v_cmp_le_u32_e32 vcc_lo, s8, v5
	v_dual_cndmask_b32 v5, v5, v7 :: v_dual_add_nc_u32 v6, 1, v4
	s_delay_alu instid0(VALU_DEP_1) | instskip(NEXT) | instid1(VALU_DEP_2)
	v_cndmask_b32_e32 v4, v4, v6, vcc_lo
	v_cmp_le_u32_e32 vcc_lo, s8, v5
	s_delay_alu instid0(VALU_DEP_2) | instskip(NEXT) | instid1(VALU_DEP_1)
	v_dual_mov_b32 v5, v12 :: v_dual_add_nc_u32 v6, 1, v4
	v_cndmask_b32_e32 v4, v4, v6, vcc_lo
; %bb.45:                               ;   in Loop: Header=BB51_41 Depth=1
	s_or_b32 exec_lo, exec_lo, s0
	v_or_b32_e32 v13, s9, v9
	s_mov_b32 s0, exec_lo
	s_delay_alu instid0(VALU_DEP_1)
	v_cmpx_ne_u64_e32 0, v[12:13]
	s_xor_b32 s12, exec_lo, s0
	s_cbranch_execz .LBB51_47
; %bb.46:                               ;   in Loop: Header=BB51_41 Depth=1
	s_add_u32 s4, s8, s2
	s_mov_b32 s3, s2
	s_addc_u32 s5, s9, s2
	s_delay_alu instid0(SALU_CYCLE_1) | instskip(NEXT) | instid1(SALU_CYCLE_1)
	s_xor_b64 s[4:5], s[4:5], s[2:3]
	v_cvt_f32_u32_e32 v6, s4
	v_cvt_f32_u32_e32 v7, s5
	s_sub_u32 s0, 0, s4
	s_subb_u32 s3, 0, s5
	s_delay_alu instid0(VALU_DEP_1) | instskip(NEXT) | instid1(VALU_DEP_1)
	v_fmac_f32_e32 v6, 0x4f800000, v7
	v_rcp_f32_e32 v6, v6
	s_waitcnt_depctr 0xfff
	v_mul_f32_e32 v6, 0x5f7ffffc, v6
	s_delay_alu instid0(VALU_DEP_1) | instskip(NEXT) | instid1(VALU_DEP_1)
	v_mul_f32_e32 v7, 0x2f800000, v6
	v_trunc_f32_e32 v7, v7
	s_delay_alu instid0(VALU_DEP_1) | instskip(SKIP_1) | instid1(VALU_DEP_2)
	v_fmac_f32_e32 v6, 0xcf800000, v7
	v_cvt_u32_f32_e32 v7, v7
	v_cvt_u32_f32_e32 v6, v6
	s_delay_alu instid0(VALU_DEP_2) | instskip(NEXT) | instid1(VALU_DEP_2)
	v_mul_lo_u32 v10, s0, v7
	v_mul_hi_u32 v11, s0, v6
	v_mul_lo_u32 v13, s3, v6
	s_delay_alu instid0(VALU_DEP_2) | instskip(SKIP_1) | instid1(VALU_DEP_2)
	v_add_nc_u32_e32 v10, v11, v10
	v_mul_lo_u32 v11, s0, v6
	v_add_nc_u32_e32 v10, v10, v13
	s_delay_alu instid0(VALU_DEP_2) | instskip(NEXT) | instid1(VALU_DEP_2)
	v_mul_hi_u32 v13, v6, v11
	v_mul_lo_u32 v19, v6, v10
	v_mul_hi_u32 v20, v6, v10
	v_mul_hi_u32 v21, v7, v11
	v_mul_lo_u32 v11, v7, v11
	v_mul_hi_u32 v22, v7, v10
	v_mul_lo_u32 v10, v7, v10
	v_add_co_u32 v13, vcc_lo, v13, v19
	v_add_co_ci_u32_e32 v19, vcc_lo, 0, v20, vcc_lo
	s_delay_alu instid0(VALU_DEP_2) | instskip(NEXT) | instid1(VALU_DEP_2)
	v_add_co_u32 v11, vcc_lo, v13, v11
	v_add_co_ci_u32_e32 v11, vcc_lo, v19, v21, vcc_lo
	v_add_co_ci_u32_e32 v13, vcc_lo, 0, v22, vcc_lo
	v_ashrrev_i32_e32 v21, 31, v9
	s_delay_alu instid0(VALU_DEP_3) | instskip(NEXT) | instid1(VALU_DEP_3)
	v_add_co_u32 v10, vcc_lo, v11, v10
	v_add_co_ci_u32_e32 v11, vcc_lo, 0, v13, vcc_lo
	s_delay_alu instid0(VALU_DEP_2) | instskip(NEXT) | instid1(VALU_DEP_2)
	v_add_co_u32 v6, vcc_lo, v6, v10
	v_add_co_ci_u32_e32 v7, vcc_lo, v7, v11, vcc_lo
	s_delay_alu instid0(VALU_DEP_2) | instskip(SKIP_1) | instid1(VALU_DEP_3)
	v_mul_hi_u32 v10, s0, v6
	v_mul_lo_u32 v13, s3, v6
	v_mul_lo_u32 v11, s0, v7
	s_delay_alu instid0(VALU_DEP_1) | instskip(SKIP_1) | instid1(VALU_DEP_2)
	v_add_nc_u32_e32 v10, v10, v11
	v_mul_lo_u32 v11, s0, v6
	v_add_nc_u32_e32 v10, v10, v13
	s_delay_alu instid0(VALU_DEP_2) | instskip(NEXT) | instid1(VALU_DEP_2)
	v_mul_hi_u32 v13, v6, v11
	v_mul_lo_u32 v19, v6, v10
	v_mul_hi_u32 v20, v6, v10
	v_mul_hi_u32 v22, v7, v11
	v_mul_lo_u32 v11, v7, v11
	v_mul_hi_u32 v23, v7, v10
	v_mul_lo_u32 v10, v7, v10
	v_add_co_u32 v13, vcc_lo, v13, v19
	v_add_co_ci_u32_e32 v19, vcc_lo, 0, v20, vcc_lo
	s_delay_alu instid0(VALU_DEP_2) | instskip(NEXT) | instid1(VALU_DEP_2)
	v_add_co_u32 v11, vcc_lo, v13, v11
	v_add_co_ci_u32_e32 v11, vcc_lo, v19, v22, vcc_lo
	v_add_co_ci_u32_e32 v13, vcc_lo, 0, v23, vcc_lo
	v_add_co_u32 v8, vcc_lo, v8, v21
	v_add_co_ci_u32_e32 v9, vcc_lo, v9, v21, vcc_lo
	s_delay_alu instid0(VALU_DEP_4) | instskip(NEXT) | instid1(VALU_DEP_4)
	v_add_co_u32 v10, vcc_lo, v11, v10
	v_add_co_ci_u32_e32 v11, vcc_lo, 0, v13, vcc_lo
	s_delay_alu instid0(VALU_DEP_4) | instskip(NEXT) | instid1(VALU_DEP_3)
	v_xor_b32_e32 v13, v8, v21
	v_add_co_u32 v10, vcc_lo, v6, v10
	s_delay_alu instid0(VALU_DEP_3) | instskip(SKIP_1) | instid1(VALU_DEP_3)
	v_add_co_ci_u32_e32 v19, vcc_lo, v7, v11, vcc_lo
	v_xor_b32_e32 v20, v9, v21
	v_mul_hi_u32 v22, v13, v10
	s_delay_alu instid0(VALU_DEP_3) | instskip(NEXT) | instid1(VALU_DEP_3)
	v_mad_u64_u32 v[6:7], null, v13, v19, 0
	v_mad_u64_u32 v[8:9], null, v20, v10, 0
	;; [unrolled: 1-line block ×3, first 2 shown]
	s_delay_alu instid0(VALU_DEP_3) | instskip(NEXT) | instid1(VALU_DEP_4)
	v_add_co_u32 v6, vcc_lo, v22, v6
	v_add_co_ci_u32_e32 v7, vcc_lo, 0, v7, vcc_lo
	s_delay_alu instid0(VALU_DEP_2) | instskip(NEXT) | instid1(VALU_DEP_2)
	v_add_co_u32 v6, vcc_lo, v6, v8
	v_add_co_ci_u32_e32 v6, vcc_lo, v7, v9, vcc_lo
	v_add_co_ci_u32_e32 v7, vcc_lo, 0, v11, vcc_lo
	s_delay_alu instid0(VALU_DEP_2) | instskip(NEXT) | instid1(VALU_DEP_2)
	v_add_co_u32 v8, vcc_lo, v6, v10
	v_add_co_ci_u32_e32 v9, vcc_lo, 0, v7, vcc_lo
	s_delay_alu instid0(VALU_DEP_2) | instskip(SKIP_1) | instid1(VALU_DEP_3)
	v_mul_lo_u32 v10, s5, v8
	v_mad_u64_u32 v[6:7], null, s4, v8, 0
	v_mul_lo_u32 v11, s4, v9
	s_delay_alu instid0(VALU_DEP_2) | instskip(NEXT) | instid1(VALU_DEP_2)
	v_sub_co_u32 v6, vcc_lo, v13, v6
	v_add3_u32 v7, v7, v11, v10
	s_delay_alu instid0(VALU_DEP_1) | instskip(NEXT) | instid1(VALU_DEP_1)
	v_sub_nc_u32_e32 v10, v20, v7
	v_subrev_co_ci_u32_e64 v10, s0, s5, v10, vcc_lo
	v_add_co_u32 v11, s0, v8, 2
	s_delay_alu instid0(VALU_DEP_1) | instskip(SKIP_3) | instid1(VALU_DEP_3)
	v_add_co_ci_u32_e64 v13, s0, 0, v9, s0
	v_sub_co_u32 v19, s0, v6, s4
	v_sub_co_ci_u32_e32 v7, vcc_lo, v20, v7, vcc_lo
	v_subrev_co_ci_u32_e64 v10, s0, 0, v10, s0
	v_cmp_le_u32_e32 vcc_lo, s4, v19
	s_delay_alu instid0(VALU_DEP_3) | instskip(SKIP_1) | instid1(VALU_DEP_4)
	v_cmp_eq_u32_e64 s0, s5, v7
	v_cndmask_b32_e64 v19, 0, -1, vcc_lo
	v_cmp_le_u32_e32 vcc_lo, s5, v10
	v_cndmask_b32_e64 v20, 0, -1, vcc_lo
	v_cmp_le_u32_e32 vcc_lo, s4, v6
	;; [unrolled: 2-line block ×3, first 2 shown]
	v_cndmask_b32_e64 v22, 0, -1, vcc_lo
	v_cmp_eq_u32_e32 vcc_lo, s5, v10
	s_delay_alu instid0(VALU_DEP_2) | instskip(SKIP_3) | instid1(VALU_DEP_3)
	v_cndmask_b32_e64 v6, v22, v6, s0
	v_cndmask_b32_e32 v10, v20, v19, vcc_lo
	v_add_co_u32 v19, vcc_lo, v8, 1
	v_add_co_ci_u32_e32 v20, vcc_lo, 0, v9, vcc_lo
	v_cmp_ne_u32_e32 vcc_lo, 0, v10
	s_delay_alu instid0(VALU_DEP_2) | instskip(SKIP_2) | instid1(VALU_DEP_3)
	v_dual_cndmask_b32 v7, v20, v13 :: v_dual_cndmask_b32 v10, v19, v11
	v_cmp_ne_u32_e32 vcc_lo, 0, v6
	v_xor_b32_e32 v11, s2, v21
	v_dual_cndmask_b32 v6, v9, v7 :: v_dual_cndmask_b32 v7, v8, v10
	s_delay_alu instid0(VALU_DEP_1) | instskip(NEXT) | instid1(VALU_DEP_2)
	v_xor_b32_e32 v8, v6, v11
	v_xor_b32_e32 v7, v7, v11
	s_delay_alu instid0(VALU_DEP_1) | instskip(NEXT) | instid1(VALU_DEP_3)
	v_sub_co_u32 v6, vcc_lo, v7, v11
	v_sub_co_ci_u32_e32 v7, vcc_lo, v8, v11, vcc_lo
                                        ; implicit-def: $vgpr8_vgpr9
.LBB51_47:                              ;   in Loop: Header=BB51_41 Depth=1
	s_and_not1_saveexec_b32 s0, s12
; %bb.48:                               ;   in Loop: Header=BB51_41 Depth=1
	v_mul_hi_u32 v6, v8, v18
	s_delay_alu instid0(VALU_DEP_1) | instskip(NEXT) | instid1(VALU_DEP_1)
	v_mul_lo_u32 v7, v6, s8
	v_sub_nc_u32_e32 v7, v8, v7
	s_delay_alu instid0(VALU_DEP_1) | instskip(SKIP_1) | instid1(VALU_DEP_2)
	v_subrev_nc_u32_e32 v9, s8, v7
	v_cmp_le_u32_e32 vcc_lo, s8, v7
	v_dual_cndmask_b32 v7, v7, v9 :: v_dual_add_nc_u32 v8, 1, v6
	s_delay_alu instid0(VALU_DEP_1) | instskip(NEXT) | instid1(VALU_DEP_2)
	v_cndmask_b32_e32 v6, v6, v8, vcc_lo
	v_cmp_le_u32_e32 vcc_lo, s8, v7
	s_delay_alu instid0(VALU_DEP_2) | instskip(NEXT) | instid1(VALU_DEP_1)
	v_dual_mov_b32 v7, v12 :: v_dual_add_nc_u32 v8, 1, v6
	v_cndmask_b32_e32 v6, v6, v8, vcc_lo
; %bb.49:                               ;   in Loop: Header=BB51_41 Depth=1
	s_or_b32 exec_lo, exec_lo, s0
	s_waitcnt vmcnt(0)
	v_or_b32_e32 v13, s9, v1
                                        ; implicit-def: $vgpr8_vgpr9
	s_mov_b32 s0, exec_lo
	s_delay_alu instid0(VALU_DEP_1)
	v_cmpx_ne_u64_e32 0, v[12:13]
	s_xor_b32 s12, exec_lo, s0
	s_cbranch_execz .LBB51_51
; %bb.50:                               ;   in Loop: Header=BB51_41 Depth=1
	s_add_u32 s4, s8, s2
	s_mov_b32 s3, s2
	s_addc_u32 s5, s9, s2
	s_delay_alu instid0(SALU_CYCLE_1) | instskip(NEXT) | instid1(SALU_CYCLE_1)
	s_xor_b64 s[4:5], s[4:5], s[2:3]
	v_cvt_f32_u32_e32 v8, s4
	v_cvt_f32_u32_e32 v9, s5
	s_sub_u32 s0, 0, s4
	s_subb_u32 s3, 0, s5
	s_delay_alu instid0(VALU_DEP_1) | instskip(NEXT) | instid1(VALU_DEP_1)
	v_fmac_f32_e32 v8, 0x4f800000, v9
	v_rcp_f32_e32 v8, v8
	s_waitcnt_depctr 0xfff
	v_mul_f32_e32 v8, 0x5f7ffffc, v8
	s_delay_alu instid0(VALU_DEP_1) | instskip(NEXT) | instid1(VALU_DEP_1)
	v_mul_f32_e32 v9, 0x2f800000, v8
	v_trunc_f32_e32 v9, v9
	s_delay_alu instid0(VALU_DEP_1) | instskip(SKIP_1) | instid1(VALU_DEP_2)
	v_fmac_f32_e32 v8, 0xcf800000, v9
	v_cvt_u32_f32_e32 v9, v9
	v_cvt_u32_f32_e32 v8, v8
	s_delay_alu instid0(VALU_DEP_2) | instskip(NEXT) | instid1(VALU_DEP_2)
	v_mul_lo_u32 v10, s0, v9
	v_mul_hi_u32 v11, s0, v8
	v_mul_lo_u32 v13, s3, v8
	s_delay_alu instid0(VALU_DEP_2) | instskip(SKIP_1) | instid1(VALU_DEP_2)
	v_add_nc_u32_e32 v10, v11, v10
	v_mul_lo_u32 v11, s0, v8
	v_add_nc_u32_e32 v10, v10, v13
	s_delay_alu instid0(VALU_DEP_2) | instskip(NEXT) | instid1(VALU_DEP_2)
	v_mul_hi_u32 v13, v8, v11
	v_mul_lo_u32 v19, v8, v10
	v_mul_hi_u32 v20, v8, v10
	v_mul_hi_u32 v21, v9, v11
	v_mul_lo_u32 v11, v9, v11
	v_mul_hi_u32 v22, v9, v10
	v_mul_lo_u32 v10, v9, v10
	v_add_co_u32 v13, vcc_lo, v13, v19
	v_add_co_ci_u32_e32 v19, vcc_lo, 0, v20, vcc_lo
	s_delay_alu instid0(VALU_DEP_2) | instskip(NEXT) | instid1(VALU_DEP_2)
	v_add_co_u32 v11, vcc_lo, v13, v11
	v_add_co_ci_u32_e32 v11, vcc_lo, v19, v21, vcc_lo
	v_add_co_ci_u32_e32 v13, vcc_lo, 0, v22, vcc_lo
	v_ashrrev_i32_e32 v21, 31, v1
	s_delay_alu instid0(VALU_DEP_3) | instskip(NEXT) | instid1(VALU_DEP_3)
	v_add_co_u32 v10, vcc_lo, v11, v10
	v_add_co_ci_u32_e32 v11, vcc_lo, 0, v13, vcc_lo
	s_delay_alu instid0(VALU_DEP_2) | instskip(NEXT) | instid1(VALU_DEP_2)
	v_add_co_u32 v8, vcc_lo, v8, v10
	v_add_co_ci_u32_e32 v9, vcc_lo, v9, v11, vcc_lo
	s_delay_alu instid0(VALU_DEP_2) | instskip(SKIP_1) | instid1(VALU_DEP_3)
	v_mul_hi_u32 v10, s0, v8
	v_mul_lo_u32 v13, s3, v8
	v_mul_lo_u32 v11, s0, v9
	s_delay_alu instid0(VALU_DEP_1) | instskip(SKIP_1) | instid1(VALU_DEP_2)
	v_add_nc_u32_e32 v10, v10, v11
	v_mul_lo_u32 v11, s0, v8
	v_add_nc_u32_e32 v10, v10, v13
	s_delay_alu instid0(VALU_DEP_2) | instskip(NEXT) | instid1(VALU_DEP_2)
	v_mul_hi_u32 v13, v8, v11
	v_mul_lo_u32 v19, v8, v10
	v_mul_hi_u32 v20, v8, v10
	v_mul_hi_u32 v22, v9, v11
	v_mul_lo_u32 v11, v9, v11
	v_mul_hi_u32 v23, v9, v10
	v_mul_lo_u32 v10, v9, v10
	v_add_co_u32 v13, vcc_lo, v13, v19
	v_add_co_ci_u32_e32 v19, vcc_lo, 0, v20, vcc_lo
	s_delay_alu instid0(VALU_DEP_2) | instskip(NEXT) | instid1(VALU_DEP_2)
	v_add_co_u32 v11, vcc_lo, v13, v11
	v_add_co_ci_u32_e32 v11, vcc_lo, v19, v22, vcc_lo
	v_add_co_ci_u32_e32 v13, vcc_lo, 0, v23, vcc_lo
	v_add_co_u32 v0, vcc_lo, v0, v21
	v_add_co_ci_u32_e32 v1, vcc_lo, v1, v21, vcc_lo
	s_delay_alu instid0(VALU_DEP_4) | instskip(NEXT) | instid1(VALU_DEP_4)
	v_add_co_u32 v10, vcc_lo, v11, v10
	v_add_co_ci_u32_e32 v11, vcc_lo, 0, v13, vcc_lo
	s_delay_alu instid0(VALU_DEP_4) | instskip(NEXT) | instid1(VALU_DEP_3)
	v_xor_b32_e32 v13, v0, v21
	v_add_co_u32 v10, vcc_lo, v8, v10
	s_delay_alu instid0(VALU_DEP_3) | instskip(SKIP_1) | instid1(VALU_DEP_3)
	v_add_co_ci_u32_e32 v19, vcc_lo, v9, v11, vcc_lo
	v_xor_b32_e32 v20, v1, v21
	v_mul_hi_u32 v22, v13, v10
	s_delay_alu instid0(VALU_DEP_3) | instskip(NEXT) | instid1(VALU_DEP_3)
	v_mad_u64_u32 v[0:1], null, v13, v19, 0
	v_mad_u64_u32 v[8:9], null, v20, v10, 0
	;; [unrolled: 1-line block ×3, first 2 shown]
	s_delay_alu instid0(VALU_DEP_3) | instskip(NEXT) | instid1(VALU_DEP_4)
	v_add_co_u32 v0, vcc_lo, v22, v0
	v_add_co_ci_u32_e32 v1, vcc_lo, 0, v1, vcc_lo
	s_delay_alu instid0(VALU_DEP_2) | instskip(NEXT) | instid1(VALU_DEP_2)
	v_add_co_u32 v0, vcc_lo, v0, v8
	v_add_co_ci_u32_e32 v0, vcc_lo, v1, v9, vcc_lo
	v_add_co_ci_u32_e32 v1, vcc_lo, 0, v11, vcc_lo
	s_delay_alu instid0(VALU_DEP_2) | instskip(NEXT) | instid1(VALU_DEP_2)
	v_add_co_u32 v8, vcc_lo, v0, v10
	v_add_co_ci_u32_e32 v9, vcc_lo, 0, v1, vcc_lo
	s_delay_alu instid0(VALU_DEP_2) | instskip(SKIP_1) | instid1(VALU_DEP_3)
	v_mul_lo_u32 v10, s5, v8
	v_mad_u64_u32 v[0:1], null, s4, v8, 0
	v_mul_lo_u32 v11, s4, v9
	s_delay_alu instid0(VALU_DEP_2) | instskip(NEXT) | instid1(VALU_DEP_2)
	v_sub_co_u32 v0, vcc_lo, v13, v0
	v_add3_u32 v1, v1, v11, v10
	s_delay_alu instid0(VALU_DEP_1) | instskip(NEXT) | instid1(VALU_DEP_1)
	v_sub_nc_u32_e32 v10, v20, v1
	v_subrev_co_ci_u32_e64 v10, s0, s5, v10, vcc_lo
	v_add_co_u32 v11, s0, v8, 2
	s_delay_alu instid0(VALU_DEP_1) | instskip(SKIP_3) | instid1(VALU_DEP_3)
	v_add_co_ci_u32_e64 v13, s0, 0, v9, s0
	v_sub_co_u32 v19, s0, v0, s4
	v_sub_co_ci_u32_e32 v1, vcc_lo, v20, v1, vcc_lo
	v_subrev_co_ci_u32_e64 v10, s0, 0, v10, s0
	v_cmp_le_u32_e32 vcc_lo, s4, v19
	s_delay_alu instid0(VALU_DEP_3) | instskip(SKIP_1) | instid1(VALU_DEP_4)
	v_cmp_eq_u32_e64 s0, s5, v1
	v_cndmask_b32_e64 v19, 0, -1, vcc_lo
	v_cmp_le_u32_e32 vcc_lo, s5, v10
	v_cndmask_b32_e64 v20, 0, -1, vcc_lo
	v_cmp_le_u32_e32 vcc_lo, s4, v0
	;; [unrolled: 2-line block ×3, first 2 shown]
	v_cndmask_b32_e64 v22, 0, -1, vcc_lo
	v_cmp_eq_u32_e32 vcc_lo, s5, v10
	s_delay_alu instid0(VALU_DEP_2) | instskip(SKIP_3) | instid1(VALU_DEP_3)
	v_cndmask_b32_e64 v0, v22, v0, s0
	v_cndmask_b32_e32 v10, v20, v19, vcc_lo
	v_add_co_u32 v19, vcc_lo, v8, 1
	v_add_co_ci_u32_e32 v20, vcc_lo, 0, v9, vcc_lo
	v_cmp_ne_u32_e32 vcc_lo, 0, v10
	s_delay_alu instid0(VALU_DEP_2) | instskip(SKIP_2) | instid1(VALU_DEP_3)
	v_dual_cndmask_b32 v1, v20, v13 :: v_dual_cndmask_b32 v10, v19, v11
	v_cmp_ne_u32_e32 vcc_lo, 0, v0
	v_xor_b32_e32 v0, s2, v21
	v_dual_cndmask_b32 v1, v9, v1 :: v_dual_cndmask_b32 v8, v8, v10
	s_delay_alu instid0(VALU_DEP_1) | instskip(NEXT) | instid1(VALU_DEP_2)
	v_xor_b32_e32 v1, v1, v0
	v_xor_b32_e32 v8, v8, v0
	s_delay_alu instid0(VALU_DEP_1) | instskip(NEXT) | instid1(VALU_DEP_3)
	v_sub_co_u32 v8, vcc_lo, v8, v0
	v_sub_co_ci_u32_e32 v9, vcc_lo, v1, v0, vcc_lo
.LBB51_51:                              ;   in Loop: Header=BB51_41 Depth=1
	s_and_not1_saveexec_b32 s0, s12
	s_cbranch_execz .LBB51_53
; %bb.52:                               ;   in Loop: Header=BB51_41 Depth=1
	v_mul_hi_u32 v1, v0, v18
	s_delay_alu instid0(VALU_DEP_1) | instskip(NEXT) | instid1(VALU_DEP_1)
	v_mul_lo_u32 v8, v1, s8
	v_sub_nc_u32_e32 v0, v0, v8
	v_add_nc_u32_e32 v8, 1, v1
	s_delay_alu instid0(VALU_DEP_2) | instskip(SKIP_1) | instid1(VALU_DEP_2)
	v_subrev_nc_u32_e32 v9, s8, v0
	v_cmp_le_u32_e32 vcc_lo, s8, v0
	v_cndmask_b32_e32 v0, v0, v9, vcc_lo
	v_mov_b32_e32 v9, v12
	v_cndmask_b32_e32 v1, v1, v8, vcc_lo
	s_delay_alu instid0(VALU_DEP_3) | instskip(NEXT) | instid1(VALU_DEP_2)
	v_cmp_le_u32_e32 vcc_lo, s8, v0
	v_add_nc_u32_e32 v8, 1, v1
	s_delay_alu instid0(VALU_DEP_1)
	v_cndmask_b32_e32 v8, v1, v8, vcc_lo
.LBB51_53:                              ;   in Loop: Header=BB51_41 Depth=1
	s_or_b32 exec_lo, exec_lo, s0
	v_or_b32_e32 v13, s9, v3
	s_mov_b32 s0, exec_lo
	s_delay_alu instid0(VALU_DEP_1)
	v_cmpx_ne_u64_e32 0, v[12:13]
	s_xor_b32 s12, exec_lo, s0
	s_cbranch_execz .LBB51_55
; %bb.54:                               ;   in Loop: Header=BB51_41 Depth=1
	s_add_u32 s4, s8, s2
	s_mov_b32 s3, s2
	s_addc_u32 s5, s9, s2
	s_delay_alu instid0(SALU_CYCLE_1) | instskip(NEXT) | instid1(SALU_CYCLE_1)
	s_xor_b64 s[4:5], s[4:5], s[2:3]
	v_cvt_f32_u32_e32 v0, s4
	v_cvt_f32_u32_e32 v1, s5
	s_sub_u32 s0, 0, s4
	s_subb_u32 s3, 0, s5
	s_delay_alu instid0(VALU_DEP_1) | instskip(NEXT) | instid1(VALU_DEP_1)
	v_fmac_f32_e32 v0, 0x4f800000, v1
	v_rcp_f32_e32 v0, v0
	s_waitcnt_depctr 0xfff
	v_mul_f32_e32 v0, 0x5f7ffffc, v0
	s_delay_alu instid0(VALU_DEP_1) | instskip(NEXT) | instid1(VALU_DEP_1)
	v_mul_f32_e32 v1, 0x2f800000, v0
	v_trunc_f32_e32 v1, v1
	s_delay_alu instid0(VALU_DEP_1) | instskip(SKIP_1) | instid1(VALU_DEP_2)
	v_fmac_f32_e32 v0, 0xcf800000, v1
	v_cvt_u32_f32_e32 v1, v1
	v_cvt_u32_f32_e32 v0, v0
	s_delay_alu instid0(VALU_DEP_2) | instskip(NEXT) | instid1(VALU_DEP_2)
	v_mul_lo_u32 v10, s0, v1
	v_mul_hi_u32 v11, s0, v0
	v_mul_lo_u32 v13, s3, v0
	s_delay_alu instid0(VALU_DEP_2) | instskip(SKIP_1) | instid1(VALU_DEP_2)
	v_add_nc_u32_e32 v10, v11, v10
	v_mul_lo_u32 v11, s0, v0
	v_add_nc_u32_e32 v10, v10, v13
	s_delay_alu instid0(VALU_DEP_2) | instskip(NEXT) | instid1(VALU_DEP_2)
	v_mul_hi_u32 v13, v0, v11
	v_mul_lo_u32 v19, v0, v10
	v_mul_hi_u32 v20, v0, v10
	v_mul_hi_u32 v21, v1, v11
	v_mul_lo_u32 v11, v1, v11
	v_mul_hi_u32 v22, v1, v10
	v_mul_lo_u32 v10, v1, v10
	v_add_co_u32 v13, vcc_lo, v13, v19
	v_add_co_ci_u32_e32 v19, vcc_lo, 0, v20, vcc_lo
	s_delay_alu instid0(VALU_DEP_2) | instskip(NEXT) | instid1(VALU_DEP_2)
	v_add_co_u32 v11, vcc_lo, v13, v11
	v_add_co_ci_u32_e32 v11, vcc_lo, v19, v21, vcc_lo
	v_add_co_ci_u32_e32 v13, vcc_lo, 0, v22, vcc_lo
	v_ashrrev_i32_e32 v21, 31, v3
	s_delay_alu instid0(VALU_DEP_3) | instskip(NEXT) | instid1(VALU_DEP_3)
	v_add_co_u32 v10, vcc_lo, v11, v10
	v_add_co_ci_u32_e32 v11, vcc_lo, 0, v13, vcc_lo
	s_delay_alu instid0(VALU_DEP_2) | instskip(NEXT) | instid1(VALU_DEP_2)
	v_add_co_u32 v0, vcc_lo, v0, v10
	v_add_co_ci_u32_e32 v1, vcc_lo, v1, v11, vcc_lo
	s_delay_alu instid0(VALU_DEP_2) | instskip(SKIP_1) | instid1(VALU_DEP_3)
	v_mul_hi_u32 v10, s0, v0
	v_mul_lo_u32 v13, s3, v0
	v_mul_lo_u32 v11, s0, v1
	s_delay_alu instid0(VALU_DEP_1) | instskip(SKIP_1) | instid1(VALU_DEP_2)
	v_add_nc_u32_e32 v10, v10, v11
	v_mul_lo_u32 v11, s0, v0
	v_add_nc_u32_e32 v10, v10, v13
	s_delay_alu instid0(VALU_DEP_2) | instskip(NEXT) | instid1(VALU_DEP_2)
	v_mul_hi_u32 v13, v0, v11
	v_mul_lo_u32 v19, v0, v10
	v_mul_hi_u32 v20, v0, v10
	v_mul_hi_u32 v22, v1, v11
	v_mul_lo_u32 v11, v1, v11
	v_mul_hi_u32 v23, v1, v10
	v_mul_lo_u32 v10, v1, v10
	v_add_co_u32 v13, vcc_lo, v13, v19
	v_add_co_ci_u32_e32 v19, vcc_lo, 0, v20, vcc_lo
	s_delay_alu instid0(VALU_DEP_2) | instskip(NEXT) | instid1(VALU_DEP_2)
	v_add_co_u32 v11, vcc_lo, v13, v11
	v_add_co_ci_u32_e32 v11, vcc_lo, v19, v22, vcc_lo
	v_add_co_ci_u32_e32 v13, vcc_lo, 0, v23, vcc_lo
	v_add_co_u32 v2, vcc_lo, v2, v21
	v_add_co_ci_u32_e32 v3, vcc_lo, v3, v21, vcc_lo
	s_delay_alu instid0(VALU_DEP_4) | instskip(NEXT) | instid1(VALU_DEP_4)
	v_add_co_u32 v10, vcc_lo, v11, v10
	v_add_co_ci_u32_e32 v11, vcc_lo, 0, v13, vcc_lo
	s_delay_alu instid0(VALU_DEP_4) | instskip(NEXT) | instid1(VALU_DEP_3)
	v_xor_b32_e32 v13, v2, v21
	v_add_co_u32 v10, vcc_lo, v0, v10
	s_delay_alu instid0(VALU_DEP_3) | instskip(SKIP_1) | instid1(VALU_DEP_3)
	v_add_co_ci_u32_e32 v19, vcc_lo, v1, v11, vcc_lo
	v_xor_b32_e32 v20, v3, v21
	v_mul_hi_u32 v22, v13, v10
	s_delay_alu instid0(VALU_DEP_3) | instskip(NEXT) | instid1(VALU_DEP_3)
	v_mad_u64_u32 v[0:1], null, v13, v19, 0
	v_mad_u64_u32 v[2:3], null, v20, v10, 0
	v_mad_u64_u32 v[10:11], null, v20, v19, 0
	s_delay_alu instid0(VALU_DEP_3) | instskip(NEXT) | instid1(VALU_DEP_4)
	v_add_co_u32 v0, vcc_lo, v22, v0
	v_add_co_ci_u32_e32 v1, vcc_lo, 0, v1, vcc_lo
	s_delay_alu instid0(VALU_DEP_2) | instskip(NEXT) | instid1(VALU_DEP_2)
	v_add_co_u32 v0, vcc_lo, v0, v2
	v_add_co_ci_u32_e32 v0, vcc_lo, v1, v3, vcc_lo
	v_add_co_ci_u32_e32 v1, vcc_lo, 0, v11, vcc_lo
	s_delay_alu instid0(VALU_DEP_2) | instskip(NEXT) | instid1(VALU_DEP_2)
	v_add_co_u32 v2, vcc_lo, v0, v10
	v_add_co_ci_u32_e32 v3, vcc_lo, 0, v1, vcc_lo
	s_delay_alu instid0(VALU_DEP_2) | instskip(SKIP_1) | instid1(VALU_DEP_3)
	v_mul_lo_u32 v10, s5, v2
	v_mad_u64_u32 v[0:1], null, s4, v2, 0
	v_mul_lo_u32 v11, s4, v3
	s_delay_alu instid0(VALU_DEP_2) | instskip(NEXT) | instid1(VALU_DEP_2)
	v_sub_co_u32 v0, vcc_lo, v13, v0
	v_add3_u32 v1, v1, v11, v10
	s_delay_alu instid0(VALU_DEP_1) | instskip(NEXT) | instid1(VALU_DEP_1)
	v_sub_nc_u32_e32 v10, v20, v1
	v_subrev_co_ci_u32_e64 v10, s0, s5, v10, vcc_lo
	v_add_co_u32 v11, s0, v2, 2
	s_delay_alu instid0(VALU_DEP_1) | instskip(SKIP_3) | instid1(VALU_DEP_3)
	v_add_co_ci_u32_e64 v13, s0, 0, v3, s0
	v_sub_co_u32 v19, s0, v0, s4
	v_sub_co_ci_u32_e32 v1, vcc_lo, v20, v1, vcc_lo
	v_subrev_co_ci_u32_e64 v10, s0, 0, v10, s0
	v_cmp_le_u32_e32 vcc_lo, s4, v19
	s_delay_alu instid0(VALU_DEP_3) | instskip(SKIP_1) | instid1(VALU_DEP_4)
	v_cmp_eq_u32_e64 s0, s5, v1
	v_cndmask_b32_e64 v19, 0, -1, vcc_lo
	v_cmp_le_u32_e32 vcc_lo, s5, v10
	v_cndmask_b32_e64 v20, 0, -1, vcc_lo
	v_cmp_le_u32_e32 vcc_lo, s4, v0
	;; [unrolled: 2-line block ×3, first 2 shown]
	v_cndmask_b32_e64 v22, 0, -1, vcc_lo
	v_cmp_eq_u32_e32 vcc_lo, s5, v10
	s_delay_alu instid0(VALU_DEP_2) | instskip(SKIP_3) | instid1(VALU_DEP_3)
	v_cndmask_b32_e64 v0, v22, v0, s0
	v_cndmask_b32_e32 v10, v20, v19, vcc_lo
	v_add_co_u32 v19, vcc_lo, v2, 1
	v_add_co_ci_u32_e32 v20, vcc_lo, 0, v3, vcc_lo
	v_cmp_ne_u32_e32 vcc_lo, 0, v10
	s_delay_alu instid0(VALU_DEP_2) | instskip(SKIP_2) | instid1(VALU_DEP_3)
	v_dual_cndmask_b32 v1, v20, v13 :: v_dual_cndmask_b32 v10, v19, v11
	v_cmp_ne_u32_e32 vcc_lo, 0, v0
	v_xor_b32_e32 v0, s2, v21
	v_dual_cndmask_b32 v1, v3, v1 :: v_dual_cndmask_b32 v2, v2, v10
	s_delay_alu instid0(VALU_DEP_1) | instskip(NEXT) | instid1(VALU_DEP_2)
	v_xor_b32_e32 v1, v1, v0
	v_xor_b32_e32 v2, v2, v0
	s_delay_alu instid0(VALU_DEP_1) | instskip(NEXT) | instid1(VALU_DEP_3)
	v_sub_co_u32 v10, vcc_lo, v2, v0
	v_sub_co_ci_u32_e32 v11, vcc_lo, v1, v0, vcc_lo
                                        ; implicit-def: $vgpr2_vgpr3
.LBB51_55:                              ;   in Loop: Header=BB51_41 Depth=1
	s_and_not1_saveexec_b32 s0, s12
	s_cbranch_execz .LBB51_40
; %bb.56:                               ;   in Loop: Header=BB51_41 Depth=1
	v_mul_hi_u32 v0, v2, v18
	v_mov_b32_e32 v11, v12
	s_delay_alu instid0(VALU_DEP_2) | instskip(NEXT) | instid1(VALU_DEP_1)
	v_mul_lo_u32 v1, v0, s8
	v_sub_nc_u32_e32 v1, v2, v1
	s_delay_alu instid0(VALU_DEP_1) | instskip(SKIP_1) | instid1(VALU_DEP_2)
	v_subrev_nc_u32_e32 v3, s8, v1
	v_cmp_le_u32_e32 vcc_lo, s8, v1
	v_dual_cndmask_b32 v1, v1, v3 :: v_dual_add_nc_u32 v2, 1, v0
	s_delay_alu instid0(VALU_DEP_1) | instskip(NEXT) | instid1(VALU_DEP_2)
	v_cndmask_b32_e32 v0, v0, v2, vcc_lo
	v_cmp_le_u32_e32 vcc_lo, s8, v1
	s_delay_alu instid0(VALU_DEP_2) | instskip(NEXT) | instid1(VALU_DEP_1)
	v_add_nc_u32_e32 v2, 1, v0
	v_cndmask_b32_e32 v10, v0, v2, vcc_lo
	s_branch .LBB51_40
.LBB51_57:
	s_nop 0
	s_sendmsg sendmsg(MSG_DEALLOC_VGPRS)
	s_endpgm
	.section	.rodata,"a",@progbits
	.p2align	6, 0x0
	.amdhsa_kernel _ZN2at6native12_GLOBAL__N_125multi_tensor_apply_kernelINS1_28TensorListScalarListMetadataIlLi1EEENS1_25BinaryOpScalarListFunctorIlLi1ELi1ELi0EEEJSt7dividesIlEEEEvT_T0_DpT1_
		.amdhsa_group_segment_fixed_size 0
		.amdhsa_private_segment_fixed_size 0
		.amdhsa_kernarg_size 4168
		.amdhsa_user_sgpr_count 15
		.amdhsa_user_sgpr_dispatch_ptr 0
		.amdhsa_user_sgpr_queue_ptr 0
		.amdhsa_user_sgpr_kernarg_segment_ptr 1
		.amdhsa_user_sgpr_dispatch_id 0
		.amdhsa_user_sgpr_private_segment_size 0
		.amdhsa_wavefront_size32 1
		.amdhsa_uses_dynamic_stack 0
		.amdhsa_enable_private_segment 0
		.amdhsa_system_sgpr_workgroup_id_x 1
		.amdhsa_system_sgpr_workgroup_id_y 0
		.amdhsa_system_sgpr_workgroup_id_z 0
		.amdhsa_system_sgpr_workgroup_info 0
		.amdhsa_system_vgpr_workitem_id 0
		.amdhsa_next_free_vgpr 31
		.amdhsa_next_free_sgpr 28
		.amdhsa_reserve_vcc 1
		.amdhsa_float_round_mode_32 0
		.amdhsa_float_round_mode_16_64 0
		.amdhsa_float_denorm_mode_32 3
		.amdhsa_float_denorm_mode_16_64 3
		.amdhsa_dx10_clamp 1
		.amdhsa_ieee_mode 1
		.amdhsa_fp16_overflow 0
		.amdhsa_workgroup_processor_mode 1
		.amdhsa_memory_ordered 1
		.amdhsa_forward_progress 0
		.amdhsa_shared_vgpr_count 0
		.amdhsa_exception_fp_ieee_invalid_op 0
		.amdhsa_exception_fp_denorm_src 0
		.amdhsa_exception_fp_ieee_div_zero 0
		.amdhsa_exception_fp_ieee_overflow 0
		.amdhsa_exception_fp_ieee_underflow 0
		.amdhsa_exception_fp_ieee_inexact 0
		.amdhsa_exception_int_div_zero 0
	.end_amdhsa_kernel
	.section	.text._ZN2at6native12_GLOBAL__N_125multi_tensor_apply_kernelINS1_28TensorListScalarListMetadataIlLi1EEENS1_25BinaryOpScalarListFunctorIlLi1ELi1ELi0EEEJSt7dividesIlEEEEvT_T0_DpT1_,"axG",@progbits,_ZN2at6native12_GLOBAL__N_125multi_tensor_apply_kernelINS1_28TensorListScalarListMetadataIlLi1EEENS1_25BinaryOpScalarListFunctorIlLi1ELi1ELi0EEEJSt7dividesIlEEEEvT_T0_DpT1_,comdat
.Lfunc_end51:
	.size	_ZN2at6native12_GLOBAL__N_125multi_tensor_apply_kernelINS1_28TensorListScalarListMetadataIlLi1EEENS1_25BinaryOpScalarListFunctorIlLi1ELi1ELi0EEEJSt7dividesIlEEEEvT_T0_DpT1_, .Lfunc_end51-_ZN2at6native12_GLOBAL__N_125multi_tensor_apply_kernelINS1_28TensorListScalarListMetadataIlLi1EEENS1_25BinaryOpScalarListFunctorIlLi1ELi1ELi0EEEJSt7dividesIlEEEEvT_T0_DpT1_
                                        ; -- End function
	.section	.AMDGPU.csdata,"",@progbits
; Kernel info:
; codeLenInByte = 8600
; NumSgprs: 30
; NumVgprs: 31
; ScratchSize: 0
; MemoryBound: 1
; FloatMode: 240
; IeeeMode: 1
; LDSByteSize: 0 bytes/workgroup (compile time only)
; SGPRBlocks: 3
; VGPRBlocks: 3
; NumSGPRsForWavesPerEU: 30
; NumVGPRsForWavesPerEU: 31
; Occupancy: 16
; WaveLimiterHint : 1
; COMPUTE_PGM_RSRC2:SCRATCH_EN: 0
; COMPUTE_PGM_RSRC2:USER_SGPR: 15
; COMPUTE_PGM_RSRC2:TRAP_HANDLER: 0
; COMPUTE_PGM_RSRC2:TGID_X_EN: 1
; COMPUTE_PGM_RSRC2:TGID_Y_EN: 0
; COMPUTE_PGM_RSRC2:TGID_Z_EN: 0
; COMPUTE_PGM_RSRC2:TIDIG_COMP_CNT: 0
	.section	.text._ZN2at6native12_GLOBAL__N_125multi_tensor_apply_kernelINS1_28TensorListScalarListMetadataIsLi1EEENS1_25BinaryOpScalarListFunctorIsLi1ELi1ELi0EEEJSt7dividesIsEEEEvT_T0_DpT1_,"axG",@progbits,_ZN2at6native12_GLOBAL__N_125multi_tensor_apply_kernelINS1_28TensorListScalarListMetadataIsLi1EEENS1_25BinaryOpScalarListFunctorIsLi1ELi1ELi0EEEJSt7dividesIsEEEEvT_T0_DpT1_,comdat
	.globl	_ZN2at6native12_GLOBAL__N_125multi_tensor_apply_kernelINS1_28TensorListScalarListMetadataIsLi1EEENS1_25BinaryOpScalarListFunctorIsLi1ELi1ELi0EEEJSt7dividesIsEEEEvT_T0_DpT1_ ; -- Begin function _ZN2at6native12_GLOBAL__N_125multi_tensor_apply_kernelINS1_28TensorListScalarListMetadataIsLi1EEENS1_25BinaryOpScalarListFunctorIsLi1ELi1ELi0EEEJSt7dividesIsEEEEvT_T0_DpT1_
	.p2align	8
	.type	_ZN2at6native12_GLOBAL__N_125multi_tensor_apply_kernelINS1_28TensorListScalarListMetadataIsLi1EEENS1_25BinaryOpScalarListFunctorIsLi1ELi1ELi0EEEJSt7dividesIsEEEEvT_T0_DpT1_,@function
_ZN2at6native12_GLOBAL__N_125multi_tensor_apply_kernelINS1_28TensorListScalarListMetadataIsLi1EEENS1_25BinaryOpScalarListFunctorIsLi1ELi1ELi0EEEJSt7dividesIsEEEEvT_T0_DpT1_: ; @_ZN2at6native12_GLOBAL__N_125multi_tensor_apply_kernelINS1_28TensorListScalarListMetadataIsLi1EEENS1_25BinaryOpScalarListFunctorIsLi1ELi1ELi0EEEJSt7dividesIsEEEEvT_T0_DpT1_
; %bb.0:
	v_mov_b32_e32 v1, s15
	s_add_u32 s2, s0, s15
	s_mul_i32 s3, s15, 3
	s_mul_hi_u32 s4, s15, 3
	s_addc_u32 s5, s1, 0
	global_load_u8 v1, v1, s[0:1] offset:1728
	s_add_u32 s2, s2, s3
	s_addc_u32 s3, s5, s4
	s_load_b32 s2, s[2:3], 0x800
	s_waitcnt vmcnt(0)
	v_readfirstlane_b32 s3, v1
	v_mul_lo_u32 v2, v1, -6
	v_mul_hi_i32 v3, v1, -6
	s_delay_alu instid0(VALU_DEP_3) | instskip(SKIP_4) | instid1(VALU_DEP_2)
	s_lshl_b32 s6, s3, 3
	s_waitcnt lgkmcnt(0)
	s_ashr_i32 s3, s2, 31
	s_add_u32 s7, s0, s6
	s_addc_u32 s8, s1, 0
	v_add_co_u32 v1, vcc_lo, s7, v2
	s_delay_alu instid0(VALU_DEP_2)
	v_add_co_ci_u32_e32 v2, vcc_lo, s8, v3, vcc_lo
	s_load_b64 s[4:5], s[0:1], s6 offset:0x300
	s_lshl_b64 s[10:11], s[2:3], 17
	s_lshl_b64 s[2:3], s[2:3], 16
	global_load_i16 v5, v[1:2], off offset:1536
	s_load_b64 s[8:9], s[0:1], s6 offset:0x0
	s_waitcnt lgkmcnt(0)
	s_and_b32 s12, s8, 7
	s_sub_u32 s6, s4, s2
	s_subb_u32 s7, s5, s3
	s_and_b32 s2, s4, 3
	s_mov_b32 s3, 0
	s_or_b32 s2, s12, s2
	s_delay_alu instid0(SALU_CYCLE_1)
	s_cmp_eq_u64 s[2:3], 0
	s_cbranch_scc1 .LBB52_21
; %bb.1:
	v_cmp_lt_i64_e64 s2, s[6:7], 1
	s_delay_alu instid0(VALU_DEP_1)
	s_and_b32 vcc_lo, exec_lo, s2
	s_cbranch_vccnz .LBB52_20
; %bb.2:
	s_load_b32 s2, s[0:1], 0xd14
	v_cmp_gt_u64_e64 s3, 0x10000, s[6:7]
	s_waitcnt vmcnt(0)
	v_cvt_f32_i32_e32 v6, v5
	v_lshlrev_b32_e32 v1, 1, v0
	s_delay_alu instid0(VALU_DEP_2)
	v_rcp_iflag_f32_e32 v7, v6
	s_waitcnt lgkmcnt(0)
	s_and_b32 s2, s2, 0xffff
	s_and_b32 s3, s3, exec_lo
	v_add_co_u32 v8, s5, v0, s2
	s_cselect_b32 s13, s7, 0
	s_cselect_b32 s12, s6, 0x10000
	s_lshl_b32 s3, s2, 1
	s_lshl_b32 s16, s2, 2
	v_lshlrev_b32_e32 v3, 1, v8
	v_add_co_ci_u32_e64 v9, null, 0, 0, s5
	s_add_u32 s5, s8, s10
	v_add_co_u32 v12, s3, s3, v0
	s_mul_i32 s4, s2, 3
	s_addc_u32 s14, s9, s11
	v_add_co_ci_u32_e64 v13, null, 0, 0, s3
	v_add_co_u32 v1, s3, s5, v1
	v_add_co_u32 v10, s4, s4, v0
	v_add_co_ci_u32_e64 v2, null, s14, 0, s3
	v_add_co_u32 v3, s3, s5, v3
	v_add_co_ci_u32_e64 v11, null, 0, 0, s4
	v_add_co_ci_u32_e64 v4, null, s14, 0, s3
	s_lshl_b32 s17, s2, 3
	s_mul_i32 s18, s2, 6
	s_mov_b64 s[14:15], 0
	s_branch .LBB52_4
.LBB52_3:                               ;   in Loop: Header=BB52_4 Depth=1
	s_or_b32 exec_lo, exec_lo, s2
	s_add_u32 s14, s14, s16
	s_addc_u32 s15, s15, 0
	v_add_co_u32 v1, vcc_lo, v1, s17
	v_cmp_lt_i64_e64 s2, s[14:15], s[6:7]
	v_cmp_gt_u64_e64 s3, 0x10000, s[14:15]
	v_add_co_ci_u32_e32 v2, vcc_lo, 0, v2, vcc_lo
	v_add_co_u32 v3, vcc_lo, v3, s17
	v_add_co_ci_u32_e32 v4, vcc_lo, 0, v4, vcc_lo
	s_delay_alu instid0(VALU_DEP_4) | instskip(NEXT) | instid1(SALU_CYCLE_1)
	s_and_b32 s2, s2, s3
	s_and_b32 vcc_lo, exec_lo, s2
	s_cbranch_vccz .LBB52_20
.LBB52_4:                               ; =>This Inner Loop Header: Depth=1
	s_waitcnt vmcnt(0)
	v_add_co_u32 v14, s2, v0, s14
	s_delay_alu instid0(VALU_DEP_1) | instskip(SKIP_1) | instid1(VALU_DEP_2)
	v_add_co_ci_u32_e64 v15, null, 0, s15, s2
	v_mov_b32_e32 v17, 0
	v_cmp_gt_u64_e64 s4, s[12:13], v[14:15]
	s_delay_alu instid0(VALU_DEP_1)
	s_and_saveexec_b32 s2, s4
	s_cbranch_execz .LBB52_6
; %bb.5:                                ;   in Loop: Header=BB52_4 Depth=1
	global_load_u16 v17, v[1:2], off
.LBB52_6:                               ;   in Loop: Header=BB52_4 Depth=1
	s_or_b32 exec_lo, exec_lo, s2
	v_add_co_u32 v14, vcc_lo, v8, s14
	v_add_co_ci_u32_e32 v15, vcc_lo, s15, v9, vcc_lo
	v_mov_b32_e32 v16, 0
	s_delay_alu instid0(VALU_DEP_2) | instskip(NEXT) | instid1(VALU_DEP_1)
	v_cmp_gt_u64_e64 s3, s[12:13], v[14:15]
	s_and_saveexec_b32 s2, s3
	s_cbranch_execz .LBB52_8
; %bb.7:                                ;   in Loop: Header=BB52_4 Depth=1
	global_load_u16 v16, v[3:4], off
.LBB52_8:                               ;   in Loop: Header=BB52_4 Depth=1
	s_or_b32 exec_lo, exec_lo, s2
	v_add_co_u32 v14, vcc_lo, v12, s14
	v_add_co_ci_u32_e32 v15, vcc_lo, s15, v13, vcc_lo
	s_delay_alu instid0(VALU_DEP_1) | instskip(SKIP_1) | instid1(VALU_DEP_2)
	v_cmp_gt_u64_e64 s2, s[12:13], v[14:15]
	v_dual_mov_b32 v14, 0 :: v_dual_mov_b32 v15, 0
	s_and_saveexec_b32 s5, s2
	s_cbranch_execz .LBB52_10
; %bb.9:                                ;   in Loop: Header=BB52_4 Depth=1
	v_add_co_u32 v18, vcc_lo, v1, s16
	v_add_co_ci_u32_e32 v19, vcc_lo, 0, v2, vcc_lo
	global_load_u16 v15, v[18:19], off
.LBB52_10:                              ;   in Loop: Header=BB52_4 Depth=1
	s_or_b32 exec_lo, exec_lo, s5
	v_add_co_u32 v18, vcc_lo, v10, s14
	v_add_co_ci_u32_e32 v19, vcc_lo, s15, v11, vcc_lo
	s_delay_alu instid0(VALU_DEP_1)
	v_cmp_gt_u64_e32 vcc_lo, s[12:13], v[18:19]
	s_and_saveexec_b32 s19, vcc_lo
	s_cbranch_execnz .LBB52_15
; %bb.11:                               ;   in Loop: Header=BB52_4 Depth=1
	s_or_b32 exec_lo, exec_lo, s19
	s_and_saveexec_b32 s5, s4
	s_cbranch_execnz .LBB52_16
.LBB52_12:                              ;   in Loop: Header=BB52_4 Depth=1
	s_or_b32 exec_lo, exec_lo, s5
	s_and_saveexec_b32 s4, s3
	s_cbranch_execnz .LBB52_17
.LBB52_13:                              ;   in Loop: Header=BB52_4 Depth=1
	s_or_b32 exec_lo, exec_lo, s4
	s_and_saveexec_b32 s3, s2
	s_cbranch_execnz .LBB52_18
.LBB52_14:                              ;   in Loop: Header=BB52_4 Depth=1
	s_or_b32 exec_lo, exec_lo, s3
	s_and_saveexec_b32 s2, vcc_lo
	s_cbranch_execz .LBB52_3
	s_branch .LBB52_19
.LBB52_15:                              ;   in Loop: Header=BB52_4 Depth=1
	v_add_co_u32 v18, s5, v1, s18
	s_delay_alu instid0(VALU_DEP_1)
	v_add_co_ci_u32_e64 v19, s5, 0, v2, s5
	global_load_u16 v14, v[18:19], off
	s_or_b32 exec_lo, exec_lo, s19
	s_and_saveexec_b32 s5, s4
	s_cbranch_execz .LBB52_12
.LBB52_16:                              ;   in Loop: Header=BB52_4 Depth=1
	s_waitcnt vmcnt(0)
	v_bfe_i32 v17, v17, 0, 16
	s_delay_alu instid0(VALU_DEP_1) | instskip(SKIP_1) | instid1(VALU_DEP_2)
	v_cvt_f32_i32_e32 v18, v17
	v_xor_b32_e32 v17, v17, v5
	v_mul_f32_e32 v19, v18, v7
	s_delay_alu instid0(VALU_DEP_2) | instskip(NEXT) | instid1(VALU_DEP_2)
	v_ashrrev_i32_e32 v17, 30, v17
	v_trunc_f32_e32 v19, v19
	s_delay_alu instid0(VALU_DEP_2) | instskip(NEXT) | instid1(VALU_DEP_2)
	v_or_b32_e32 v17, 1, v17
	v_fma_f32 v18, -v19, v6, v18
	v_cvt_i32_f32_e32 v19, v19
	s_delay_alu instid0(VALU_DEP_2) | instskip(NEXT) | instid1(VALU_DEP_1)
	v_cmp_ge_f32_e64 s4, |v18|, |v6|
	v_cndmask_b32_e64 v17, 0, v17, s4
	s_delay_alu instid0(VALU_DEP_1)
	v_add_nc_u32_e32 v17, v19, v17
	global_store_b16 v[1:2], v17, off
	s_or_b32 exec_lo, exec_lo, s5
	s_and_saveexec_b32 s4, s3
	s_cbranch_execz .LBB52_13
.LBB52_17:                              ;   in Loop: Header=BB52_4 Depth=1
	s_waitcnt vmcnt(0)
	v_bfe_i32 v16, v16, 0, 16
	s_delay_alu instid0(VALU_DEP_1) | instskip(SKIP_1) | instid1(VALU_DEP_2)
	v_cvt_f32_i32_e32 v17, v16
	v_xor_b32_e32 v16, v16, v5
	v_mul_f32_e32 v18, v17, v7
	s_delay_alu instid0(VALU_DEP_2) | instskip(NEXT) | instid1(VALU_DEP_2)
	v_ashrrev_i32_e32 v16, 30, v16
	v_trunc_f32_e32 v18, v18
	s_delay_alu instid0(VALU_DEP_2) | instskip(NEXT) | instid1(VALU_DEP_2)
	v_or_b32_e32 v16, 1, v16
	v_fma_f32 v17, -v18, v6, v17
	v_cvt_i32_f32_e32 v18, v18
	s_delay_alu instid0(VALU_DEP_2) | instskip(NEXT) | instid1(VALU_DEP_1)
	v_cmp_ge_f32_e64 s3, |v17|, |v6|
	v_cndmask_b32_e64 v16, 0, v16, s3
	s_delay_alu instid0(VALU_DEP_1)
	v_add_nc_u32_e32 v16, v18, v16
	global_store_b16 v[3:4], v16, off
	s_or_b32 exec_lo, exec_lo, s4
	s_and_saveexec_b32 s3, s2
	s_cbranch_execz .LBB52_14
.LBB52_18:                              ;   in Loop: Header=BB52_4 Depth=1
	s_waitcnt vmcnt(0)
	v_bfe_i32 v15, v15, 0, 16
	s_delay_alu instid0(VALU_DEP_1) | instskip(SKIP_1) | instid1(VALU_DEP_2)
	v_cvt_f32_i32_e32 v16, v15
	v_xor_b32_e32 v15, v15, v5
	v_mul_f32_e32 v17, v16, v7
	s_delay_alu instid0(VALU_DEP_2) | instskip(NEXT) | instid1(VALU_DEP_2)
	v_ashrrev_i32_e32 v15, 30, v15
	v_trunc_f32_e32 v17, v17
	s_delay_alu instid0(VALU_DEP_2) | instskip(NEXT) | instid1(VALU_DEP_2)
	v_or_b32_e32 v15, 1, v15
	v_fma_f32 v16, -v17, v6, v16
	v_cvt_i32_f32_e32 v17, v17
	s_delay_alu instid0(VALU_DEP_2) | instskip(NEXT) | instid1(VALU_DEP_1)
	v_cmp_ge_f32_e64 s2, |v16|, |v6|
	v_cndmask_b32_e64 v15, 0, v15, s2
	s_delay_alu instid0(VALU_DEP_1) | instskip(SKIP_1) | instid1(VALU_DEP_1)
	v_add_nc_u32_e32 v17, v17, v15
	v_add_co_u32 v15, s2, v1, s16
	v_add_co_ci_u32_e64 v16, s2, 0, v2, s2
	global_store_b16 v[15:16], v17, off
	s_or_b32 exec_lo, exec_lo, s3
	s_and_saveexec_b32 s2, vcc_lo
	s_cbranch_execz .LBB52_3
.LBB52_19:                              ;   in Loop: Header=BB52_4 Depth=1
	s_waitcnt vmcnt(0)
	v_bfe_i32 v14, v14, 0, 16
	s_delay_alu instid0(VALU_DEP_1) | instskip(SKIP_1) | instid1(VALU_DEP_2)
	v_cvt_f32_i32_e32 v15, v14
	v_xor_b32_e32 v14, v14, v5
	v_mul_f32_e32 v16, v15, v7
	s_delay_alu instid0(VALU_DEP_2) | instskip(NEXT) | instid1(VALU_DEP_2)
	v_ashrrev_i32_e32 v14, 30, v14
	v_trunc_f32_e32 v16, v16
	s_delay_alu instid0(VALU_DEP_2) | instskip(NEXT) | instid1(VALU_DEP_2)
	v_or_b32_e32 v14, 1, v14
	v_fma_f32 v15, -v16, v6, v15
	v_cvt_i32_f32_e32 v16, v16
	s_delay_alu instid0(VALU_DEP_2) | instskip(NEXT) | instid1(VALU_DEP_4)
	v_cmp_ge_f32_e64 vcc_lo, |v15|, |v6|
	v_cndmask_b32_e32 v14, 0, v14, vcc_lo
	s_delay_alu instid0(VALU_DEP_1)
	v_add_nc_u32_e32 v16, v16, v14
	v_add_co_u32 v14, vcc_lo, v1, s18
	v_add_co_ci_u32_e32 v15, vcc_lo, 0, v2, vcc_lo
	global_store_b16 v[14:15], v16, off
	s_branch .LBB52_3
.LBB52_20:
	s_cbranch_execz .LBB52_22
	s_branch .LBB52_25
.LBB52_21:
.LBB52_22:
	v_dual_mov_b32 v2, 0 :: v_dual_lshlrev_b32 v1, 2, v0
	s_mov_b32 s2, 0
	s_mov_b32 s3, exec_lo
	s_delay_alu instid0(VALU_DEP_1)
	v_cmpx_gt_i64_e64 s[6:7], v[1:2]
	s_cbranch_execz .LBB52_25
; %bb.23:
	s_load_b32 s0, s[0:1], 0xd14
	s_waitcnt vmcnt(0)
	v_cvt_f32_i32_e32 v6, v5
	v_lshlrev_b32_e32 v1, 3, v0
	s_delay_alu instid0(VALU_DEP_2)
	v_rcp_iflag_f32_e32 v7, v6
	s_waitcnt lgkmcnt(0)
	s_and_b32 s0, s0, 0xffff
	s_add_u32 s1, s8, s10
	s_addc_u32 s3, s9, s11
	v_add_co_u32 v3, s1, s1, v1
	s_delay_alu instid0(VALU_DEP_1)
	v_add_co_ci_u32_e64 v4, null, s3, 0, s1
	v_add_lshl_u32 v1, v0, s0, 2
	s_lshl_b32 s3, s0, 3
	s_lshl_b32 s4, s0, 2
.LBB52_24:                              ; =>This Inner Loop Header: Depth=1
	global_load_b64 v[8:9], v[3:4], off
	v_cmp_lt_u64_e64 s0, 0xffff, v[1:2]
	s_waitcnt vmcnt(0)
	v_alignbit_b32 v11, v9, v8, 16
	v_bfe_i32 v0, v8, 0, 16
	v_ashrrev_i32_e32 v10, 16, v8
	v_ashrrev_i64 v[8:9], 48, v[8:9]
	s_delay_alu instid0(VALU_DEP_4) | instskip(NEXT) | instid1(VALU_DEP_4)
	v_ashrrev_i32_e32 v11, 16, v11
	v_xor_b32_e32 v9, v0, v5
	v_cvt_f32_i32_e32 v0, v0
	v_xor_b32_e32 v12, v10, v5
	v_cvt_f32_i32_e32 v10, v10
	;; [unrolled: 2-line block ×3, first 2 shown]
	v_ashrrev_i32_e32 v9, 30, v9
	v_xor_b32_e32 v13, v8, v5
	v_cvt_f32_i32_e32 v8, v8
	v_ashrrev_i32_e32 v16, 30, v16
	v_mul_f32_e32 v18, v11, v7
	v_or_b32_e32 v9, 1, v9
	v_ashrrev_i32_e32 v12, 30, v12
	v_ashrrev_i32_e32 v13, 30, v13
	v_or_b32_e32 v16, 1, v16
	v_mul_f32_e32 v14, v0, v7
	v_trunc_f32_e32 v18, v18
	v_or_b32_e32 v12, 1, v12
	v_or_b32_e32 v13, 1, v13
	s_delay_alu instid0(VALU_DEP_4) | instskip(NEXT) | instid1(VALU_DEP_4)
	v_trunc_f32_e32 v14, v14
	v_fma_f32 v11, -v18, v6, v11
	s_delay_alu instid0(VALU_DEP_2) | instskip(SKIP_1) | instid1(VALU_DEP_2)
	v_fma_f32 v0, -v14, v6, v0
	v_cvt_i32_f32_e32 v14, v14
	v_cmp_ge_f32_e64 vcc_lo, |v0|, |v6|
	v_dual_mul_f32 v15, v10, v7 :: v_dual_cndmask_b32 v0, 0, v9
	s_delay_alu instid0(VALU_DEP_1) | instskip(SKIP_2) | instid1(VALU_DEP_4)
	v_trunc_f32_e32 v15, v15
	v_cmp_ge_f32_e64 vcc_lo, |v11|, |v6|
	v_cvt_i32_f32_e32 v9, v18
	v_add_nc_u32_e32 v0, v14, v0
	s_delay_alu instid0(VALU_DEP_4) | instskip(SKIP_2) | instid1(VALU_DEP_4)
	v_fma_f32 v10, -v15, v6, v10
	v_cndmask_b32_e32 v11, 0, v16, vcc_lo
	v_cvt_i32_f32_e32 v15, v15
	v_and_b32_e32 v0, 0xffff, v0
	s_delay_alu instid0(VALU_DEP_4) | instskip(SKIP_2) | instid1(VALU_DEP_2)
	v_cmp_ge_f32_e64 vcc_lo, |v10|, |v6|
	v_mul_f32_e32 v17, v8, v7
	v_dual_cndmask_b32 v10, 0, v12 :: v_dual_add_nc_u32 v9, v9, v11
	v_trunc_f32_e32 v17, v17
	s_delay_alu instid0(VALU_DEP_2) | instskip(NEXT) | instid1(VALU_DEP_3)
	v_and_b32_e32 v9, 0xffff, v9
	v_add_nc_u32_e32 v10, v15, v10
	s_delay_alu instid0(VALU_DEP_3) | instskip(SKIP_1) | instid1(VALU_DEP_2)
	v_fma_f32 v8, -v17, v6, v8
	v_cvt_i32_f32_e32 v17, v17
	v_cmp_ge_f32_e64 vcc_lo, |v8|, |v6|
	v_cndmask_b32_e32 v8, 0, v13, vcc_lo
	v_cmp_le_i64_e32 vcc_lo, s[6:7], v[1:2]
	v_add_co_u32 v1, s1, v1, s4
	s_delay_alu instid0(VALU_DEP_1) | instskip(NEXT) | instid1(VALU_DEP_4)
	v_add_co_ci_u32_e64 v2, s1, 0, v2, s1
	v_add_lshl_u32 v11, v17, v8, 16
	v_lshl_or_b32 v8, v10, 16, v0
	s_or_b32 s0, vcc_lo, s0
	s_delay_alu instid0(SALU_CYCLE_1) | instskip(NEXT) | instid1(VALU_DEP_2)
	s_and_b32 s0, exec_lo, s0
	v_or_b32_e32 v9, v11, v9
	s_or_b32 s2, s0, s2
	global_store_b64 v[3:4], v[8:9], off
	v_add_co_u32 v3, vcc_lo, v3, s3
	v_add_co_ci_u32_e32 v4, vcc_lo, 0, v4, vcc_lo
	s_and_not1_b32 exec_lo, exec_lo, s2
	s_cbranch_execnz .LBB52_24
.LBB52_25:
	s_nop 0
	s_sendmsg sendmsg(MSG_DEALLOC_VGPRS)
	s_endpgm
	.section	.rodata,"a",@progbits
	.p2align	6, 0x0
	.amdhsa_kernel _ZN2at6native12_GLOBAL__N_125multi_tensor_apply_kernelINS1_28TensorListScalarListMetadataIsLi1EEENS1_25BinaryOpScalarListFunctorIsLi1ELi1ELi0EEEJSt7dividesIsEEEEvT_T0_DpT1_
		.amdhsa_group_segment_fixed_size 0
		.amdhsa_private_segment_fixed_size 0
		.amdhsa_kernarg_size 3592
		.amdhsa_user_sgpr_count 15
		.amdhsa_user_sgpr_dispatch_ptr 0
		.amdhsa_user_sgpr_queue_ptr 0
		.amdhsa_user_sgpr_kernarg_segment_ptr 1
		.amdhsa_user_sgpr_dispatch_id 0
		.amdhsa_user_sgpr_private_segment_size 0
		.amdhsa_wavefront_size32 1
		.amdhsa_uses_dynamic_stack 0
		.amdhsa_enable_private_segment 0
		.amdhsa_system_sgpr_workgroup_id_x 1
		.amdhsa_system_sgpr_workgroup_id_y 0
		.amdhsa_system_sgpr_workgroup_id_z 0
		.amdhsa_system_sgpr_workgroup_info 0
		.amdhsa_system_vgpr_workitem_id 0
		.amdhsa_next_free_vgpr 20
		.amdhsa_next_free_sgpr 20
		.amdhsa_reserve_vcc 1
		.amdhsa_float_round_mode_32 0
		.amdhsa_float_round_mode_16_64 0
		.amdhsa_float_denorm_mode_32 3
		.amdhsa_float_denorm_mode_16_64 3
		.amdhsa_dx10_clamp 1
		.amdhsa_ieee_mode 1
		.amdhsa_fp16_overflow 0
		.amdhsa_workgroup_processor_mode 1
		.amdhsa_memory_ordered 1
		.amdhsa_forward_progress 0
		.amdhsa_shared_vgpr_count 0
		.amdhsa_exception_fp_ieee_invalid_op 0
		.amdhsa_exception_fp_denorm_src 0
		.amdhsa_exception_fp_ieee_div_zero 0
		.amdhsa_exception_fp_ieee_overflow 0
		.amdhsa_exception_fp_ieee_underflow 0
		.amdhsa_exception_fp_ieee_inexact 0
		.amdhsa_exception_int_div_zero 0
	.end_amdhsa_kernel
	.section	.text._ZN2at6native12_GLOBAL__N_125multi_tensor_apply_kernelINS1_28TensorListScalarListMetadataIsLi1EEENS1_25BinaryOpScalarListFunctorIsLi1ELi1ELi0EEEJSt7dividesIsEEEEvT_T0_DpT1_,"axG",@progbits,_ZN2at6native12_GLOBAL__N_125multi_tensor_apply_kernelINS1_28TensorListScalarListMetadataIsLi1EEENS1_25BinaryOpScalarListFunctorIsLi1ELi1ELi0EEEJSt7dividesIsEEEEvT_T0_DpT1_,comdat
.Lfunc_end52:
	.size	_ZN2at6native12_GLOBAL__N_125multi_tensor_apply_kernelINS1_28TensorListScalarListMetadataIsLi1EEENS1_25BinaryOpScalarListFunctorIsLi1ELi1ELi0EEEJSt7dividesIsEEEEvT_T0_DpT1_, .Lfunc_end52-_ZN2at6native12_GLOBAL__N_125multi_tensor_apply_kernelINS1_28TensorListScalarListMetadataIsLi1EEENS1_25BinaryOpScalarListFunctorIsLi1ELi1ELi0EEEJSt7dividesIsEEEEvT_T0_DpT1_
                                        ; -- End function
	.section	.AMDGPU.csdata,"",@progbits
; Kernel info:
; codeLenInByte = 1732
; NumSgprs: 22
; NumVgprs: 20
; ScratchSize: 0
; MemoryBound: 0
; FloatMode: 240
; IeeeMode: 1
; LDSByteSize: 0 bytes/workgroup (compile time only)
; SGPRBlocks: 2
; VGPRBlocks: 2
; NumSGPRsForWavesPerEU: 22
; NumVGPRsForWavesPerEU: 20
; Occupancy: 16
; WaveLimiterHint : 0
; COMPUTE_PGM_RSRC2:SCRATCH_EN: 0
; COMPUTE_PGM_RSRC2:USER_SGPR: 15
; COMPUTE_PGM_RSRC2:TRAP_HANDLER: 0
; COMPUTE_PGM_RSRC2:TGID_X_EN: 1
; COMPUTE_PGM_RSRC2:TGID_Y_EN: 0
; COMPUTE_PGM_RSRC2:TGID_Z_EN: 0
; COMPUTE_PGM_RSRC2:TIDIG_COMP_CNT: 0
	.section	.text._ZN2at6native12_GLOBAL__N_125multi_tensor_apply_kernelINS1_28TensorListScalarListMetadataIdLi1EEENS1_25BinaryOpScalarListFunctorIdLi1ELi1ELi0EEEJSt7dividesIdEEEEvT_T0_DpT1_,"axG",@progbits,_ZN2at6native12_GLOBAL__N_125multi_tensor_apply_kernelINS1_28TensorListScalarListMetadataIdLi1EEENS1_25BinaryOpScalarListFunctorIdLi1ELi1ELi0EEEJSt7dividesIdEEEEvT_T0_DpT1_,comdat
	.globl	_ZN2at6native12_GLOBAL__N_125multi_tensor_apply_kernelINS1_28TensorListScalarListMetadataIdLi1EEENS1_25BinaryOpScalarListFunctorIdLi1ELi1ELi0EEEJSt7dividesIdEEEEvT_T0_DpT1_ ; -- Begin function _ZN2at6native12_GLOBAL__N_125multi_tensor_apply_kernelINS1_28TensorListScalarListMetadataIdLi1EEENS1_25BinaryOpScalarListFunctorIdLi1ELi1ELi0EEEJSt7dividesIdEEEEvT_T0_DpT1_
	.p2align	8
	.type	_ZN2at6native12_GLOBAL__N_125multi_tensor_apply_kernelINS1_28TensorListScalarListMetadataIdLi1EEENS1_25BinaryOpScalarListFunctorIdLi1ELi1ELi0EEEJSt7dividesIdEEEEvT_T0_DpT1_,@function
_ZN2at6native12_GLOBAL__N_125multi_tensor_apply_kernelINS1_28TensorListScalarListMetadataIdLi1EEENS1_25BinaryOpScalarListFunctorIdLi1ELi1ELi0EEEJSt7dividesIdEEEEvT_T0_DpT1_: ; @_ZN2at6native12_GLOBAL__N_125multi_tensor_apply_kernelINS1_28TensorListScalarListMetadataIdLi1EEENS1_25BinaryOpScalarListFunctorIdLi1ELi1ELi0EEEJSt7dividesIdEEEEvT_T0_DpT1_
; %bb.0:
	v_mov_b32_e32 v1, s15
	s_add_u32 s2, s0, s15
	s_mul_hi_u32 s3, s15, 3
	s_mul_i32 s15, s15, 3
	s_addc_u32 s4, s1, 0
	global_load_u8 v1, v1, s[0:1] offset:2304
	s_add_u32 s2, s2, s15
	s_addc_u32 s3, s4, s3
	s_mov_b32 s15, 0
	s_load_b32 s2, s[2:3], 0xa40
	s_waitcnt vmcnt(0)
	v_readfirstlane_b32 s5, v1
	s_delay_alu instid0(VALU_DEP_1)
	s_lshl_b32 s3, s5, 3
	s_clause 0x2
	s_load_b64 s[6:7], s[0:1], s3 offset:0x600
	s_load_b64 s[10:11], s[0:1], s3 offset:0x0
	;; [unrolled: 1-line block ×3, first 2 shown]
	s_waitcnt lgkmcnt(0)
	s_ashr_i32 s3, s2, 31
	s_delay_alu instid0(SALU_CYCLE_1)
	s_lshl_b64 s[12:13], s[2:3], 19
	s_lshl_b64 s[2:3], s[2:3], 16
	s_and_b32 s14, s10, 31
	s_sub_u32 s8, s4, s2
	s_subb_u32 s9, s5, s3
	s_and_b32 s2, s4, 3
	s_mov_b32 s3, s15
	s_delay_alu instid0(SALU_CYCLE_1) | instskip(NEXT) | instid1(SALU_CYCLE_1)
	s_or_b64 s[2:3], s[14:15], s[2:3]
	s_cmp_eq_u64 s[2:3], 0
	s_cbranch_scc1 .LBB53_21
; %bb.1:
	v_cmp_lt_i64_e64 s2, s[8:9], 1
	s_delay_alu instid0(VALU_DEP_1)
	s_and_b32 vcc_lo, exec_lo, s2
	s_cbranch_vccnz .LBB53_20
; %bb.2:
	s_load_b32 s2, s[0:1], 0xf54
	v_cmp_gt_u64_e64 s3, 0x10000, s[8:9]
	v_lshlrev_b32_e32 v1, 3, v0
	s_waitcnt lgkmcnt(0)
	s_and_b32 s2, s2, 0xffff
	s_delay_alu instid0(VALU_DEP_2)
	s_and_b32 s3, s3, exec_lo
	v_add_co_u32 v13, s5, v0, s2
	s_cselect_b32 s15, s9, 0
	s_cselect_b32 s14, s8, 0x10000
	s_lshl_b32 s3, s2, 1
	s_lshl_b32 s18, s2, 2
	v_lshlrev_b32_e32 v3, 3, v13
	v_add_co_ci_u32_e64 v14, null, 0, 0, s5
	s_add_u32 s5, s10, s12
	v_add_co_u32 v17, s3, s3, v0
	s_mul_i32 s4, s2, 3
	s_addc_u32 s16, s11, s13
	v_add_co_ci_u32_e64 v18, null, 0, 0, s3
	v_add_co_u32 v1, s3, s5, v1
	v_add_co_u32 v15, s4, s4, v0
	v_add_co_ci_u32_e64 v2, null, s16, 0, s3
	v_add_co_u32 v3, s3, s5, v3
	v_add_co_ci_u32_e64 v16, null, 0, 0, s4
	v_add_co_ci_u32_e64 v4, null, s16, 0, s3
	s_lshl_b32 s19, s2, 5
	s_mul_i32 s20, s2, 24
	s_lshl_b32 s21, s2, 4
	s_mov_b64 s[16:17], 0
	s_branch .LBB53_4
.LBB53_3:                               ;   in Loop: Header=BB53_4 Depth=1
	s_or_b32 exec_lo, exec_lo, s3
	s_add_u32 s16, s16, s18
	s_addc_u32 s17, s17, 0
	v_add_co_u32 v1, vcc_lo, v1, s19
	v_cmp_lt_i64_e64 s2, s[16:17], s[8:9]
	v_cmp_gt_u64_e64 s3, 0x10000, s[16:17]
	v_add_co_ci_u32_e32 v2, vcc_lo, 0, v2, vcc_lo
	v_add_co_u32 v3, vcc_lo, v3, s19
	v_add_co_ci_u32_e32 v4, vcc_lo, 0, v4, vcc_lo
	s_delay_alu instid0(VALU_DEP_4) | instskip(NEXT) | instid1(SALU_CYCLE_1)
	s_and_b32 s2, s2, s3
	s_and_b32 vcc_lo, exec_lo, s2
	s_cbranch_vccz .LBB53_20
.LBB53_4:                               ; =>This Inner Loop Header: Depth=1
	s_waitcnt vmcnt(0)
	v_add_co_u32 v5, s2, v0, s16
	s_delay_alu instid0(VALU_DEP_1) | instskip(SKIP_2) | instid1(VALU_DEP_3)
	v_add_co_ci_u32_e64 v6, null, 0, s17, s2
	v_mov_b32_e32 v7, 0
	v_mov_b32_e32 v8, 0
	v_cmp_gt_u64_e32 vcc_lo, s[14:15], v[5:6]
	s_delay_alu instid0(VALU_DEP_2)
	v_dual_mov_b32 v12, v8 :: v_dual_mov_b32 v11, v7
	s_and_saveexec_b32 s2, vcc_lo
	s_cbranch_execz .LBB53_6
; %bb.5:                                ;   in Loop: Header=BB53_4 Depth=1
	global_load_b64 v[11:12], v[1:2], off
.LBB53_6:                               ;   in Loop: Header=BB53_4 Depth=1
	s_or_b32 exec_lo, exec_lo, s2
	v_add_co_u32 v5, s2, v13, s16
	s_delay_alu instid0(VALU_DEP_1) | instskip(NEXT) | instid1(VALU_DEP_1)
	v_add_co_ci_u32_e64 v6, s2, s17, v14, s2
	v_cmp_gt_u64_e64 s4, s[14:15], v[5:6]
	s_delay_alu instid0(VALU_DEP_1)
	s_and_saveexec_b32 s2, s4
	s_cbranch_execz .LBB53_8
; %bb.7:                                ;   in Loop: Header=BB53_4 Depth=1
	global_load_b64 v[7:8], v[3:4], off
.LBB53_8:                               ;   in Loop: Header=BB53_4 Depth=1
	s_or_b32 exec_lo, exec_lo, s2
	v_add_co_u32 v9, s2, v17, s16
	s_delay_alu instid0(VALU_DEP_1) | instskip(SKIP_2) | instid1(VALU_DEP_3)
	v_add_co_ci_u32_e64 v10, s2, s17, v18, s2
	v_mov_b32_e32 v5, 0
	v_mov_b32_e32 v6, 0
	v_cmp_gt_u64_e64 s3, s[14:15], v[9:10]
	s_delay_alu instid0(VALU_DEP_2) | instskip(NEXT) | instid1(VALU_DEP_2)
	v_dual_mov_b32 v10, v6 :: v_dual_mov_b32 v9, v5
	s_and_saveexec_b32 s5, s3
	s_cbranch_execz .LBB53_10
; %bb.9:                                ;   in Loop: Header=BB53_4 Depth=1
	v_add_co_u32 v9, s2, v1, s21
	s_delay_alu instid0(VALU_DEP_1)
	v_add_co_ci_u32_e64 v10, s2, 0, v2, s2
	global_load_b64 v[9:10], v[9:10], off
.LBB53_10:                              ;   in Loop: Header=BB53_4 Depth=1
	s_or_b32 exec_lo, exec_lo, s5
	v_add_co_u32 v19, s2, v15, s16
	s_delay_alu instid0(VALU_DEP_1) | instskip(NEXT) | instid1(VALU_DEP_1)
	v_add_co_ci_u32_e64 v20, s2, s17, v16, s2
	v_cmp_gt_u64_e64 s2, s[14:15], v[19:20]
	s_delay_alu instid0(VALU_DEP_1)
	s_and_saveexec_b32 s22, s2
	s_cbranch_execnz .LBB53_15
; %bb.11:                               ;   in Loop: Header=BB53_4 Depth=1
	s_or_b32 exec_lo, exec_lo, s22
	s_and_saveexec_b32 s5, vcc_lo
	s_cbranch_execnz .LBB53_16
.LBB53_12:                              ;   in Loop: Header=BB53_4 Depth=1
	s_or_b32 exec_lo, exec_lo, s5
	s_and_saveexec_b32 s5, s4
	s_cbranch_execnz .LBB53_17
.LBB53_13:                              ;   in Loop: Header=BB53_4 Depth=1
	s_or_b32 exec_lo, exec_lo, s5
	s_and_saveexec_b32 s4, s3
	s_cbranch_execnz .LBB53_18
.LBB53_14:                              ;   in Loop: Header=BB53_4 Depth=1
	s_or_b32 exec_lo, exec_lo, s4
	s_and_saveexec_b32 s3, s2
	s_cbranch_execz .LBB53_3
	s_branch .LBB53_19
.LBB53_15:                              ;   in Loop: Header=BB53_4 Depth=1
	v_add_co_u32 v5, s5, v1, s20
	s_delay_alu instid0(VALU_DEP_1)
	v_add_co_ci_u32_e64 v6, s5, 0, v2, s5
	global_load_b64 v[5:6], v[5:6], off
	s_or_b32 exec_lo, exec_lo, s22
	s_and_saveexec_b32 s5, vcc_lo
	s_cbranch_execz .LBB53_12
.LBB53_16:                              ;   in Loop: Header=BB53_4 Depth=1
	s_waitcnt vmcnt(0)
	v_div_scale_f64 v[19:20], null, s[6:7], s[6:7], v[11:12]
	s_delay_alu instid0(VALU_DEP_1) | instskip(SKIP_2) | instid1(VALU_DEP_1)
	v_rcp_f64_e32 v[21:22], v[19:20]
	s_waitcnt_depctr 0xfff
	v_fma_f64 v[23:24], -v[19:20], v[21:22], 1.0
	v_fma_f64 v[21:22], v[21:22], v[23:24], v[21:22]
	s_delay_alu instid0(VALU_DEP_1) | instskip(NEXT) | instid1(VALU_DEP_1)
	v_fma_f64 v[23:24], -v[19:20], v[21:22], 1.0
	v_fma_f64 v[21:22], v[21:22], v[23:24], v[21:22]
	v_div_scale_f64 v[23:24], vcc_lo, v[11:12], s[6:7], v[11:12]
	s_delay_alu instid0(VALU_DEP_1) | instskip(NEXT) | instid1(VALU_DEP_1)
	v_mul_f64 v[25:26], v[23:24], v[21:22]
	v_fma_f64 v[19:20], -v[19:20], v[25:26], v[23:24]
	s_delay_alu instid0(VALU_DEP_1) | instskip(NEXT) | instid1(VALU_DEP_1)
	v_div_fmas_f64 v[19:20], v[19:20], v[21:22], v[25:26]
	v_div_fixup_f64 v[11:12], v[19:20], s[6:7], v[11:12]
	global_store_b64 v[1:2], v[11:12], off
	s_or_b32 exec_lo, exec_lo, s5
	s_and_saveexec_b32 s5, s4
	s_cbranch_execz .LBB53_13
.LBB53_17:                              ;   in Loop: Header=BB53_4 Depth=1
	s_waitcnt vmcnt(0)
	v_div_scale_f64 v[11:12], null, s[6:7], s[6:7], v[7:8]
	s_delay_alu instid0(VALU_DEP_1) | instskip(SKIP_2) | instid1(VALU_DEP_1)
	v_rcp_f64_e32 v[19:20], v[11:12]
	s_waitcnt_depctr 0xfff
	v_fma_f64 v[21:22], -v[11:12], v[19:20], 1.0
	v_fma_f64 v[19:20], v[19:20], v[21:22], v[19:20]
	s_delay_alu instid0(VALU_DEP_1) | instskip(NEXT) | instid1(VALU_DEP_1)
	v_fma_f64 v[21:22], -v[11:12], v[19:20], 1.0
	v_fma_f64 v[19:20], v[19:20], v[21:22], v[19:20]
	v_div_scale_f64 v[21:22], vcc_lo, v[7:8], s[6:7], v[7:8]
	s_delay_alu instid0(VALU_DEP_1) | instskip(NEXT) | instid1(VALU_DEP_1)
	v_mul_f64 v[23:24], v[21:22], v[19:20]
	v_fma_f64 v[11:12], -v[11:12], v[23:24], v[21:22]
	s_delay_alu instid0(VALU_DEP_1) | instskip(NEXT) | instid1(VALU_DEP_1)
	v_div_fmas_f64 v[11:12], v[11:12], v[19:20], v[23:24]
	v_div_fixup_f64 v[7:8], v[11:12], s[6:7], v[7:8]
	global_store_b64 v[3:4], v[7:8], off
	s_or_b32 exec_lo, exec_lo, s5
	s_and_saveexec_b32 s4, s3
	s_cbranch_execz .LBB53_14
.LBB53_18:                              ;   in Loop: Header=BB53_4 Depth=1
	s_waitcnt vmcnt(0)
	v_div_scale_f64 v[7:8], null, s[6:7], s[6:7], v[9:10]
	s_delay_alu instid0(VALU_DEP_1) | instskip(SKIP_2) | instid1(VALU_DEP_1)
	v_rcp_f64_e32 v[11:12], v[7:8]
	s_waitcnt_depctr 0xfff
	v_fma_f64 v[19:20], -v[7:8], v[11:12], 1.0
	v_fma_f64 v[11:12], v[11:12], v[19:20], v[11:12]
	s_delay_alu instid0(VALU_DEP_1) | instskip(NEXT) | instid1(VALU_DEP_1)
	v_fma_f64 v[19:20], -v[7:8], v[11:12], 1.0
	v_fma_f64 v[11:12], v[11:12], v[19:20], v[11:12]
	v_div_scale_f64 v[19:20], vcc_lo, v[9:10], s[6:7], v[9:10]
	s_delay_alu instid0(VALU_DEP_1) | instskip(NEXT) | instid1(VALU_DEP_1)
	v_mul_f64 v[21:22], v[19:20], v[11:12]
	v_fma_f64 v[7:8], -v[7:8], v[21:22], v[19:20]
	s_delay_alu instid0(VALU_DEP_1) | instskip(NEXT) | instid1(VALU_DEP_1)
	v_div_fmas_f64 v[7:8], v[7:8], v[11:12], v[21:22]
	v_div_fixup_f64 v[7:8], v[7:8], s[6:7], v[9:10]
	v_add_co_u32 v9, vcc_lo, v1, s21
	v_add_co_ci_u32_e32 v10, vcc_lo, 0, v2, vcc_lo
	global_store_b64 v[9:10], v[7:8], off
	s_or_b32 exec_lo, exec_lo, s4
	s_and_saveexec_b32 s3, s2
	s_cbranch_execz .LBB53_3
.LBB53_19:                              ;   in Loop: Header=BB53_4 Depth=1
	s_waitcnt vmcnt(0)
	v_div_scale_f64 v[7:8], null, s[6:7], s[6:7], v[5:6]
	s_delay_alu instid0(VALU_DEP_1) | instskip(SKIP_2) | instid1(VALU_DEP_1)
	v_rcp_f64_e32 v[9:10], v[7:8]
	s_waitcnt_depctr 0xfff
	v_fma_f64 v[11:12], -v[7:8], v[9:10], 1.0
	v_fma_f64 v[9:10], v[9:10], v[11:12], v[9:10]
	s_delay_alu instid0(VALU_DEP_1) | instskip(NEXT) | instid1(VALU_DEP_1)
	v_fma_f64 v[11:12], -v[7:8], v[9:10], 1.0
	v_fma_f64 v[9:10], v[9:10], v[11:12], v[9:10]
	v_div_scale_f64 v[11:12], vcc_lo, v[5:6], s[6:7], v[5:6]
	s_delay_alu instid0(VALU_DEP_1) | instskip(NEXT) | instid1(VALU_DEP_1)
	v_mul_f64 v[19:20], v[11:12], v[9:10]
	v_fma_f64 v[7:8], -v[7:8], v[19:20], v[11:12]
	s_delay_alu instid0(VALU_DEP_1) | instskip(NEXT) | instid1(VALU_DEP_1)
	v_div_fmas_f64 v[7:8], v[7:8], v[9:10], v[19:20]
	v_div_fixup_f64 v[5:6], v[7:8], s[6:7], v[5:6]
	v_add_co_u32 v7, vcc_lo, v1, s20
	v_add_co_ci_u32_e32 v8, vcc_lo, 0, v2, vcc_lo
	global_store_b64 v[7:8], v[5:6], off
	s_branch .LBB53_3
.LBB53_20:
	s_cbranch_execz .LBB53_22
	s_branch .LBB53_25
.LBB53_21:
.LBB53_22:
	v_dual_mov_b32 v2, 0 :: v_dual_lshlrev_b32 v1, 2, v0
	s_mov_b32 s3, 0
	s_mov_b32 s2, exec_lo
	s_delay_alu instid0(VALU_DEP_1)
	v_cmpx_gt_i64_e64 s[8:9], v[1:2]
	s_cbranch_execz .LBB53_25
; %bb.23:
	s_load_b32 s0, s[0:1], 0xf54
	v_lshlrev_b32_e32 v1, 5, v0
	s_waitcnt lgkmcnt(0)
	s_and_b32 s0, s0, 0xffff
	s_delay_alu instid0(SALU_CYCLE_1) | instskip(SKIP_3) | instid1(VALU_DEP_1)
	s_lshl_b32 s4, s0, 2
	s_add_u32 s1, s10, s12
	s_addc_u32 s2, s11, s13
	v_add_co_u32 v3, s1, s1, v1
	v_add_co_ci_u32_e64 v4, null, s2, 0, s1
	v_add_lshl_u32 v1, v0, s0, 2
	s_delay_alu instid0(VALU_DEP_3) | instskip(NEXT) | instid1(VALU_DEP_3)
	v_add_co_u32 v3, vcc_lo, v3, 16
	v_add_co_ci_u32_e32 v4, vcc_lo, 0, v4, vcc_lo
	s_lshl_b32 s5, s0, 5
.LBB53_24:                              ; =>This Inner Loop Header: Depth=1
	s_clause 0x1
	global_load_b128 v[5:8], v[3:4], off offset:-16
	global_load_b128 v[9:12], v[3:4], off
	s_waitcnt vmcnt(1)
	v_div_scale_f64 v[13:14], null, s[6:7], s[6:7], v[5:6]
	v_div_scale_f64 v[15:16], null, s[6:7], s[6:7], v[7:8]
	s_waitcnt vmcnt(0)
	v_div_scale_f64 v[17:18], null, s[6:7], s[6:7], v[9:10]
	v_div_scale_f64 v[19:20], null, s[6:7], s[6:7], v[11:12]
	v_div_scale_f64 v[37:38], vcc_lo, v[5:6], s[6:7], v[5:6]
	v_rcp_f64_e32 v[21:22], v[13:14]
	s_delay_alu instid0(VALU_DEP_4) | instskip(NEXT) | instid1(VALU_DEP_3)
	v_rcp_f64_e32 v[23:24], v[15:16]
	v_rcp_f64_e32 v[25:26], v[17:18]
	s_delay_alu instid0(VALU_DEP_2) | instskip(SKIP_1) | instid1(TRANS32_DEP_3)
	v_rcp_f64_e32 v[27:28], v[19:20]
	v_fma_f64 v[29:30], -v[13:14], v[21:22], 1.0
	v_fma_f64 v[31:32], -v[15:16], v[23:24], 1.0
	s_waitcnt_depctr 0xfff
	v_fma_f64 v[33:34], -v[17:18], v[25:26], 1.0
	v_fma_f64 v[35:36], -v[19:20], v[27:28], 1.0
	v_fma_f64 v[21:22], v[21:22], v[29:30], v[21:22]
	v_fma_f64 v[23:24], v[23:24], v[31:32], v[23:24]
	s_delay_alu instid0(VALU_DEP_4) | instskip(NEXT) | instid1(VALU_DEP_4)
	v_fma_f64 v[25:26], v[25:26], v[33:34], v[25:26]
	v_fma_f64 v[27:28], v[27:28], v[35:36], v[27:28]
	s_delay_alu instid0(VALU_DEP_4) | instskip(NEXT) | instid1(VALU_DEP_4)
	v_fma_f64 v[29:30], -v[13:14], v[21:22], 1.0
	v_fma_f64 v[31:32], -v[15:16], v[23:24], 1.0
	s_delay_alu instid0(VALU_DEP_4) | instskip(NEXT) | instid1(VALU_DEP_4)
	v_fma_f64 v[33:34], -v[17:18], v[25:26], 1.0
	v_fma_f64 v[35:36], -v[19:20], v[27:28], 1.0
	s_delay_alu instid0(VALU_DEP_4)
	v_fma_f64 v[21:22], v[21:22], v[29:30], v[21:22]
	v_div_scale_f64 v[29:30], s0, v[7:8], s[6:7], v[7:8]
	v_fma_f64 v[23:24], v[23:24], v[31:32], v[23:24]
	v_div_scale_f64 v[31:32], s1, v[9:10], s[6:7], v[9:10]
	;; [unrolled: 2-line block ×3, first 2 shown]
	v_fma_f64 v[27:28], v[27:28], v[35:36], v[27:28]
	v_mul_f64 v[35:36], v[37:38], v[21:22]
	v_mul_f64 v[39:40], v[29:30], v[23:24]
	;; [unrolled: 1-line block ×3, first 2 shown]
	s_delay_alu instid0(VALU_DEP_4) | instskip(NEXT) | instid1(VALU_DEP_4)
	v_mul_f64 v[43:44], v[33:34], v[27:28]
	v_fma_f64 v[13:14], -v[13:14], v[35:36], v[37:38]
	s_delay_alu instid0(VALU_DEP_4) | instskip(NEXT) | instid1(VALU_DEP_4)
	v_fma_f64 v[15:16], -v[15:16], v[39:40], v[29:30]
	v_fma_f64 v[17:18], -v[17:18], v[41:42], v[31:32]
	s_delay_alu instid0(VALU_DEP_4) | instskip(NEXT) | instid1(VALU_DEP_4)
	v_fma_f64 v[19:20], -v[19:20], v[43:44], v[33:34]
	v_div_fmas_f64 v[13:14], v[13:14], v[21:22], v[35:36]
	s_mov_b32 vcc_lo, s0
	v_cmp_lt_u64_e64 s0, 0xffff, v[1:2]
	v_div_fmas_f64 v[15:16], v[15:16], v[23:24], v[39:40]
	s_mov_b32 vcc_lo, s1
	v_div_fmas_f64 v[17:18], v[17:18], v[25:26], v[41:42]
	s_mov_b32 vcc_lo, s2
	v_div_fmas_f64 v[19:20], v[19:20], v[27:28], v[43:44]
	v_cmp_le_i64_e32 vcc_lo, s[8:9], v[1:2]
	v_add_co_u32 v1, s1, v1, s4
	s_delay_alu instid0(VALU_DEP_1) | instskip(SKIP_1) | instid1(SALU_CYCLE_1)
	v_add_co_ci_u32_e64 v2, s1, 0, v2, s1
	s_or_b32 s0, vcc_lo, s0
	s_and_b32 s0, exec_lo, s0
	s_delay_alu instid0(SALU_CYCLE_1)
	s_or_b32 s3, s0, s3
	v_div_fixup_f64 v[5:6], v[13:14], s[6:7], v[5:6]
	v_div_fixup_f64 v[7:8], v[15:16], s[6:7], v[7:8]
	v_div_fixup_f64 v[9:10], v[17:18], s[6:7], v[9:10]
	v_div_fixup_f64 v[11:12], v[19:20], s[6:7], v[11:12]
	s_clause 0x1
	global_store_b128 v[3:4], v[5:8], off offset:-16
	global_store_b128 v[3:4], v[9:12], off
	v_add_co_u32 v3, vcc_lo, v3, s5
	v_add_co_ci_u32_e32 v4, vcc_lo, 0, v4, vcc_lo
	s_and_not1_b32 exec_lo, exec_lo, s3
	s_cbranch_execnz .LBB53_24
.LBB53_25:
	s_nop 0
	s_sendmsg sendmsg(MSG_DEALLOC_VGPRS)
	s_endpgm
	.section	.rodata,"a",@progbits
	.p2align	6, 0x0
	.amdhsa_kernel _ZN2at6native12_GLOBAL__N_125multi_tensor_apply_kernelINS1_28TensorListScalarListMetadataIdLi1EEENS1_25BinaryOpScalarListFunctorIdLi1ELi1ELi0EEEJSt7dividesIdEEEEvT_T0_DpT1_
		.amdhsa_group_segment_fixed_size 0
		.amdhsa_private_segment_fixed_size 0
		.amdhsa_kernarg_size 4168
		.amdhsa_user_sgpr_count 15
		.amdhsa_user_sgpr_dispatch_ptr 0
		.amdhsa_user_sgpr_queue_ptr 0
		.amdhsa_user_sgpr_kernarg_segment_ptr 1
		.amdhsa_user_sgpr_dispatch_id 0
		.amdhsa_user_sgpr_private_segment_size 0
		.amdhsa_wavefront_size32 1
		.amdhsa_uses_dynamic_stack 0
		.amdhsa_enable_private_segment 0
		.amdhsa_system_sgpr_workgroup_id_x 1
		.amdhsa_system_sgpr_workgroup_id_y 0
		.amdhsa_system_sgpr_workgroup_id_z 0
		.amdhsa_system_sgpr_workgroup_info 0
		.amdhsa_system_vgpr_workitem_id 0
		.amdhsa_next_free_vgpr 45
		.amdhsa_next_free_sgpr 23
		.amdhsa_reserve_vcc 1
		.amdhsa_float_round_mode_32 0
		.amdhsa_float_round_mode_16_64 0
		.amdhsa_float_denorm_mode_32 3
		.amdhsa_float_denorm_mode_16_64 3
		.amdhsa_dx10_clamp 1
		.amdhsa_ieee_mode 1
		.amdhsa_fp16_overflow 0
		.amdhsa_workgroup_processor_mode 1
		.amdhsa_memory_ordered 1
		.amdhsa_forward_progress 0
		.amdhsa_shared_vgpr_count 0
		.amdhsa_exception_fp_ieee_invalid_op 0
		.amdhsa_exception_fp_denorm_src 0
		.amdhsa_exception_fp_ieee_div_zero 0
		.amdhsa_exception_fp_ieee_overflow 0
		.amdhsa_exception_fp_ieee_underflow 0
		.amdhsa_exception_fp_ieee_inexact 0
		.amdhsa_exception_int_div_zero 0
	.end_amdhsa_kernel
	.section	.text._ZN2at6native12_GLOBAL__N_125multi_tensor_apply_kernelINS1_28TensorListScalarListMetadataIdLi1EEENS1_25BinaryOpScalarListFunctorIdLi1ELi1ELi0EEEJSt7dividesIdEEEEvT_T0_DpT1_,"axG",@progbits,_ZN2at6native12_GLOBAL__N_125multi_tensor_apply_kernelINS1_28TensorListScalarListMetadataIdLi1EEENS1_25BinaryOpScalarListFunctorIdLi1ELi1ELi0EEEJSt7dividesIdEEEEvT_T0_DpT1_,comdat
.Lfunc_end53:
	.size	_ZN2at6native12_GLOBAL__N_125multi_tensor_apply_kernelINS1_28TensorListScalarListMetadataIdLi1EEENS1_25BinaryOpScalarListFunctorIdLi1ELi1ELi0EEEJSt7dividesIdEEEEvT_T0_DpT1_, .Lfunc_end53-_ZN2at6native12_GLOBAL__N_125multi_tensor_apply_kernelINS1_28TensorListScalarListMetadataIdLi1EEENS1_25BinaryOpScalarListFunctorIdLi1ELi1ELi0EEEJSt7dividesIdEEEEvT_T0_DpT1_
                                        ; -- End function
	.section	.AMDGPU.csdata,"",@progbits
; Kernel info:
; codeLenInByte = 1932
; NumSgprs: 25
; NumVgprs: 45
; ScratchSize: 0
; MemoryBound: 0
; FloatMode: 240
; IeeeMode: 1
; LDSByteSize: 0 bytes/workgroup (compile time only)
; SGPRBlocks: 3
; VGPRBlocks: 5
; NumSGPRsForWavesPerEU: 25
; NumVGPRsForWavesPerEU: 45
; Occupancy: 16
; WaveLimiterHint : 1
; COMPUTE_PGM_RSRC2:SCRATCH_EN: 0
; COMPUTE_PGM_RSRC2:USER_SGPR: 15
; COMPUTE_PGM_RSRC2:TRAP_HANDLER: 0
; COMPUTE_PGM_RSRC2:TGID_X_EN: 1
; COMPUTE_PGM_RSRC2:TGID_Y_EN: 0
; COMPUTE_PGM_RSRC2:TGID_Z_EN: 0
; COMPUTE_PGM_RSRC2:TIDIG_COMP_CNT: 0
	.section	.text._ZN2at6native12_GLOBAL__N_125multi_tensor_apply_kernelINS1_28TensorListScalarListMetadataIfLi1EEENS1_25BinaryOpScalarListFunctorIfLi1ELi1ELi0EEEJSt7dividesIfEEEEvT_T0_DpT1_,"axG",@progbits,_ZN2at6native12_GLOBAL__N_125multi_tensor_apply_kernelINS1_28TensorListScalarListMetadataIfLi1EEENS1_25BinaryOpScalarListFunctorIfLi1ELi1ELi0EEEJSt7dividesIfEEEEvT_T0_DpT1_,comdat
	.globl	_ZN2at6native12_GLOBAL__N_125multi_tensor_apply_kernelINS1_28TensorListScalarListMetadataIfLi1EEENS1_25BinaryOpScalarListFunctorIfLi1ELi1ELi0EEEJSt7dividesIfEEEEvT_T0_DpT1_ ; -- Begin function _ZN2at6native12_GLOBAL__N_125multi_tensor_apply_kernelINS1_28TensorListScalarListMetadataIfLi1EEENS1_25BinaryOpScalarListFunctorIfLi1ELi1ELi0EEEJSt7dividesIfEEEEvT_T0_DpT1_
	.p2align	8
	.type	_ZN2at6native12_GLOBAL__N_125multi_tensor_apply_kernelINS1_28TensorListScalarListMetadataIfLi1EEENS1_25BinaryOpScalarListFunctorIfLi1ELi1ELi0EEEJSt7dividesIfEEEEvT_T0_DpT1_,@function
_ZN2at6native12_GLOBAL__N_125multi_tensor_apply_kernelINS1_28TensorListScalarListMetadataIfLi1EEENS1_25BinaryOpScalarListFunctorIfLi1ELi1ELi0EEEJSt7dividesIfEEEEvT_T0_DpT1_: ; @_ZN2at6native12_GLOBAL__N_125multi_tensor_apply_kernelINS1_28TensorListScalarListMetadataIfLi1EEENS1_25BinaryOpScalarListFunctorIfLi1ELi1ELi0EEEJSt7dividesIfEEEEvT_T0_DpT1_
; %bb.0:
	v_mov_b32_e32 v1, s15
	s_add_u32 s2, s0, s15
	s_mul_i32 s3, s15, 3
	s_mul_hi_u32 s4, s15, 3
	s_addc_u32 s5, s1, 0
	global_load_u8 v1, v1, s[0:1] offset:1920
	s_add_u32 s2, s2, s3
	s_addc_u32 s3, s5, s4
	s_load_b32 s2, s[2:3], 0x8c0
	s_waitcnt vmcnt(0)
	v_readfirstlane_b32 s3, v1
	v_lshlrev_b32_e32 v1, 2, v1
	s_delay_alu instid0(VALU_DEP_2)
	s_lshl_b32 s6, s3, 3
	s_waitcnt lgkmcnt(0)
	s_ashr_i32 s3, s2, 31
	s_clause 0x1
	s_load_b64 s[4:5], s[0:1], s6 offset:0x300
	s_load_b64 s[8:9], s[0:1], s6 offset:0x0
	s_add_u32 s6, s0, s6
	s_addc_u32 s7, s1, 0
	v_sub_co_u32 v1, s6, s6, v1
	s_delay_alu instid0(VALU_DEP_1) | instskip(SKIP_1) | instid1(VALU_DEP_2)
	v_sub_co_ci_u32_e64 v2, null, s7, 0, s6
	s_lshl_b64 s[10:11], s[2:3], 18
	v_readfirstlane_b32 s6, v1
	s_lshl_b64 s[2:3], s[2:3], 16
	s_delay_alu instid0(VALU_DEP_2)
	v_readfirstlane_b32 s7, v2
	s_load_b32 s16, s[6:7], 0x600
	s_waitcnt lgkmcnt(0)
	s_and_b32 s12, s8, 15
	s_sub_u32 s6, s4, s2
	s_subb_u32 s7, s5, s3
	s_and_b32 s2, s4, 3
	s_mov_b32 s3, 0
	s_or_b32 s2, s12, s2
	s_delay_alu instid0(SALU_CYCLE_1)
	s_cmp_eq_u64 s[2:3], 0
	s_cbranch_scc1 .LBB54_21
; %bb.1:
	v_cmp_lt_i64_e64 s2, s[6:7], 1
	s_delay_alu instid0(VALU_DEP_1)
	s_and_b32 vcc_lo, exec_lo, s2
	s_cbranch_vccnz .LBB54_20
; %bb.2:
	s_load_b32 s2, s[0:1], 0xdd4
	v_cmp_gt_u64_e64 s3, 0x10000, s[6:7]
	v_lshlrev_b32_e32 v1, 2, v0
	s_waitcnt lgkmcnt(0)
	s_and_b32 s2, s2, 0xffff
	s_delay_alu instid0(VALU_DEP_2)
	s_and_b32 s3, s3, exec_lo
	v_add_co_u32 v5, s5, v0, s2
	s_cselect_b32 s13, s7, 0
	s_cselect_b32 s12, s6, 0x10000
	s_lshl_b32 s3, s2, 1
	s_lshl_b32 s17, s2, 2
	v_lshlrev_b32_e32 v3, 2, v5
	v_add_co_ci_u32_e64 v6, null, 0, 0, s5
	s_add_u32 s5, s8, s10
	v_add_co_u32 v9, s3, s3, v0
	s_mul_i32 s4, s2, 3
	s_addc_u32 s14, s9, s11
	v_add_co_ci_u32_e64 v10, null, 0, 0, s3
	v_add_co_u32 v1, s3, s5, v1
	v_add_co_u32 v7, s4, s4, v0
	v_add_co_ci_u32_e64 v2, null, s14, 0, s3
	v_add_co_u32 v3, s3, s5, v3
	v_add_co_ci_u32_e64 v8, null, 0, 0, s4
	v_add_co_ci_u32_e64 v4, null, s14, 0, s3
	s_lshl_b32 s18, s2, 4
	s_mul_i32 s19, s2, 12
	s_lshl_b32 s20, s2, 3
	s_mov_b64 s[14:15], 0
	s_branch .LBB54_4
.LBB54_3:                               ;   in Loop: Header=BB54_4 Depth=1
	s_or_b32 exec_lo, exec_lo, s3
	s_add_u32 s14, s14, s17
	s_addc_u32 s15, s15, 0
	v_add_co_u32 v1, vcc_lo, v1, s18
	v_cmp_lt_i64_e64 s2, s[14:15], s[6:7]
	v_cmp_gt_u64_e64 s3, 0x10000, s[14:15]
	v_add_co_ci_u32_e32 v2, vcc_lo, 0, v2, vcc_lo
	v_add_co_u32 v3, vcc_lo, v3, s18
	v_add_co_ci_u32_e32 v4, vcc_lo, 0, v4, vcc_lo
	s_delay_alu instid0(VALU_DEP_4) | instskip(NEXT) | instid1(SALU_CYCLE_1)
	s_and_b32 s2, s2, s3
	s_and_b32 vcc_lo, exec_lo, s2
	s_cbranch_vccz .LBB54_20
.LBB54_4:                               ; =>This Inner Loop Header: Depth=1
	s_waitcnt vmcnt(0)
	v_add_co_u32 v11, s2, v0, s14
	s_delay_alu instid0(VALU_DEP_1) | instskip(SKIP_1) | instid1(VALU_DEP_2)
	v_add_co_ci_u32_e64 v12, null, 0, s15, s2
	v_mov_b32_e32 v14, 0
	v_cmp_gt_u64_e32 vcc_lo, s[12:13], v[11:12]
	s_and_saveexec_b32 s2, vcc_lo
	s_cbranch_execz .LBB54_6
; %bb.5:                                ;   in Loop: Header=BB54_4 Depth=1
	global_load_b32 v14, v[1:2], off
.LBB54_6:                               ;   in Loop: Header=BB54_4 Depth=1
	s_or_b32 exec_lo, exec_lo, s2
	v_add_co_u32 v11, s2, v5, s14
	s_delay_alu instid0(VALU_DEP_1) | instskip(SKIP_1) | instid1(VALU_DEP_2)
	v_add_co_ci_u32_e64 v12, s2, s15, v6, s2
	v_mov_b32_e32 v13, 0
	v_cmp_gt_u64_e64 s4, s[12:13], v[11:12]
	s_delay_alu instid0(VALU_DEP_1)
	s_and_saveexec_b32 s2, s4
	s_cbranch_execz .LBB54_8
; %bb.7:                                ;   in Loop: Header=BB54_4 Depth=1
	global_load_b32 v13, v[3:4], off
.LBB54_8:                               ;   in Loop: Header=BB54_4 Depth=1
	s_or_b32 exec_lo, exec_lo, s2
	v_add_co_u32 v11, s2, v9, s14
	s_delay_alu instid0(VALU_DEP_1) | instskip(NEXT) | instid1(VALU_DEP_1)
	v_add_co_ci_u32_e64 v12, s2, s15, v10, s2
	v_cmp_gt_u64_e64 s3, s[12:13], v[11:12]
	v_dual_mov_b32 v11, 0 :: v_dual_mov_b32 v12, 0
	s_delay_alu instid0(VALU_DEP_2)
	s_and_saveexec_b32 s5, s3
	s_cbranch_execz .LBB54_10
; %bb.9:                                ;   in Loop: Header=BB54_4 Depth=1
	v_add_co_u32 v15, s2, v1, s20
	s_delay_alu instid0(VALU_DEP_1)
	v_add_co_ci_u32_e64 v16, s2, 0, v2, s2
	global_load_b32 v12, v[15:16], off
.LBB54_10:                              ;   in Loop: Header=BB54_4 Depth=1
	s_or_b32 exec_lo, exec_lo, s5
	v_add_co_u32 v15, s2, v7, s14
	s_delay_alu instid0(VALU_DEP_1) | instskip(NEXT) | instid1(VALU_DEP_1)
	v_add_co_ci_u32_e64 v16, s2, s15, v8, s2
	v_cmp_gt_u64_e64 s2, s[12:13], v[15:16]
	s_delay_alu instid0(VALU_DEP_1)
	s_and_saveexec_b32 s21, s2
	s_cbranch_execnz .LBB54_15
; %bb.11:                               ;   in Loop: Header=BB54_4 Depth=1
	s_or_b32 exec_lo, exec_lo, s21
	s_and_saveexec_b32 s5, vcc_lo
	s_cbranch_execnz .LBB54_16
.LBB54_12:                              ;   in Loop: Header=BB54_4 Depth=1
	s_or_b32 exec_lo, exec_lo, s5
	s_and_saveexec_b32 s5, s4
	s_cbranch_execnz .LBB54_17
.LBB54_13:                              ;   in Loop: Header=BB54_4 Depth=1
	s_or_b32 exec_lo, exec_lo, s5
	s_and_saveexec_b32 s4, s3
	s_cbranch_execnz .LBB54_18
.LBB54_14:                              ;   in Loop: Header=BB54_4 Depth=1
	s_or_b32 exec_lo, exec_lo, s4
	s_and_saveexec_b32 s3, s2
	s_cbranch_execz .LBB54_3
	s_branch .LBB54_19
.LBB54_15:                              ;   in Loop: Header=BB54_4 Depth=1
	v_add_co_u32 v15, s5, v1, s19
	s_delay_alu instid0(VALU_DEP_1)
	v_add_co_ci_u32_e64 v16, s5, 0, v2, s5
	global_load_b32 v11, v[15:16], off
	s_or_b32 exec_lo, exec_lo, s21
	s_and_saveexec_b32 s5, vcc_lo
	s_cbranch_execz .LBB54_12
.LBB54_16:                              ;   in Loop: Header=BB54_4 Depth=1
	s_waitcnt vmcnt(0)
	v_div_scale_f32 v15, null, s16, s16, v14
	s_delay_alu instid0(VALU_DEP_1) | instskip(SKIP_2) | instid1(VALU_DEP_1)
	v_rcp_f32_e32 v16, v15
	s_waitcnt_depctr 0xfff
	v_fma_f32 v17, -v15, v16, 1.0
	v_fmac_f32_e32 v16, v17, v16
	v_div_scale_f32 v17, vcc_lo, v14, s16, v14
	s_delay_alu instid0(VALU_DEP_1) | instskip(NEXT) | instid1(VALU_DEP_1)
	v_mul_f32_e32 v18, v17, v16
	v_fma_f32 v19, -v15, v18, v17
	s_delay_alu instid0(VALU_DEP_1) | instskip(NEXT) | instid1(VALU_DEP_1)
	v_fmac_f32_e32 v18, v19, v16
	v_fma_f32 v15, -v15, v18, v17
	s_delay_alu instid0(VALU_DEP_1) | instskip(NEXT) | instid1(VALU_DEP_1)
	v_div_fmas_f32 v15, v15, v16, v18
	v_div_fixup_f32 v14, v15, s16, v14
	global_store_b32 v[1:2], v14, off
	s_or_b32 exec_lo, exec_lo, s5
	s_and_saveexec_b32 s5, s4
	s_cbranch_execz .LBB54_13
.LBB54_17:                              ;   in Loop: Header=BB54_4 Depth=1
	s_waitcnt vmcnt(0)
	v_div_scale_f32 v14, null, s16, s16, v13
	s_delay_alu instid0(VALU_DEP_1) | instskip(SKIP_2) | instid1(VALU_DEP_1)
	v_rcp_f32_e32 v15, v14
	s_waitcnt_depctr 0xfff
	v_fma_f32 v16, -v14, v15, 1.0
	v_fmac_f32_e32 v15, v16, v15
	v_div_scale_f32 v16, vcc_lo, v13, s16, v13
	s_delay_alu instid0(VALU_DEP_1) | instskip(NEXT) | instid1(VALU_DEP_1)
	v_mul_f32_e32 v17, v16, v15
	v_fma_f32 v18, -v14, v17, v16
	s_delay_alu instid0(VALU_DEP_1) | instskip(NEXT) | instid1(VALU_DEP_1)
	v_fmac_f32_e32 v17, v18, v15
	v_fma_f32 v14, -v14, v17, v16
	s_delay_alu instid0(VALU_DEP_1) | instskip(NEXT) | instid1(VALU_DEP_1)
	v_div_fmas_f32 v14, v14, v15, v17
	v_div_fixup_f32 v13, v14, s16, v13
	global_store_b32 v[3:4], v13, off
	s_or_b32 exec_lo, exec_lo, s5
	s_and_saveexec_b32 s4, s3
	s_cbranch_execz .LBB54_14
.LBB54_18:                              ;   in Loop: Header=BB54_4 Depth=1
	s_waitcnt vmcnt(0)
	v_div_scale_f32 v13, null, s16, s16, v12
	v_div_scale_f32 v16, vcc_lo, v12, s16, v12
	s_delay_alu instid0(VALU_DEP_2) | instskip(SKIP_2) | instid1(VALU_DEP_1)
	v_rcp_f32_e32 v14, v13
	s_waitcnt_depctr 0xfff
	v_fma_f32 v15, -v13, v14, 1.0
	v_fmac_f32_e32 v14, v15, v14
	s_delay_alu instid0(VALU_DEP_1) | instskip(NEXT) | instid1(VALU_DEP_1)
	v_mul_f32_e32 v15, v16, v14
	v_fma_f32 v17, -v13, v15, v16
	s_delay_alu instid0(VALU_DEP_1) | instskip(NEXT) | instid1(VALU_DEP_1)
	v_fmac_f32_e32 v15, v17, v14
	v_fma_f32 v13, -v13, v15, v16
	s_delay_alu instid0(VALU_DEP_1) | instskip(NEXT) | instid1(VALU_DEP_1)
	v_div_fmas_f32 v13, v13, v14, v15
	v_div_fixup_f32 v14, v13, s16, v12
	v_add_co_u32 v12, vcc_lo, v1, s20
	v_add_co_ci_u32_e32 v13, vcc_lo, 0, v2, vcc_lo
	global_store_b32 v[12:13], v14, off
	s_or_b32 exec_lo, exec_lo, s4
	s_and_saveexec_b32 s3, s2
	s_cbranch_execz .LBB54_3
.LBB54_19:                              ;   in Loop: Header=BB54_4 Depth=1
	s_waitcnt vmcnt(0)
	v_div_scale_f32 v12, null, s16, s16, v11
	v_div_scale_f32 v15, vcc_lo, v11, s16, v11
	s_delay_alu instid0(VALU_DEP_2) | instskip(SKIP_2) | instid1(VALU_DEP_1)
	v_rcp_f32_e32 v13, v12
	s_waitcnt_depctr 0xfff
	v_fma_f32 v14, -v12, v13, 1.0
	v_fmac_f32_e32 v13, v14, v13
	s_delay_alu instid0(VALU_DEP_1) | instskip(NEXT) | instid1(VALU_DEP_1)
	v_mul_f32_e32 v14, v15, v13
	v_fma_f32 v16, -v12, v14, v15
	s_delay_alu instid0(VALU_DEP_1) | instskip(NEXT) | instid1(VALU_DEP_1)
	v_fmac_f32_e32 v14, v16, v13
	v_fma_f32 v12, -v12, v14, v15
	s_delay_alu instid0(VALU_DEP_1) | instskip(NEXT) | instid1(VALU_DEP_1)
	v_div_fmas_f32 v12, v12, v13, v14
	v_div_fixup_f32 v13, v12, s16, v11
	v_add_co_u32 v11, vcc_lo, v1, s19
	v_add_co_ci_u32_e32 v12, vcc_lo, 0, v2, vcc_lo
	global_store_b32 v[11:12], v13, off
	s_branch .LBB54_3
.LBB54_20:
	s_cbranch_execz .LBB54_22
	s_branch .LBB54_25
.LBB54_21:
.LBB54_22:
	v_dual_mov_b32 v2, 0 :: v_dual_lshlrev_b32 v1, 2, v0
	s_mov_b32 s4, 0
	s_mov_b32 s2, exec_lo
	s_delay_alu instid0(VALU_DEP_1)
	v_cmpx_gt_i64_e64 s[6:7], v[1:2]
	s_cbranch_execz .LBB54_25
; %bb.23:
	s_load_b32 s0, s[0:1], 0xdd4
	v_lshlrev_b32_e32 v1, 4, v0
	s_waitcnt lgkmcnt(0)
	s_and_b32 s0, s0, 0xffff
	s_delay_alu instid0(SALU_CYCLE_1) | instskip(SKIP_3) | instid1(VALU_DEP_1)
	s_lshl_b32 s5, s0, 2
	s_add_u32 s1, s8, s10
	s_addc_u32 s2, s9, s11
	v_add_co_u32 v3, s1, s1, v1
	v_add_co_ci_u32_e64 v4, null, s2, 0, s1
	v_add_lshl_u32 v1, v0, s0, 2
	s_delay_alu instid0(VALU_DEP_3) | instskip(NEXT) | instid1(VALU_DEP_3)
	v_add_co_u32 v3, vcc_lo, v3, 8
	v_add_co_ci_u32_e32 v4, vcc_lo, 0, v4, vcc_lo
	s_lshl_b32 s8, s0, 4
.LBB54_24:                              ; =>This Inner Loop Header: Depth=1
	global_load_b128 v[5:8], v[3:4], off offset:-8
	v_cmp_le_i64_e64 s3, s[6:7], v[1:2]
	s_waitcnt vmcnt(0)
	v_div_scale_f32 v0, null, s16, s16, v5
	v_div_scale_f32 v9, null, s16, s16, v6
	v_div_scale_f32 v10, null, s16, s16, v7
	s_delay_alu instid0(VALU_DEP_3) | instskip(SKIP_1) | instid1(VALU_DEP_3)
	v_rcp_f32_e32 v12, v0
	v_div_scale_f32 v11, null, s16, s16, v8
	v_rcp_f32_e32 v13, v9
	s_delay_alu instid0(VALU_DEP_2) | instskip(SKIP_1) | instid1(VALU_DEP_2)
	v_rcp_f32_e32 v14, v10
	v_div_scale_f32 v16, vcc_lo, v5, s16, v5
	v_rcp_f32_e32 v15, v11
	v_div_scale_f32 v17, s0, v6, s16, v6
	v_fma_f32 v19, -v0, v12, 1.0
	v_div_scale_f32 v18, s1, v7, s16, v7
	s_delay_alu instid0(TRANS32_DEP_3) | instskip(NEXT) | instid1(TRANS32_DEP_2)
	v_fma_f32 v20, -v9, v13, 1.0
	v_fma_f32 v21, -v10, v14, 1.0
	s_delay_alu instid0(VALU_DEP_4) | instskip(SKIP_1) | instid1(VALU_DEP_4)
	v_fmac_f32_e32 v12, v19, v12
	v_div_scale_f32 v23, s2, v8, s16, v8
	v_fmac_f32_e32 v13, v20, v13
	s_delay_alu instid0(TRANS32_DEP_1) | instskip(NEXT) | instid1(VALU_DEP_4)
	v_fma_f32 v22, -v11, v15, 1.0
	v_dual_fmac_f32 v14, v21, v14 :: v_dual_mul_f32 v19, v16, v12
	s_delay_alu instid0(VALU_DEP_2) | instskip(NEXT) | instid1(VALU_DEP_2)
	v_dual_mul_f32 v20, v17, v13 :: v_dual_fmac_f32 v15, v22, v15
	v_mul_f32_e32 v21, v18, v14
	s_delay_alu instid0(VALU_DEP_3) | instskip(NEXT) | instid1(VALU_DEP_3)
	v_fma_f32 v24, -v0, v19, v16
	v_fma_f32 v25, -v9, v20, v17
	s_delay_alu instid0(VALU_DEP_4) | instskip(NEXT) | instid1(VALU_DEP_4)
	v_mul_f32_e32 v22, v23, v15
	v_fma_f32 v26, -v10, v21, v18
	s_delay_alu instid0(VALU_DEP_3) | instskip(NEXT) | instid1(VALU_DEP_3)
	v_dual_fmac_f32 v19, v24, v12 :: v_dual_fmac_f32 v20, v25, v13
	v_fma_f32 v27, -v11, v22, v23
	s_delay_alu instid0(VALU_DEP_3) | instskip(NEXT) | instid1(VALU_DEP_3)
	v_fmac_f32_e32 v21, v26, v14
	v_fma_f32 v0, -v0, v19, v16
	s_delay_alu instid0(VALU_DEP_4) | instskip(NEXT) | instid1(VALU_DEP_4)
	v_fma_f32 v9, -v9, v20, v17
	v_fmac_f32_e32 v22, v27, v15
	s_delay_alu instid0(VALU_DEP_4) | instskip(NEXT) | instid1(VALU_DEP_4)
	v_fma_f32 v10, -v10, v21, v18
	v_div_fmas_f32 v0, v0, v12, v19
	s_mov_b32 vcc_lo, s0
	s_delay_alu instid0(VALU_DEP_3)
	v_fma_f32 v11, -v11, v22, v23
	v_div_fmas_f32 v9, v9, v13, v20
	s_mov_b32 vcc_lo, s1
	v_div_fixup_f32 v5, v0, s16, v5
	v_div_fmas_f32 v10, v10, v14, v21
	s_mov_b32 vcc_lo, s2
	v_div_fixup_f32 v6, v9, s16, v6
	v_div_fmas_f32 v11, v11, v15, v22
	v_cmp_lt_u64_e32 vcc_lo, 0xffff, v[1:2]
	v_div_fixup_f32 v7, v10, s16, v7
	v_add_co_u32 v1, s0, v1, s5
	s_delay_alu instid0(VALU_DEP_4)
	v_div_fixup_f32 v8, v11, s16, v8
	v_add_co_ci_u32_e64 v2, s0, 0, v2, s0
	s_or_b32 s0, s3, vcc_lo
	global_store_b128 v[3:4], v[5:8], off offset:-8
	v_add_co_u32 v3, vcc_lo, v3, s8
	v_add_co_ci_u32_e32 v4, vcc_lo, 0, v4, vcc_lo
	s_and_b32 s0, exec_lo, s0
	s_delay_alu instid0(SALU_CYCLE_1) | instskip(NEXT) | instid1(SALU_CYCLE_1)
	s_or_b32 s4, s0, s4
	s_and_not1_b32 exec_lo, exec_lo, s4
	s_cbranch_execnz .LBB54_24
.LBB54_25:
	s_nop 0
	s_sendmsg sendmsg(MSG_DEALLOC_VGPRS)
	s_endpgm
	.section	.rodata,"a",@progbits
	.p2align	6, 0x0
	.amdhsa_kernel _ZN2at6native12_GLOBAL__N_125multi_tensor_apply_kernelINS1_28TensorListScalarListMetadataIfLi1EEENS1_25BinaryOpScalarListFunctorIfLi1ELi1ELi0EEEJSt7dividesIfEEEEvT_T0_DpT1_
		.amdhsa_group_segment_fixed_size 0
		.amdhsa_private_segment_fixed_size 0
		.amdhsa_kernarg_size 3784
		.amdhsa_user_sgpr_count 15
		.amdhsa_user_sgpr_dispatch_ptr 0
		.amdhsa_user_sgpr_queue_ptr 0
		.amdhsa_user_sgpr_kernarg_segment_ptr 1
		.amdhsa_user_sgpr_dispatch_id 0
		.amdhsa_user_sgpr_private_segment_size 0
		.amdhsa_wavefront_size32 1
		.amdhsa_uses_dynamic_stack 0
		.amdhsa_enable_private_segment 0
		.amdhsa_system_sgpr_workgroup_id_x 1
		.amdhsa_system_sgpr_workgroup_id_y 0
		.amdhsa_system_sgpr_workgroup_id_z 0
		.amdhsa_system_sgpr_workgroup_info 0
		.amdhsa_system_vgpr_workitem_id 0
		.amdhsa_next_free_vgpr 28
		.amdhsa_next_free_sgpr 22
		.amdhsa_reserve_vcc 1
		.amdhsa_float_round_mode_32 0
		.amdhsa_float_round_mode_16_64 0
		.amdhsa_float_denorm_mode_32 3
		.amdhsa_float_denorm_mode_16_64 3
		.amdhsa_dx10_clamp 1
		.amdhsa_ieee_mode 1
		.amdhsa_fp16_overflow 0
		.amdhsa_workgroup_processor_mode 1
		.amdhsa_memory_ordered 1
		.amdhsa_forward_progress 0
		.amdhsa_shared_vgpr_count 0
		.amdhsa_exception_fp_ieee_invalid_op 0
		.amdhsa_exception_fp_denorm_src 0
		.amdhsa_exception_fp_ieee_div_zero 0
		.amdhsa_exception_fp_ieee_overflow 0
		.amdhsa_exception_fp_ieee_underflow 0
		.amdhsa_exception_fp_ieee_inexact 0
		.amdhsa_exception_int_div_zero 0
	.end_amdhsa_kernel
	.section	.text._ZN2at6native12_GLOBAL__N_125multi_tensor_apply_kernelINS1_28TensorListScalarListMetadataIfLi1EEENS1_25BinaryOpScalarListFunctorIfLi1ELi1ELi0EEEJSt7dividesIfEEEEvT_T0_DpT1_,"axG",@progbits,_ZN2at6native12_GLOBAL__N_125multi_tensor_apply_kernelINS1_28TensorListScalarListMetadataIfLi1EEENS1_25BinaryOpScalarListFunctorIfLi1ELi1ELi0EEEJSt7dividesIfEEEEvT_T0_DpT1_,comdat
.Lfunc_end54:
	.size	_ZN2at6native12_GLOBAL__N_125multi_tensor_apply_kernelINS1_28TensorListScalarListMetadataIfLi1EEENS1_25BinaryOpScalarListFunctorIfLi1ELi1ELi0EEEJSt7dividesIfEEEEvT_T0_DpT1_, .Lfunc_end54-_ZN2at6native12_GLOBAL__N_125multi_tensor_apply_kernelINS1_28TensorListScalarListMetadataIfLi1EEENS1_25BinaryOpScalarListFunctorIfLi1ELi1ELi0EEEJSt7dividesIfEEEEvT_T0_DpT1_
                                        ; -- End function
	.section	.AMDGPU.csdata,"",@progbits
; Kernel info:
; codeLenInByte = 1840
; NumSgprs: 24
; NumVgprs: 28
; ScratchSize: 0
; MemoryBound: 0
; FloatMode: 240
; IeeeMode: 1
; LDSByteSize: 0 bytes/workgroup (compile time only)
; SGPRBlocks: 2
; VGPRBlocks: 3
; NumSGPRsForWavesPerEU: 24
; NumVGPRsForWavesPerEU: 28
; Occupancy: 16
; WaveLimiterHint : 0
; COMPUTE_PGM_RSRC2:SCRATCH_EN: 0
; COMPUTE_PGM_RSRC2:USER_SGPR: 15
; COMPUTE_PGM_RSRC2:TRAP_HANDLER: 0
; COMPUTE_PGM_RSRC2:TGID_X_EN: 1
; COMPUTE_PGM_RSRC2:TGID_Y_EN: 0
; COMPUTE_PGM_RSRC2:TGID_Z_EN: 0
; COMPUTE_PGM_RSRC2:TIDIG_COMP_CNT: 0
	.section	.text._ZN2at6native12_GLOBAL__N_125multi_tensor_apply_kernelINS1_28TensorListScalarListMetadataIN3c107complexIdEELi1EEENS1_25BinaryOpScalarListFunctorIS6_Li1ELi1ELi0EEEJSt7dividesIS6_EEEEvT_T0_DpT1_,"axG",@progbits,_ZN2at6native12_GLOBAL__N_125multi_tensor_apply_kernelINS1_28TensorListScalarListMetadataIN3c107complexIdEELi1EEENS1_25BinaryOpScalarListFunctorIS6_Li1ELi1ELi0EEEJSt7dividesIS6_EEEEvT_T0_DpT1_,comdat
	.globl	_ZN2at6native12_GLOBAL__N_125multi_tensor_apply_kernelINS1_28TensorListScalarListMetadataIN3c107complexIdEELi1EEENS1_25BinaryOpScalarListFunctorIS6_Li1ELi1ELi0EEEJSt7dividesIS6_EEEEvT_T0_DpT1_ ; -- Begin function _ZN2at6native12_GLOBAL__N_125multi_tensor_apply_kernelINS1_28TensorListScalarListMetadataIN3c107complexIdEELi1EEENS1_25BinaryOpScalarListFunctorIS6_Li1ELi1ELi0EEEJSt7dividesIS6_EEEEvT_T0_DpT1_
	.p2align	8
	.type	_ZN2at6native12_GLOBAL__N_125multi_tensor_apply_kernelINS1_28TensorListScalarListMetadataIN3c107complexIdEELi1EEENS1_25BinaryOpScalarListFunctorIS6_Li1ELi1ELi0EEEJSt7dividesIS6_EEEEvT_T0_DpT1_,@function
_ZN2at6native12_GLOBAL__N_125multi_tensor_apply_kernelINS1_28TensorListScalarListMetadataIN3c107complexIdEELi1EEENS1_25BinaryOpScalarListFunctorIS6_Li1ELi1ELi0EEEJSt7dividesIS6_EEEEvT_T0_DpT1_: ; @_ZN2at6native12_GLOBAL__N_125multi_tensor_apply_kernelINS1_28TensorListScalarListMetadataIN3c107complexIdEELi1EEENS1_25BinaryOpScalarListFunctorIS6_Li1ELi1ELi0EEEJSt7dividesIS6_EEEEvT_T0_DpT1_
; %bb.0:
	v_mov_b32_e32 v1, s15
	s_add_u32 s2, s0, s15
	s_mul_i32 s3, s15, 3
	s_mul_hi_u32 s4, s15, 3
	s_addc_u32 s5, s1, 0
	global_load_u8 v1, v1, s[0:1] offset:2304
	s_add_u32 s2, s2, s3
	s_addc_u32 s3, s5, s4
	s_load_b32 s2, s[2:3], 0xa40
	s_waitcnt vmcnt(0)
	v_readfirstlane_b32 s3, v1
	s_delay_alu instid0(VALU_DEP_1)
	s_lshl_b32 s8, s3, 3
	s_waitcnt lgkmcnt(0)
	s_ashr_i32 s3, s2, 31
	s_clause 0x1
	s_load_b64 s[14:15], s[0:1], s8 offset:0x0
	s_load_b64 s[4:5], s[0:1], s8 offset:0x240
	s_add_u32 s6, s0, s8
	s_addc_u32 s7, s1, 0
	s_lshl_b64 s[16:17], s[2:3], 20
	s_load_b128 s[8:11], s[6:7], s8 offset:0x480
	s_waitcnt lgkmcnt(0)
	s_add_u32 s7, s14, s16
	s_addc_u32 s26, s15, s17
	s_lshl_b64 s[2:3], s[2:3], 16
	s_and_b32 s6, s7, 63
	s_sub_u32 s12, s4, s2
	s_subb_u32 s13, s5, s3
	s_and_b32 s2, s4, 3
	s_mov_b32 s3, 0
	s_or_b32 s2, s6, s2
	s_delay_alu instid0(SALU_CYCLE_1)
	s_cmp_eq_u64 s[2:3], 0
	s_cbranch_scc1 .LBB55_53
; %bb.1:
	v_cmp_lt_i64_e64 s2, s[12:13], 1
	s_delay_alu instid0(VALU_DEP_1)
	s_and_b32 vcc_lo, exec_lo, s2
	s_cbranch_vccnz .LBB55_52
; %bb.2:
	v_div_scale_f64 v[1:2], null, s[8:9], s[8:9], s[10:11]
	v_div_scale_f64 v[7:8], vcc_lo, s[10:11], s[8:9], s[10:11]
	v_cmp_lt_f64_e64 s3, s[10:11], 0
	s_load_b32 s4, s[0:1], 0xf54
	v_cmp_gt_u64_e64 s5, 0x10000, s[12:13]
	v_dual_mov_b32 v30, 0 :: v_dual_lshlrev_b32 v29, 4, v0
	s_mov_b64 s[24:25], 0
	s_waitcnt lgkmcnt(0)
	s_and_b32 s4, s4, 0xffff
	s_delay_alu instid0(VALU_DEP_2)
	s_and_b32 s5, s5, exec_lo
	s_cselect_b32 s19, s13, 0
	s_cselect_b32 s18, s12, 0x10000
	s_lshl_b32 s5, s4, 1
	s_xor_b32 s6, s9, 0x80000000
	v_mad_u64_u32 v[31:32], null, s4, 48, v[29:30]
	v_add_co_u32 v30, s28, v0, s4
	s_delay_alu instid0(VALU_DEP_1) | instskip(SKIP_2) | instid1(VALU_DEP_4)
	v_add_co_ci_u32_e64 v33, null, 0, 0, s28
	v_add_co_u32 v39, s5, s5, v0
	v_rcp_f64_e32 v[3:4], v[1:2]
	v_or_b32_e32 v31, 8, v31
	v_lshlrev_b32_e32 v36, 4, v30
	v_add_co_ci_u32_e64 v40, null, 0, 0, s5
	s_waitcnt_depctr 0xfff
	v_fma_f64 v[5:6], -v[1:2], v[3:4], 1.0
	s_delay_alu instid0(VALU_DEP_1) | instskip(NEXT) | instid1(VALU_DEP_1)
	v_fma_f64 v[3:4], v[3:4], v[5:6], v[3:4]
	v_fma_f64 v[5:6], -v[1:2], v[3:4], 1.0
	s_delay_alu instid0(VALU_DEP_1) | instskip(NEXT) | instid1(VALU_DEP_1)
	v_fma_f64 v[3:4], v[3:4], v[5:6], v[3:4]
	v_mul_f64 v[5:6], v[7:8], v[3:4]
	s_delay_alu instid0(VALU_DEP_1) | instskip(NEXT) | instid1(VALU_DEP_1)
	v_fma_f64 v[1:2], -v[1:2], v[5:6], v[7:8]
	v_div_fmas_f64 v[1:2], v[1:2], v[3:4], v[5:6]
	v_div_scale_f64 v[5:6], null, s[10:11], s[10:11], s[8:9]
	s_delay_alu instid0(VALU_DEP_2) | instskip(NEXT) | instid1(VALU_DEP_2)
	v_div_fixup_f64 v[21:22], v[1:2], s[8:9], s[10:11]
	v_rcp_f64_e32 v[9:10], v[5:6]
	s_delay_alu instid0(VALU_DEP_1) | instskip(SKIP_4) | instid1(VALU_DEP_3)
	v_fma_f64 v[1:2], s[10:11], v[21:22], s[8:9]
	s_waitcnt_depctr 0xfff
	v_fma_f64 v[13:14], -v[5:6], v[9:10], 1.0
	v_div_scale_f64 v[3:4], null, v[1:2], v[1:2], 1.0
	v_div_scale_f64 v[15:16], vcc_lo, 1.0, v[1:2], 1.0
	v_fma_f64 v[9:10], v[9:10], v[13:14], v[9:10]
	s_delay_alu instid0(VALU_DEP_3) | instskip(NEXT) | instid1(VALU_DEP_1)
	v_rcp_f64_e32 v[7:8], v[3:4]
	v_fma_f64 v[13:14], -v[5:6], v[9:10], 1.0
	s_waitcnt_depctr 0xfff
	v_fma_f64 v[11:12], -v[3:4], v[7:8], 1.0
	v_fma_f64 v[9:10], v[9:10], v[13:14], v[9:10]
	s_delay_alu instid0(VALU_DEP_2) | instskip(NEXT) | instid1(VALU_DEP_1)
	v_fma_f64 v[7:8], v[7:8], v[11:12], v[7:8]
	v_fma_f64 v[11:12], -v[3:4], v[7:8], 1.0
	s_delay_alu instid0(VALU_DEP_1) | instskip(SKIP_1) | instid1(VALU_DEP_2)
	v_fma_f64 v[7:8], v[7:8], v[11:12], v[7:8]
	v_div_scale_f64 v[11:12], s2, s[8:9], s[10:11], s[8:9]
	v_mul_f64 v[13:14], v[15:16], v[7:8]
	s_delay_alu instid0(VALU_DEP_2) | instskip(NEXT) | instid1(VALU_DEP_2)
	v_mul_f64 v[17:18], v[11:12], v[9:10]
	v_fma_f64 v[3:4], -v[3:4], v[13:14], v[15:16]
	s_delay_alu instid0(VALU_DEP_2) | instskip(NEXT) | instid1(VALU_DEP_2)
	v_fma_f64 v[5:6], -v[5:6], v[17:18], v[11:12]
	v_div_fmas_f64 v[3:4], v[3:4], v[7:8], v[13:14]
	s_mov_b32 vcc_lo, s2
	v_cmp_lt_f64_e64 s2, s[8:9], 0
	s_delay_alu instid0(VALU_DEP_3) | instskip(NEXT) | instid1(VALU_DEP_3)
	v_div_fmas_f64 v[5:6], v[5:6], v[9:10], v[17:18]
	v_div_fixup_f64 v[25:26], v[3:4], v[1:2], 1.0
	s_delay_alu instid0(VALU_DEP_3) | instskip(NEXT) | instid1(VALU_DEP_2)
	s_and_b32 s2, s2, exec_lo
	v_div_fixup_f64 v[23:24], v[5:6], s[10:11], s[8:9]
	s_cselect_b32 s21, s6, s9
	s_cselect_b32 s20, s8, s8
	s_xor_b32 s2, s11, 0x80000000
	s_and_b32 s3, s3, exec_lo
	s_cselect_b32 s23, s2, s11
	s_cselect_b32 s22, s10, s10
	v_cmp_neq_f64_e64 s2, s[8:9], 0
	v_cmp_neq_f64_e64 s3, s[10:11], 0
	v_cmp_ge_f64_e64 s27, s[20:21], s[22:23]
	s_lshl_b32 s28, s4, 5
	s_mul_i32 s6, s4, 3
	v_add_co_u32 v1, s28, s28, v29
	v_add_co_u32 v34, s6, s6, v0
	s_delay_alu instid0(VALU_DEP_1) | instskip(SKIP_1) | instid1(VALU_DEP_4)
	v_add_co_ci_u32_e64 v35, null, 0, 0, s6
	v_add_co_ci_u32_e64 v37, null, 0, 0, s28
	v_or_b32_e32 v38, 8, v1
	s_lshl_b32 s29, s4, 2
	s_lshl_b32 s30, s4, 6
	v_fma_f64 v[5:6], s[8:9], v[23:24], s[10:11]
	s_or_b32 s28, s2, s3
	s_delay_alu instid0(VALU_DEP_1) | instskip(NEXT) | instid1(VALU_DEP_1)
	v_div_scale_f64 v[7:8], null, v[5:6], v[5:6], 1.0
	v_rcp_f64_e32 v[9:10], v[7:8]
	s_waitcnt_depctr 0xfff
	v_fma_f64 v[11:12], -v[7:8], v[9:10], 1.0
	s_delay_alu instid0(VALU_DEP_1) | instskip(NEXT) | instid1(VALU_DEP_1)
	v_fma_f64 v[9:10], v[9:10], v[11:12], v[9:10]
	v_fma_f64 v[11:12], -v[7:8], v[9:10], 1.0
	s_delay_alu instid0(VALU_DEP_1) | instskip(SKIP_1) | instid1(VALU_DEP_1)
	v_fma_f64 v[9:10], v[9:10], v[11:12], v[9:10]
	v_div_scale_f64 v[11:12], vcc_lo, 1.0, v[5:6], 1.0
	v_mul_f64 v[13:14], v[11:12], v[9:10]
	s_delay_alu instid0(VALU_DEP_1) | instskip(NEXT) | instid1(VALU_DEP_1)
	v_fma_f64 v[7:8], -v[7:8], v[13:14], v[11:12]
	v_div_fmas_f64 v[7:8], v[7:8], v[9:10], v[13:14]
	s_delay_alu instid0(VALU_DEP_1)
	v_div_fixup_f64 v[27:28], v[7:8], v[5:6], 1.0
	s_branch .LBB55_4
.LBB55_3:                               ;   in Loop: Header=BB55_4 Depth=1
	s_or_b32 exec_lo, exec_lo, s2
	s_add_u32 s24, s24, s29
	s_addc_u32 s25, s25, 0
	s_delay_alu instid0(SALU_CYCLE_1) | instskip(SKIP_1) | instid1(VALU_DEP_1)
	v_cmp_ge_i64_e64 s2, s[24:25], s[12:13]
	v_cmp_lt_u64_e64 s3, 0xffff, s[24:25]
	s_or_b32 s2, s2, s3
	s_add_u32 s7, s7, s30
	s_addc_u32 s26, s26, 0
	s_and_b32 vcc_lo, exec_lo, s2
	s_cbranch_vccnz .LBB55_52
.LBB55_4:                               ; =>This Inner Loop Header: Depth=1
	v_add_co_u32 v1, s2, v0, s24
	s_delay_alu instid0(VALU_DEP_1) | instskip(SKIP_2) | instid1(VALU_DEP_3)
	v_add_co_ci_u32_e64 v2, null, 0, s25, s2
	v_mov_b32_e32 v15, 0
	v_mov_b32_e32 v16, 0
	v_cmp_gt_u64_e64 s2, s[18:19], v[1:2]
	s_delay_alu instid0(VALU_DEP_2) | instskip(SKIP_1) | instid1(VALU_DEP_3)
	v_dual_mov_b32 v20, v16 :: v_dual_mov_b32 v19, v15
	v_dual_mov_b32 v18, v16 :: v_dual_mov_b32 v17, v15
	s_and_saveexec_b32 s3, s2
	s_cbranch_execz .LBB55_6
; %bb.5:                                ;   in Loop: Header=BB55_4 Depth=1
	v_add_co_u32 v1, s4, s7, v29
	s_delay_alu instid0(VALU_DEP_1)
	v_add_co_ci_u32_e64 v2, null, s26, 0, s4
	global_load_b128 v[17:20], v[1:2], off
.LBB55_6:                               ;   in Loop: Header=BB55_4 Depth=1
	s_or_b32 exec_lo, exec_lo, s3
	v_add_co_u32 v1, vcc_lo, v30, s24
	v_add_co_ci_u32_e32 v2, vcc_lo, s25, v33, vcc_lo
	v_dual_mov_b32 v13, v15 :: v_dual_mov_b32 v14, v16
	s_delay_alu instid0(VALU_DEP_2) | instskip(NEXT) | instid1(VALU_DEP_1)
	v_cmp_gt_u64_e64 s3, s[18:19], v[1:2]
	s_and_saveexec_b32 s4, s3
	s_cbranch_execz .LBB55_8
; %bb.7:                                ;   in Loop: Header=BB55_4 Depth=1
	v_add_co_u32 v1, s5, s7, v36
	s_delay_alu instid0(VALU_DEP_1)
	v_add_co_ci_u32_e64 v2, null, s26, 0, s5
	global_load_b128 v[13:16], v[1:2], off
.LBB55_8:                               ;   in Loop: Header=BB55_4 Depth=1
	s_or_b32 exec_lo, exec_lo, s4
	v_add_co_u32 v1, vcc_lo, v39, s24
	v_add_co_ci_u32_e32 v2, vcc_lo, s25, v40, vcc_lo
	v_mov_b32_e32 v3, 0
	v_mov_b32_e32 v4, 0
	s_delay_alu instid0(VALU_DEP_3) | instskip(NEXT) | instid1(VALU_DEP_2)
	v_cmp_gt_u64_e64 s4, s[18:19], v[1:2]
	v_dual_mov_b32 v12, v4 :: v_dual_mov_b32 v11, v3
	v_dual_mov_b32 v10, v4 :: v_dual_mov_b32 v9, v3
	s_delay_alu instid0(VALU_DEP_3)
	s_and_saveexec_b32 s5, s4
	s_cbranch_execz .LBB55_10
; %bb.9:                                ;   in Loop: Header=BB55_4 Depth=1
	v_add_co_u32 v1, vcc_lo, s7, v38
	v_add_co_ci_u32_e32 v2, vcc_lo, s26, v37, vcc_lo
	global_load_b128 v[9:12], v[1:2], off offset:-8
.LBB55_10:                              ;   in Loop: Header=BB55_4 Depth=1
	s_or_b32 exec_lo, exec_lo, s5
	v_add_co_u32 v1, vcc_lo, v34, s24
	v_add_co_ci_u32_e32 v2, vcc_lo, s25, v35, vcc_lo
	s_delay_alu instid0(VALU_DEP_1) | instskip(SKIP_1) | instid1(VALU_DEP_2)
	v_cmp_gt_u64_e64 s5, s[18:19], v[1:2]
	v_dual_mov_b32 v1, v3 :: v_dual_mov_b32 v2, v4
	s_and_saveexec_b32 s6, s5
	s_cbranch_execz .LBB55_12
; %bb.11:                               ;   in Loop: Header=BB55_4 Depth=1
	v_add_co_u32 v1, vcc_lo, s7, v31
	v_add_co_ci_u32_e32 v2, vcc_lo, s26, v32, vcc_lo
	global_load_b128 v[1:4], v[1:2], off offset:-8
.LBB55_12:                              ;   in Loop: Header=BB55_4 Depth=1
	s_or_b32 exec_lo, exec_lo, s6
	s_delay_alu instid0(SALU_CYCLE_1)
	s_and_b32 vcc_lo, exec_lo, s27
	s_cbranch_vccz .LBB55_15
; %bb.13:                               ;   in Loop: Header=BB55_4 Depth=1
	s_and_b32 vcc_lo, exec_lo, s28
	s_cbranch_vccz .LBB55_16
; %bb.14:                               ;   in Loop: Header=BB55_4 Depth=1
	s_waitcnt vmcnt(0)
	v_fma_f64 v[5:6], v[21:22], v[19:20], v[17:18]
	v_fma_f64 v[7:8], -v[21:22], v[17:18], v[19:20]
	s_delay_alu instid0(VALU_DEP_2) | instskip(NEXT) | instid1(VALU_DEP_2)
	v_mul_f64 v[5:6], v[25:26], v[5:6]
	v_mul_f64 v[7:8], v[25:26], v[7:8]
	s_cbranch_execz .LBB55_17
	s_branch .LBB55_18
.LBB55_15:                              ;   in Loop: Header=BB55_4 Depth=1
                                        ; implicit-def: $vgpr7_vgpr8
	s_branch .LBB55_19
.LBB55_16:                              ;   in Loop: Header=BB55_4 Depth=1
                                        ; implicit-def: $vgpr7_vgpr8
.LBB55_17:                              ;   in Loop: Header=BB55_4 Depth=1
	s_waitcnt vmcnt(0)
	v_div_scale_f64 v[5:6], null, s[20:21], s[20:21], v[17:18]
	v_div_scale_f64 v[7:8], null, s[22:23], s[22:23], v[19:20]
	v_div_scale_f64 v[49:50], vcc_lo, v[17:18], s[20:21], v[17:18]
	s_delay_alu instid0(VALU_DEP_3) | instskip(NEXT) | instid1(VALU_DEP_2)
	v_rcp_f64_e32 v[41:42], v[5:6]
	v_rcp_f64_e32 v[43:44], v[7:8]
	s_waitcnt_depctr 0xfff
	v_fma_f64 v[45:46], -v[5:6], v[41:42], 1.0
	v_fma_f64 v[47:48], -v[7:8], v[43:44], 1.0
	s_delay_alu instid0(VALU_DEP_2) | instskip(NEXT) | instid1(VALU_DEP_2)
	v_fma_f64 v[41:42], v[41:42], v[45:46], v[41:42]
	v_fma_f64 v[43:44], v[43:44], v[47:48], v[43:44]
	s_delay_alu instid0(VALU_DEP_2) | instskip(NEXT) | instid1(VALU_DEP_2)
	v_fma_f64 v[45:46], -v[5:6], v[41:42], 1.0
	v_fma_f64 v[47:48], -v[7:8], v[43:44], 1.0
	s_delay_alu instid0(VALU_DEP_2) | instskip(SKIP_1) | instid1(VALU_DEP_3)
	v_fma_f64 v[41:42], v[41:42], v[45:46], v[41:42]
	v_div_scale_f64 v[45:46], s6, v[19:20], s[22:23], v[19:20]
	v_fma_f64 v[43:44], v[43:44], v[47:48], v[43:44]
	s_delay_alu instid0(VALU_DEP_3) | instskip(NEXT) | instid1(VALU_DEP_2)
	v_mul_f64 v[47:48], v[49:50], v[41:42]
	v_mul_f64 v[51:52], v[45:46], v[43:44]
	s_delay_alu instid0(VALU_DEP_2) | instskip(NEXT) | instid1(VALU_DEP_2)
	v_fma_f64 v[5:6], -v[5:6], v[47:48], v[49:50]
	v_fma_f64 v[7:8], -v[7:8], v[51:52], v[45:46]
	s_delay_alu instid0(VALU_DEP_2) | instskip(SKIP_1) | instid1(VALU_DEP_2)
	v_div_fmas_f64 v[5:6], v[5:6], v[41:42], v[47:48]
	s_mov_b32 vcc_lo, s6
	v_div_fmas_f64 v[7:8], v[7:8], v[43:44], v[51:52]
	s_delay_alu instid0(VALU_DEP_2) | instskip(NEXT) | instid1(VALU_DEP_2)
	v_div_fixup_f64 v[5:6], v[5:6], s[20:21], v[17:18]
	v_div_fixup_f64 v[7:8], v[7:8], s[22:23], v[19:20]
.LBB55_18:                              ;   in Loop: Header=BB55_4 Depth=1
	s_cbranch_execnz .LBB55_20
.LBB55_19:                              ;   in Loop: Header=BB55_4 Depth=1
	s_waitcnt vmcnt(0)
	v_fma_f64 v[5:6], v[23:24], v[17:18], v[19:20]
	v_fma_f64 v[7:8], v[23:24], v[19:20], -v[17:18]
	s_delay_alu instid0(VALU_DEP_2) | instskip(NEXT) | instid1(VALU_DEP_2)
	v_mul_f64 v[5:6], v[27:28], v[5:6]
	v_mul_f64 v[7:8], v[27:28], v[7:8]
.LBB55_20:                              ;   in Loop: Header=BB55_4 Depth=1
	s_waitcnt vmcnt(0)
	v_cndmask_b32_e64 v17, 0, 1, s28
	s_and_not1_b32 vcc_lo, exec_lo, s27
	s_delay_alu instid0(VALU_DEP_1)
	v_cmp_ne_u32_e64 s6, 1, v17
	s_cbranch_vccnz .LBB55_23
; %bb.21:                               ;   in Loop: Header=BB55_4 Depth=1
	s_delay_alu instid0(VALU_DEP_1)
	s_and_b32 vcc_lo, exec_lo, s6
	s_cbranch_vccnz .LBB55_24
; %bb.22:                               ;   in Loop: Header=BB55_4 Depth=1
	v_fma_f64 v[17:18], v[21:22], v[15:16], v[13:14]
	v_fma_f64 v[19:20], -v[21:22], v[13:14], v[15:16]
	s_delay_alu instid0(VALU_DEP_2) | instskip(NEXT) | instid1(VALU_DEP_2)
	v_mul_f64 v[17:18], v[25:26], v[17:18]
	v_mul_f64 v[19:20], v[25:26], v[19:20]
	s_cbranch_execz .LBB55_25
	s_branch .LBB55_26
.LBB55_23:                              ;   in Loop: Header=BB55_4 Depth=1
                                        ; implicit-def: $vgpr19_vgpr20
	s_branch .LBB55_27
.LBB55_24:                              ;   in Loop: Header=BB55_4 Depth=1
                                        ; implicit-def: $vgpr19_vgpr20
.LBB55_25:                              ;   in Loop: Header=BB55_4 Depth=1
	v_div_scale_f64 v[17:18], null, s[20:21], s[20:21], v[13:14]
	v_div_scale_f64 v[19:20], null, s[22:23], s[22:23], v[15:16]
	v_div_scale_f64 v[49:50], vcc_lo, v[13:14], s[20:21], v[13:14]
	s_delay_alu instid0(VALU_DEP_3) | instskip(NEXT) | instid1(VALU_DEP_2)
	v_rcp_f64_e32 v[41:42], v[17:18]
	v_rcp_f64_e32 v[43:44], v[19:20]
	s_waitcnt_depctr 0xfff
	v_fma_f64 v[45:46], -v[17:18], v[41:42], 1.0
	v_fma_f64 v[47:48], -v[19:20], v[43:44], 1.0
	s_delay_alu instid0(VALU_DEP_2) | instskip(NEXT) | instid1(VALU_DEP_2)
	v_fma_f64 v[41:42], v[41:42], v[45:46], v[41:42]
	v_fma_f64 v[43:44], v[43:44], v[47:48], v[43:44]
	s_delay_alu instid0(VALU_DEP_2) | instskip(NEXT) | instid1(VALU_DEP_2)
	v_fma_f64 v[45:46], -v[17:18], v[41:42], 1.0
	v_fma_f64 v[47:48], -v[19:20], v[43:44], 1.0
	s_delay_alu instid0(VALU_DEP_2) | instskip(SKIP_1) | instid1(VALU_DEP_3)
	v_fma_f64 v[41:42], v[41:42], v[45:46], v[41:42]
	v_div_scale_f64 v[45:46], s6, v[15:16], s[22:23], v[15:16]
	v_fma_f64 v[43:44], v[43:44], v[47:48], v[43:44]
	s_delay_alu instid0(VALU_DEP_3) | instskip(NEXT) | instid1(VALU_DEP_2)
	v_mul_f64 v[47:48], v[49:50], v[41:42]
	v_mul_f64 v[51:52], v[45:46], v[43:44]
	s_delay_alu instid0(VALU_DEP_2) | instskip(NEXT) | instid1(VALU_DEP_2)
	v_fma_f64 v[17:18], -v[17:18], v[47:48], v[49:50]
	v_fma_f64 v[19:20], -v[19:20], v[51:52], v[45:46]
	s_delay_alu instid0(VALU_DEP_2) | instskip(SKIP_1) | instid1(VALU_DEP_2)
	v_div_fmas_f64 v[17:18], v[17:18], v[41:42], v[47:48]
	s_mov_b32 vcc_lo, s6
	v_div_fmas_f64 v[19:20], v[19:20], v[43:44], v[51:52]
	s_delay_alu instid0(VALU_DEP_2) | instskip(NEXT) | instid1(VALU_DEP_2)
	v_div_fixup_f64 v[17:18], v[17:18], s[20:21], v[13:14]
	v_div_fixup_f64 v[19:20], v[19:20], s[22:23], v[15:16]
.LBB55_26:                              ;   in Loop: Header=BB55_4 Depth=1
	s_cbranch_execnz .LBB55_28
.LBB55_27:                              ;   in Loop: Header=BB55_4 Depth=1
	v_fma_f64 v[17:18], v[23:24], v[13:14], v[15:16]
	v_fma_f64 v[13:14], v[23:24], v[15:16], -v[13:14]
	s_delay_alu instid0(VALU_DEP_2) | instskip(NEXT) | instid1(VALU_DEP_2)
	v_mul_f64 v[17:18], v[27:28], v[17:18]
	v_mul_f64 v[19:20], v[27:28], v[13:14]
.LBB55_28:                              ;   in Loop: Header=BB55_4 Depth=1
	s_and_not1_b32 vcc_lo, exec_lo, s27
	s_cbranch_vccnz .LBB55_31
; %bb.29:                               ;   in Loop: Header=BB55_4 Depth=1
	s_and_not1_b32 vcc_lo, exec_lo, s28
	s_cbranch_vccnz .LBB55_32
; %bb.30:                               ;   in Loop: Header=BB55_4 Depth=1
	v_fma_f64 v[13:14], v[21:22], v[11:12], v[9:10]
	v_fma_f64 v[15:16], -v[21:22], v[9:10], v[11:12]
	s_delay_alu instid0(VALU_DEP_2) | instskip(NEXT) | instid1(VALU_DEP_2)
	v_mul_f64 v[13:14], v[25:26], v[13:14]
	v_mul_f64 v[15:16], v[25:26], v[15:16]
	s_cbranch_execz .LBB55_33
	s_branch .LBB55_34
.LBB55_31:                              ;   in Loop: Header=BB55_4 Depth=1
                                        ; implicit-def: $vgpr15_vgpr16
	s_branch .LBB55_35
.LBB55_32:                              ;   in Loop: Header=BB55_4 Depth=1
                                        ; implicit-def: $vgpr15_vgpr16
.LBB55_33:                              ;   in Loop: Header=BB55_4 Depth=1
	v_div_scale_f64 v[13:14], null, s[20:21], s[20:21], v[9:10]
	v_div_scale_f64 v[15:16], null, s[22:23], s[22:23], v[11:12]
	v_div_scale_f64 v[49:50], vcc_lo, v[9:10], s[20:21], v[9:10]
	s_delay_alu instid0(VALU_DEP_3) | instskip(NEXT) | instid1(VALU_DEP_2)
	v_rcp_f64_e32 v[41:42], v[13:14]
	v_rcp_f64_e32 v[43:44], v[15:16]
	s_waitcnt_depctr 0xfff
	v_fma_f64 v[45:46], -v[13:14], v[41:42], 1.0
	v_fma_f64 v[47:48], -v[15:16], v[43:44], 1.0
	s_delay_alu instid0(VALU_DEP_2) | instskip(NEXT) | instid1(VALU_DEP_2)
	v_fma_f64 v[41:42], v[41:42], v[45:46], v[41:42]
	v_fma_f64 v[43:44], v[43:44], v[47:48], v[43:44]
	s_delay_alu instid0(VALU_DEP_2) | instskip(NEXT) | instid1(VALU_DEP_2)
	v_fma_f64 v[45:46], -v[13:14], v[41:42], 1.0
	v_fma_f64 v[47:48], -v[15:16], v[43:44], 1.0
	s_delay_alu instid0(VALU_DEP_2) | instskip(SKIP_1) | instid1(VALU_DEP_3)
	v_fma_f64 v[41:42], v[41:42], v[45:46], v[41:42]
	v_div_scale_f64 v[45:46], s6, v[11:12], s[22:23], v[11:12]
	v_fma_f64 v[43:44], v[43:44], v[47:48], v[43:44]
	s_delay_alu instid0(VALU_DEP_3) | instskip(NEXT) | instid1(VALU_DEP_2)
	v_mul_f64 v[47:48], v[49:50], v[41:42]
	v_mul_f64 v[51:52], v[45:46], v[43:44]
	s_delay_alu instid0(VALU_DEP_2) | instskip(NEXT) | instid1(VALU_DEP_2)
	v_fma_f64 v[13:14], -v[13:14], v[47:48], v[49:50]
	v_fma_f64 v[15:16], -v[15:16], v[51:52], v[45:46]
	s_delay_alu instid0(VALU_DEP_2) | instskip(SKIP_1) | instid1(VALU_DEP_2)
	v_div_fmas_f64 v[13:14], v[13:14], v[41:42], v[47:48]
	s_mov_b32 vcc_lo, s6
	v_div_fmas_f64 v[15:16], v[15:16], v[43:44], v[51:52]
	s_delay_alu instid0(VALU_DEP_2) | instskip(NEXT) | instid1(VALU_DEP_2)
	v_div_fixup_f64 v[13:14], v[13:14], s[20:21], v[9:10]
	v_div_fixup_f64 v[15:16], v[15:16], s[22:23], v[11:12]
.LBB55_34:                              ;   in Loop: Header=BB55_4 Depth=1
	s_cbranch_execnz .LBB55_36
.LBB55_35:                              ;   in Loop: Header=BB55_4 Depth=1
	v_fma_f64 v[13:14], v[23:24], v[9:10], v[11:12]
	v_fma_f64 v[9:10], v[23:24], v[11:12], -v[9:10]
	s_delay_alu instid0(VALU_DEP_2) | instskip(NEXT) | instid1(VALU_DEP_2)
	v_mul_f64 v[13:14], v[27:28], v[13:14]
	v_mul_f64 v[15:16], v[27:28], v[9:10]
.LBB55_36:                              ;   in Loop: Header=BB55_4 Depth=1
	s_and_not1_b32 vcc_lo, exec_lo, s27
	s_cbranch_vccnz .LBB55_39
; %bb.37:                               ;   in Loop: Header=BB55_4 Depth=1
	s_and_not1_b32 vcc_lo, exec_lo, s28
	s_cbranch_vccnz .LBB55_40
; %bb.38:                               ;   in Loop: Header=BB55_4 Depth=1
	v_fma_f64 v[9:10], v[21:22], v[3:4], v[1:2]
	v_fma_f64 v[11:12], -v[21:22], v[1:2], v[3:4]
	s_delay_alu instid0(VALU_DEP_2) | instskip(NEXT) | instid1(VALU_DEP_2)
	v_mul_f64 v[9:10], v[25:26], v[9:10]
	v_mul_f64 v[11:12], v[25:26], v[11:12]
	s_cbranch_execz .LBB55_41
	s_branch .LBB55_42
.LBB55_39:                              ;   in Loop: Header=BB55_4 Depth=1
                                        ; implicit-def: $vgpr11_vgpr12
	s_branch .LBB55_43
.LBB55_40:                              ;   in Loop: Header=BB55_4 Depth=1
                                        ; implicit-def: $vgpr11_vgpr12
.LBB55_41:                              ;   in Loop: Header=BB55_4 Depth=1
	v_div_scale_f64 v[9:10], null, s[20:21], s[20:21], v[1:2]
	v_div_scale_f64 v[11:12], null, s[22:23], s[22:23], v[3:4]
	v_div_scale_f64 v[49:50], vcc_lo, v[1:2], s[20:21], v[1:2]
	s_delay_alu instid0(VALU_DEP_3) | instskip(NEXT) | instid1(VALU_DEP_2)
	v_rcp_f64_e32 v[41:42], v[9:10]
	v_rcp_f64_e32 v[43:44], v[11:12]
	s_waitcnt_depctr 0xfff
	v_fma_f64 v[45:46], -v[9:10], v[41:42], 1.0
	v_fma_f64 v[47:48], -v[11:12], v[43:44], 1.0
	s_delay_alu instid0(VALU_DEP_2) | instskip(NEXT) | instid1(VALU_DEP_2)
	v_fma_f64 v[41:42], v[41:42], v[45:46], v[41:42]
	v_fma_f64 v[43:44], v[43:44], v[47:48], v[43:44]
	s_delay_alu instid0(VALU_DEP_2) | instskip(NEXT) | instid1(VALU_DEP_2)
	v_fma_f64 v[45:46], -v[9:10], v[41:42], 1.0
	v_fma_f64 v[47:48], -v[11:12], v[43:44], 1.0
	s_delay_alu instid0(VALU_DEP_2) | instskip(SKIP_1) | instid1(VALU_DEP_3)
	v_fma_f64 v[41:42], v[41:42], v[45:46], v[41:42]
	v_div_scale_f64 v[45:46], s6, v[3:4], s[22:23], v[3:4]
	v_fma_f64 v[43:44], v[43:44], v[47:48], v[43:44]
	s_delay_alu instid0(VALU_DEP_3) | instskip(NEXT) | instid1(VALU_DEP_2)
	v_mul_f64 v[47:48], v[49:50], v[41:42]
	v_mul_f64 v[51:52], v[45:46], v[43:44]
	s_delay_alu instid0(VALU_DEP_2) | instskip(NEXT) | instid1(VALU_DEP_2)
	v_fma_f64 v[9:10], -v[9:10], v[47:48], v[49:50]
	v_fma_f64 v[11:12], -v[11:12], v[51:52], v[45:46]
	s_delay_alu instid0(VALU_DEP_2) | instskip(SKIP_1) | instid1(VALU_DEP_2)
	v_div_fmas_f64 v[9:10], v[9:10], v[41:42], v[47:48]
	s_mov_b32 vcc_lo, s6
	v_div_fmas_f64 v[11:12], v[11:12], v[43:44], v[51:52]
	s_delay_alu instid0(VALU_DEP_2) | instskip(NEXT) | instid1(VALU_DEP_2)
	v_div_fixup_f64 v[9:10], v[9:10], s[20:21], v[1:2]
	v_div_fixup_f64 v[11:12], v[11:12], s[22:23], v[3:4]
.LBB55_42:                              ;   in Loop: Header=BB55_4 Depth=1
	s_cbranch_execnz .LBB55_44
.LBB55_43:                              ;   in Loop: Header=BB55_4 Depth=1
	v_fma_f64 v[9:10], v[23:24], v[1:2], v[3:4]
	v_fma_f64 v[1:2], v[23:24], v[3:4], -v[1:2]
	s_delay_alu instid0(VALU_DEP_2) | instskip(NEXT) | instid1(VALU_DEP_2)
	v_mul_f64 v[9:10], v[27:28], v[9:10]
	v_mul_f64 v[11:12], v[27:28], v[1:2]
.LBB55_44:                              ;   in Loop: Header=BB55_4 Depth=1
	s_and_saveexec_b32 s6, s2
	s_delay_alu instid0(SALU_CYCLE_1)
	s_xor_b32 s2, exec_lo, s6
	s_cbranch_execnz .LBB55_48
; %bb.45:                               ;   in Loop: Header=BB55_4 Depth=1
	s_or_b32 exec_lo, exec_lo, s2
	s_and_saveexec_b32 s2, s3
	s_cbranch_execnz .LBB55_49
.LBB55_46:                              ;   in Loop: Header=BB55_4 Depth=1
	s_or_b32 exec_lo, exec_lo, s2
	s_and_saveexec_b32 s2, s4
	s_cbranch_execnz .LBB55_50
.LBB55_47:                              ;   in Loop: Header=BB55_4 Depth=1
	s_or_b32 exec_lo, exec_lo, s2
	s_and_saveexec_b32 s2, s5
	s_cbranch_execz .LBB55_3
	s_branch .LBB55_51
.LBB55_48:                              ;   in Loop: Header=BB55_4 Depth=1
	v_add_co_u32 v1, s6, s7, v29
	s_delay_alu instid0(VALU_DEP_1)
	v_add_co_ci_u32_e64 v2, null, s26, 0, s6
	global_store_b128 v[1:2], v[5:8], off
	s_or_b32 exec_lo, exec_lo, s2
	s_and_saveexec_b32 s2, s3
	s_cbranch_execz .LBB55_46
.LBB55_49:                              ;   in Loop: Header=BB55_4 Depth=1
	v_add_co_u32 v1, s3, s7, v36
	s_delay_alu instid0(VALU_DEP_1)
	v_add_co_ci_u32_e64 v2, null, s26, 0, s3
	global_store_b128 v[1:2], v[17:20], off
	s_or_b32 exec_lo, exec_lo, s2
	s_and_saveexec_b32 s2, s4
	s_cbranch_execz .LBB55_47
.LBB55_50:                              ;   in Loop: Header=BB55_4 Depth=1
	v_add_co_u32 v1, vcc_lo, s7, v38
	v_add_co_ci_u32_e32 v2, vcc_lo, s26, v37, vcc_lo
	global_store_b128 v[1:2], v[13:16], off offset:-8
	s_or_b32 exec_lo, exec_lo, s2
	s_and_saveexec_b32 s2, s5
	s_cbranch_execz .LBB55_3
.LBB55_51:                              ;   in Loop: Header=BB55_4 Depth=1
	v_add_co_u32 v1, vcc_lo, s7, v31
	v_add_co_ci_u32_e32 v2, vcc_lo, s26, v32, vcc_lo
	global_store_b128 v[1:2], v[9:12], off offset:-8
	s_branch .LBB55_3
.LBB55_52:
	s_cbranch_execz .LBB55_54
	s_branch .LBB55_89
.LBB55_53:
.LBB55_54:
	v_dual_mov_b32 v21, 0 :: v_dual_lshlrev_b32 v20, 2, v0
	s_mov_b32 s6, 0
	s_mov_b32 s2, exec_lo
	s_delay_alu instid0(VALU_DEP_1)
	v_cmpx_gt_i64_e64 s[12:13], v[20:21]
	s_cbranch_execz .LBB55_89
; %bb.55:
	v_div_scale_f64 v[1:2], null, s[8:9], s[8:9], s[10:11]
	v_div_scale_f64 v[7:8], vcc_lo, s[10:11], s[8:9], s[10:11]
	v_cmp_lt_f64_e64 s4, s[10:11], 0
	v_cmp_neq_f64_e64 s7, s[8:9], 0
	v_cmp_neq_f64_e64 s18, s[10:11], 0
	s_load_b32 s0, s[0:1], 0xf54
	s_xor_b32 s1, s9, 0x80000000
	v_rcp_f64_e32 v[3:4], v[1:2]
	s_waitcnt_depctr 0xfff
	v_fma_f64 v[5:6], -v[1:2], v[3:4], 1.0
	s_delay_alu instid0(VALU_DEP_1) | instskip(NEXT) | instid1(VALU_DEP_1)
	v_fma_f64 v[3:4], v[3:4], v[5:6], v[3:4]
	v_fma_f64 v[5:6], -v[1:2], v[3:4], 1.0
	s_delay_alu instid0(VALU_DEP_1) | instskip(NEXT) | instid1(VALU_DEP_1)
	v_fma_f64 v[3:4], v[3:4], v[5:6], v[3:4]
	v_mul_f64 v[5:6], v[7:8], v[3:4]
	s_delay_alu instid0(VALU_DEP_1) | instskip(NEXT) | instid1(VALU_DEP_1)
	v_fma_f64 v[1:2], -v[1:2], v[5:6], v[7:8]
	v_div_fmas_f64 v[1:2], v[1:2], v[3:4], v[5:6]
	v_div_scale_f64 v[5:6], null, s[10:11], s[10:11], s[8:9]
	s_delay_alu instid0(VALU_DEP_2) | instskip(NEXT) | instid1(VALU_DEP_2)
	v_div_fixup_f64 v[22:23], v[1:2], s[8:9], s[10:11]
	v_rcp_f64_e32 v[9:10], v[5:6]
	s_delay_alu instid0(VALU_DEP_1) | instskip(SKIP_4) | instid1(VALU_DEP_3)
	v_fma_f64 v[1:2], s[10:11], v[22:23], s[8:9]
	s_waitcnt_depctr 0xfff
	v_fma_f64 v[13:14], -v[5:6], v[9:10], 1.0
	v_div_scale_f64 v[3:4], null, v[1:2], v[1:2], 1.0
	v_div_scale_f64 v[15:16], vcc_lo, 1.0, v[1:2], 1.0
	v_fma_f64 v[9:10], v[9:10], v[13:14], v[9:10]
	s_delay_alu instid0(VALU_DEP_3) | instskip(NEXT) | instid1(VALU_DEP_1)
	v_rcp_f64_e32 v[7:8], v[3:4]
	v_fma_f64 v[13:14], -v[5:6], v[9:10], 1.0
	s_waitcnt_depctr 0xfff
	v_fma_f64 v[11:12], -v[3:4], v[7:8], 1.0
	v_fma_f64 v[9:10], v[9:10], v[13:14], v[9:10]
	s_delay_alu instid0(VALU_DEP_2) | instskip(NEXT) | instid1(VALU_DEP_1)
	v_fma_f64 v[7:8], v[7:8], v[11:12], v[7:8]
	v_fma_f64 v[11:12], -v[3:4], v[7:8], 1.0
	s_delay_alu instid0(VALU_DEP_1) | instskip(SKIP_1) | instid1(VALU_DEP_2)
	v_fma_f64 v[7:8], v[7:8], v[11:12], v[7:8]
	v_div_scale_f64 v[11:12], s2, s[8:9], s[10:11], s[8:9]
	v_mul_f64 v[13:14], v[15:16], v[7:8]
	s_delay_alu instid0(VALU_DEP_2) | instskip(NEXT) | instid1(VALU_DEP_2)
	v_mul_f64 v[17:18], v[11:12], v[9:10]
	v_fma_f64 v[3:4], -v[3:4], v[13:14], v[15:16]
	s_delay_alu instid0(VALU_DEP_2) | instskip(NEXT) | instid1(VALU_DEP_2)
	v_fma_f64 v[5:6], -v[5:6], v[17:18], v[11:12]
	v_div_fmas_f64 v[3:4], v[3:4], v[7:8], v[13:14]
	s_mov_b32 vcc_lo, s2
	v_cmp_lt_f64_e64 s2, s[8:9], 0
	s_delay_alu instid0(VALU_DEP_3) | instskip(NEXT) | instid1(VALU_DEP_3)
	v_div_fmas_f64 v[5:6], v[5:6], v[9:10], v[17:18]
	v_div_fixup_f64 v[26:27], v[3:4], v[1:2], 1.0
	s_delay_alu instid0(VALU_DEP_3) | instskip(NEXT) | instid1(VALU_DEP_2)
	s_and_b32 s2, s2, exec_lo
	v_div_fixup_f64 v[24:25], v[5:6], s[10:11], s[8:9]
	s_cselect_b32 s3, s1, s9
	s_cselect_b32 s2, s8, s8
	s_xor_b32 s1, s11, 0x80000000
	s_and_b32 s4, s4, exec_lo
	s_cselect_b32 s5, s1, s11
	s_cselect_b32 s4, s10, s10
	s_waitcnt lgkmcnt(0)
	s_and_b32 s0, s0, 0xffff
	s_or_b32 s1, s7, s18
	v_add_lshl_u32 v20, v0, s0, 2
	v_lshlrev_b32_e32 v0, 6, v0
	s_lshl_b32 s7, s0, 2
	s_delay_alu instid0(VALU_DEP_3) | instskip(SKIP_3) | instid1(VALU_DEP_1)
	v_fma_f64 v[5:6], s[8:9], v[24:25], s[10:11]
	s_add_u32 s8, s14, s16
	s_addc_u32 s9, s15, s17
	v_add_co_u32 v30, s8, s8, v0
	v_add_co_ci_u32_e64 v31, null, s9, 0, s8
	v_cmp_ge_f64_e64 s8, s[2:3], s[4:5]
	s_lshl_b32 s9, s0, 6
	s_delay_alu instid0(VALU_DEP_4) | instskip(NEXT) | instid1(VALU_DEP_1)
	v_div_scale_f64 v[7:8], null, v[5:6], v[5:6], 1.0
	v_rcp_f64_e32 v[9:10], v[7:8]
	s_waitcnt_depctr 0xfff
	v_fma_f64 v[11:12], -v[7:8], v[9:10], 1.0
	s_delay_alu instid0(VALU_DEP_1) | instskip(NEXT) | instid1(VALU_DEP_1)
	v_fma_f64 v[9:10], v[9:10], v[11:12], v[9:10]
	v_fma_f64 v[11:12], -v[7:8], v[9:10], 1.0
	s_delay_alu instid0(VALU_DEP_1) | instskip(SKIP_1) | instid1(VALU_DEP_1)
	v_fma_f64 v[9:10], v[9:10], v[11:12], v[9:10]
	v_div_scale_f64 v[11:12], vcc_lo, 1.0, v[5:6], 1.0
	v_mul_f64 v[13:14], v[11:12], v[9:10]
	s_delay_alu instid0(VALU_DEP_1) | instskip(NEXT) | instid1(VALU_DEP_1)
	v_fma_f64 v[7:8], -v[7:8], v[13:14], v[11:12]
	v_div_fmas_f64 v[7:8], v[7:8], v[9:10], v[13:14]
	s_delay_alu instid0(VALU_DEP_1)
	v_div_fixup_f64 v[28:29], v[7:8], v[5:6], 1.0
	s_branch .LBB55_57
.LBB55_56:                              ;   in Loop: Header=BB55_57 Depth=1
	v_cmp_le_i64_e32 vcc_lo, s[12:13], v[20:21]
	v_cmp_lt_u64_e64 s0, 0xffff, v[20:21]
	global_store_b128 v[30:31], v[4:7], off
	s_waitcnt vmcnt(0)
	s_clause 0x2
	global_store_b128 v[30:31], v[12:15], off offset:16
	global_store_b128 v[30:31], v[16:19], off offset:32
	;; [unrolled: 1-line block ×3, first 2 shown]
	s_or_b32 s0, vcc_lo, s0
	v_add_co_u32 v20, vcc_lo, v20, s7
	v_add_co_ci_u32_e32 v21, vcc_lo, 0, v21, vcc_lo
	v_add_co_u32 v30, vcc_lo, v30, s9
	v_add_co_ci_u32_e32 v31, vcc_lo, 0, v31, vcc_lo
	s_and_b32 s0, exec_lo, s0
	s_delay_alu instid0(SALU_CYCLE_1) | instskip(NEXT) | instid1(SALU_CYCLE_1)
	s_or_b32 s6, s0, s6
	s_and_not1_b32 exec_lo, exec_lo, s6
	s_cbranch_execz .LBB55_89
.LBB55_57:                              ; =>This Inner Loop Header: Depth=1
	s_clause 0x3
	global_load_b128 v[0:3], v[30:31], off offset:48
	global_load_b128 v[8:11], v[30:31], off offset:32
	global_load_b128 v[16:19], v[30:31], off offset:16
	global_load_b128 v[12:15], v[30:31], off
	s_and_not1_b32 vcc_lo, exec_lo, s8
	s_cbranch_vccnz .LBB55_60
; %bb.58:                               ;   in Loop: Header=BB55_57 Depth=1
	s_and_b32 vcc_lo, exec_lo, s1
	s_cbranch_vccz .LBB55_61
; %bb.59:                               ;   in Loop: Header=BB55_57 Depth=1
	s_waitcnt vmcnt(0)
	v_fma_f64 v[4:5], v[22:23], v[14:15], v[12:13]
	v_fma_f64 v[6:7], -v[22:23], v[12:13], v[14:15]
	s_delay_alu instid0(VALU_DEP_2) | instskip(NEXT) | instid1(VALU_DEP_2)
	v_mul_f64 v[4:5], v[26:27], v[4:5]
	v_mul_f64 v[6:7], v[26:27], v[6:7]
	s_cbranch_execz .LBB55_62
	s_branch .LBB55_63
.LBB55_60:                              ;   in Loop: Header=BB55_57 Depth=1
                                        ; implicit-def: $vgpr6_vgpr7
	s_branch .LBB55_64
.LBB55_61:                              ;   in Loop: Header=BB55_57 Depth=1
                                        ; implicit-def: $vgpr6_vgpr7
.LBB55_62:                              ;   in Loop: Header=BB55_57 Depth=1
	s_waitcnt vmcnt(0)
	v_div_scale_f64 v[4:5], null, s[2:3], s[2:3], v[12:13]
	v_div_scale_f64 v[6:7], null, s[4:5], s[4:5], v[14:15]
	v_div_scale_f64 v[40:41], vcc_lo, v[12:13], s[2:3], v[12:13]
	s_delay_alu instid0(VALU_DEP_3) | instskip(NEXT) | instid1(VALU_DEP_2)
	v_rcp_f64_e32 v[32:33], v[4:5]
	v_rcp_f64_e32 v[34:35], v[6:7]
	s_waitcnt_depctr 0xfff
	v_fma_f64 v[36:37], -v[4:5], v[32:33], 1.0
	v_fma_f64 v[38:39], -v[6:7], v[34:35], 1.0
	s_delay_alu instid0(VALU_DEP_2) | instskip(NEXT) | instid1(VALU_DEP_2)
	v_fma_f64 v[32:33], v[32:33], v[36:37], v[32:33]
	v_fma_f64 v[34:35], v[34:35], v[38:39], v[34:35]
	s_delay_alu instid0(VALU_DEP_2) | instskip(NEXT) | instid1(VALU_DEP_2)
	v_fma_f64 v[36:37], -v[4:5], v[32:33], 1.0
	v_fma_f64 v[38:39], -v[6:7], v[34:35], 1.0
	s_delay_alu instid0(VALU_DEP_2) | instskip(SKIP_1) | instid1(VALU_DEP_3)
	v_fma_f64 v[32:33], v[32:33], v[36:37], v[32:33]
	v_div_scale_f64 v[36:37], s0, v[14:15], s[4:5], v[14:15]
	v_fma_f64 v[34:35], v[34:35], v[38:39], v[34:35]
	s_delay_alu instid0(VALU_DEP_3) | instskip(NEXT) | instid1(VALU_DEP_2)
	v_mul_f64 v[38:39], v[40:41], v[32:33]
	v_mul_f64 v[42:43], v[36:37], v[34:35]
	s_delay_alu instid0(VALU_DEP_2) | instskip(NEXT) | instid1(VALU_DEP_2)
	v_fma_f64 v[4:5], -v[4:5], v[38:39], v[40:41]
	v_fma_f64 v[6:7], -v[6:7], v[42:43], v[36:37]
	s_delay_alu instid0(VALU_DEP_2) | instskip(SKIP_1) | instid1(VALU_DEP_2)
	v_div_fmas_f64 v[4:5], v[4:5], v[32:33], v[38:39]
	s_mov_b32 vcc_lo, s0
	v_div_fmas_f64 v[6:7], v[6:7], v[34:35], v[42:43]
	s_delay_alu instid0(VALU_DEP_2) | instskip(NEXT) | instid1(VALU_DEP_2)
	v_div_fixup_f64 v[4:5], v[4:5], s[2:3], v[12:13]
	v_div_fixup_f64 v[6:7], v[6:7], s[4:5], v[14:15]
.LBB55_63:                              ;   in Loop: Header=BB55_57 Depth=1
	s_cbranch_execnz .LBB55_65
.LBB55_64:                              ;   in Loop: Header=BB55_57 Depth=1
	s_waitcnt vmcnt(0)
	v_fma_f64 v[4:5], v[24:25], v[12:13], v[14:15]
	v_fma_f64 v[6:7], v[24:25], v[14:15], -v[12:13]
	s_delay_alu instid0(VALU_DEP_2) | instskip(NEXT) | instid1(VALU_DEP_2)
	v_mul_f64 v[4:5], v[28:29], v[4:5]
	v_mul_f64 v[6:7], v[28:29], v[6:7]
.LBB55_65:                              ;   in Loop: Header=BB55_57 Depth=1
	s_and_not1_b32 vcc_lo, exec_lo, s8
	s_cbranch_vccnz .LBB55_68
; %bb.66:                               ;   in Loop: Header=BB55_57 Depth=1
	s_and_not1_b32 vcc_lo, exec_lo, s1
	s_cbranch_vccnz .LBB55_69
; %bb.67:                               ;   in Loop: Header=BB55_57 Depth=1
	s_waitcnt vmcnt(0)
	v_fma_f64 v[12:13], v[22:23], v[18:19], v[16:17]
	v_fma_f64 v[14:15], -v[22:23], v[16:17], v[18:19]
	s_delay_alu instid0(VALU_DEP_2) | instskip(NEXT) | instid1(VALU_DEP_2)
	v_mul_f64 v[12:13], v[26:27], v[12:13]
	v_mul_f64 v[14:15], v[26:27], v[14:15]
	s_cbranch_execz .LBB55_70
	s_branch .LBB55_71
.LBB55_68:                              ;   in Loop: Header=BB55_57 Depth=1
                                        ; implicit-def: $vgpr14_vgpr15
	s_branch .LBB55_72
.LBB55_69:                              ;   in Loop: Header=BB55_57 Depth=1
                                        ; implicit-def: $vgpr14_vgpr15
.LBB55_70:                              ;   in Loop: Header=BB55_57 Depth=1
	s_waitcnt vmcnt(0)
	v_div_scale_f64 v[12:13], null, s[2:3], s[2:3], v[16:17]
	v_div_scale_f64 v[14:15], null, s[4:5], s[4:5], v[18:19]
	v_div_scale_f64 v[40:41], vcc_lo, v[16:17], s[2:3], v[16:17]
	s_delay_alu instid0(VALU_DEP_3) | instskip(NEXT) | instid1(VALU_DEP_2)
	v_rcp_f64_e32 v[32:33], v[12:13]
	v_rcp_f64_e32 v[34:35], v[14:15]
	s_waitcnt_depctr 0xfff
	v_fma_f64 v[36:37], -v[12:13], v[32:33], 1.0
	v_fma_f64 v[38:39], -v[14:15], v[34:35], 1.0
	s_delay_alu instid0(VALU_DEP_2) | instskip(NEXT) | instid1(VALU_DEP_2)
	v_fma_f64 v[32:33], v[32:33], v[36:37], v[32:33]
	v_fma_f64 v[34:35], v[34:35], v[38:39], v[34:35]
	s_delay_alu instid0(VALU_DEP_2) | instskip(NEXT) | instid1(VALU_DEP_2)
	v_fma_f64 v[36:37], -v[12:13], v[32:33], 1.0
	v_fma_f64 v[38:39], -v[14:15], v[34:35], 1.0
	s_delay_alu instid0(VALU_DEP_2) | instskip(SKIP_1) | instid1(VALU_DEP_3)
	v_fma_f64 v[32:33], v[32:33], v[36:37], v[32:33]
	v_div_scale_f64 v[36:37], s0, v[18:19], s[4:5], v[18:19]
	v_fma_f64 v[34:35], v[34:35], v[38:39], v[34:35]
	s_delay_alu instid0(VALU_DEP_3) | instskip(NEXT) | instid1(VALU_DEP_2)
	v_mul_f64 v[38:39], v[40:41], v[32:33]
	v_mul_f64 v[42:43], v[36:37], v[34:35]
	s_delay_alu instid0(VALU_DEP_2) | instskip(NEXT) | instid1(VALU_DEP_2)
	v_fma_f64 v[12:13], -v[12:13], v[38:39], v[40:41]
	v_fma_f64 v[14:15], -v[14:15], v[42:43], v[36:37]
	s_delay_alu instid0(VALU_DEP_2) | instskip(SKIP_1) | instid1(VALU_DEP_2)
	v_div_fmas_f64 v[12:13], v[12:13], v[32:33], v[38:39]
	s_mov_b32 vcc_lo, s0
	v_div_fmas_f64 v[14:15], v[14:15], v[34:35], v[42:43]
	s_delay_alu instid0(VALU_DEP_2) | instskip(NEXT) | instid1(VALU_DEP_2)
	v_div_fixup_f64 v[12:13], v[12:13], s[2:3], v[16:17]
	v_div_fixup_f64 v[14:15], v[14:15], s[4:5], v[18:19]
.LBB55_71:                              ;   in Loop: Header=BB55_57 Depth=1
	s_cbranch_execnz .LBB55_73
.LBB55_72:                              ;   in Loop: Header=BB55_57 Depth=1
	s_waitcnt vmcnt(0)
	v_fma_f64 v[12:13], v[24:25], v[16:17], v[18:19]
	v_fma_f64 v[14:15], v[24:25], v[18:19], -v[16:17]
	s_delay_alu instid0(VALU_DEP_2) | instskip(NEXT) | instid1(VALU_DEP_2)
	v_mul_f64 v[12:13], v[28:29], v[12:13]
	v_mul_f64 v[14:15], v[28:29], v[14:15]
.LBB55_73:                              ;   in Loop: Header=BB55_57 Depth=1
	s_and_not1_b32 vcc_lo, exec_lo, s8
	s_cbranch_vccnz .LBB55_76
; %bb.74:                               ;   in Loop: Header=BB55_57 Depth=1
	s_and_not1_b32 vcc_lo, exec_lo, s1
	s_cbranch_vccnz .LBB55_77
; %bb.75:                               ;   in Loop: Header=BB55_57 Depth=1
	s_waitcnt vmcnt(1)
	v_fma_f64 v[16:17], v[22:23], v[10:11], v[8:9]
	v_fma_f64 v[18:19], -v[22:23], v[8:9], v[10:11]
	s_delay_alu instid0(VALU_DEP_2) | instskip(NEXT) | instid1(VALU_DEP_2)
	v_mul_f64 v[16:17], v[26:27], v[16:17]
	v_mul_f64 v[18:19], v[26:27], v[18:19]
	s_cbranch_execz .LBB55_78
	s_branch .LBB55_79
.LBB55_76:                              ;   in Loop: Header=BB55_57 Depth=1
                                        ; implicit-def: $vgpr18_vgpr19
	s_branch .LBB55_80
.LBB55_77:                              ;   in Loop: Header=BB55_57 Depth=1
                                        ; implicit-def: $vgpr18_vgpr19
.LBB55_78:                              ;   in Loop: Header=BB55_57 Depth=1
	s_waitcnt vmcnt(1)
	v_div_scale_f64 v[16:17], null, s[2:3], s[2:3], v[8:9]
	v_div_scale_f64 v[18:19], null, s[4:5], s[4:5], v[10:11]
	v_div_scale_f64 v[40:41], vcc_lo, v[8:9], s[2:3], v[8:9]
	s_delay_alu instid0(VALU_DEP_3) | instskip(NEXT) | instid1(VALU_DEP_2)
	v_rcp_f64_e32 v[32:33], v[16:17]
	v_rcp_f64_e32 v[34:35], v[18:19]
	s_waitcnt_depctr 0xfff
	v_fma_f64 v[36:37], -v[16:17], v[32:33], 1.0
	v_fma_f64 v[38:39], -v[18:19], v[34:35], 1.0
	s_delay_alu instid0(VALU_DEP_2) | instskip(NEXT) | instid1(VALU_DEP_2)
	v_fma_f64 v[32:33], v[32:33], v[36:37], v[32:33]
	v_fma_f64 v[34:35], v[34:35], v[38:39], v[34:35]
	s_delay_alu instid0(VALU_DEP_2) | instskip(NEXT) | instid1(VALU_DEP_2)
	v_fma_f64 v[36:37], -v[16:17], v[32:33], 1.0
	v_fma_f64 v[38:39], -v[18:19], v[34:35], 1.0
	s_delay_alu instid0(VALU_DEP_2) | instskip(SKIP_1) | instid1(VALU_DEP_3)
	v_fma_f64 v[32:33], v[32:33], v[36:37], v[32:33]
	v_div_scale_f64 v[36:37], s0, v[10:11], s[4:5], v[10:11]
	v_fma_f64 v[34:35], v[34:35], v[38:39], v[34:35]
	s_delay_alu instid0(VALU_DEP_3) | instskip(NEXT) | instid1(VALU_DEP_2)
	v_mul_f64 v[38:39], v[40:41], v[32:33]
	v_mul_f64 v[42:43], v[36:37], v[34:35]
	s_delay_alu instid0(VALU_DEP_2) | instskip(NEXT) | instid1(VALU_DEP_2)
	v_fma_f64 v[16:17], -v[16:17], v[38:39], v[40:41]
	v_fma_f64 v[18:19], -v[18:19], v[42:43], v[36:37]
	s_delay_alu instid0(VALU_DEP_2) | instskip(SKIP_1) | instid1(VALU_DEP_2)
	v_div_fmas_f64 v[16:17], v[16:17], v[32:33], v[38:39]
	s_mov_b32 vcc_lo, s0
	v_div_fmas_f64 v[18:19], v[18:19], v[34:35], v[42:43]
	s_delay_alu instid0(VALU_DEP_2) | instskip(NEXT) | instid1(VALU_DEP_2)
	v_div_fixup_f64 v[16:17], v[16:17], s[2:3], v[8:9]
	v_div_fixup_f64 v[18:19], v[18:19], s[4:5], v[10:11]
.LBB55_79:                              ;   in Loop: Header=BB55_57 Depth=1
	s_cbranch_execnz .LBB55_81
.LBB55_80:                              ;   in Loop: Header=BB55_57 Depth=1
	s_waitcnt vmcnt(1)
	v_fma_f64 v[16:17], v[24:25], v[8:9], v[10:11]
	v_fma_f64 v[8:9], v[24:25], v[10:11], -v[8:9]
	s_delay_alu instid0(VALU_DEP_2) | instskip(NEXT) | instid1(VALU_DEP_2)
	v_mul_f64 v[16:17], v[28:29], v[16:17]
	v_mul_f64 v[18:19], v[28:29], v[8:9]
.LBB55_81:                              ;   in Loop: Header=BB55_57 Depth=1
	s_and_not1_b32 vcc_lo, exec_lo, s8
	s_cbranch_vccnz .LBB55_84
; %bb.82:                               ;   in Loop: Header=BB55_57 Depth=1
	s_and_not1_b32 vcc_lo, exec_lo, s1
	s_cbranch_vccnz .LBB55_85
; %bb.83:                               ;   in Loop: Header=BB55_57 Depth=1
	s_waitcnt vmcnt(2)
	v_fma_f64 v[8:9], v[22:23], v[2:3], v[0:1]
	v_fma_f64 v[10:11], -v[22:23], v[0:1], v[2:3]
	s_delay_alu instid0(VALU_DEP_2) | instskip(NEXT) | instid1(VALU_DEP_2)
	v_mul_f64 v[8:9], v[26:27], v[8:9]
	v_mul_f64 v[10:11], v[26:27], v[10:11]
	s_cbranch_execz .LBB55_86
	s_branch .LBB55_87
.LBB55_84:                              ;   in Loop: Header=BB55_57 Depth=1
                                        ; implicit-def: $vgpr10_vgpr11
	s_branch .LBB55_88
.LBB55_85:                              ;   in Loop: Header=BB55_57 Depth=1
                                        ; implicit-def: $vgpr10_vgpr11
.LBB55_86:                              ;   in Loop: Header=BB55_57 Depth=1
	s_waitcnt vmcnt(2)
	v_div_scale_f64 v[8:9], null, s[2:3], s[2:3], v[0:1]
	v_div_scale_f64 v[10:11], null, s[4:5], s[4:5], v[2:3]
	v_div_scale_f64 v[40:41], vcc_lo, v[0:1], s[2:3], v[0:1]
	s_delay_alu instid0(VALU_DEP_3) | instskip(NEXT) | instid1(VALU_DEP_2)
	v_rcp_f64_e32 v[32:33], v[8:9]
	v_rcp_f64_e32 v[34:35], v[10:11]
	s_waitcnt_depctr 0xfff
	v_fma_f64 v[36:37], -v[8:9], v[32:33], 1.0
	v_fma_f64 v[38:39], -v[10:11], v[34:35], 1.0
	s_delay_alu instid0(VALU_DEP_2) | instskip(NEXT) | instid1(VALU_DEP_2)
	v_fma_f64 v[32:33], v[32:33], v[36:37], v[32:33]
	v_fma_f64 v[34:35], v[34:35], v[38:39], v[34:35]
	s_delay_alu instid0(VALU_DEP_2) | instskip(NEXT) | instid1(VALU_DEP_2)
	v_fma_f64 v[36:37], -v[8:9], v[32:33], 1.0
	v_fma_f64 v[38:39], -v[10:11], v[34:35], 1.0
	s_delay_alu instid0(VALU_DEP_2) | instskip(SKIP_1) | instid1(VALU_DEP_3)
	v_fma_f64 v[32:33], v[32:33], v[36:37], v[32:33]
	v_div_scale_f64 v[36:37], s0, v[2:3], s[4:5], v[2:3]
	v_fma_f64 v[34:35], v[34:35], v[38:39], v[34:35]
	s_delay_alu instid0(VALU_DEP_3) | instskip(NEXT) | instid1(VALU_DEP_2)
	v_mul_f64 v[38:39], v[40:41], v[32:33]
	v_mul_f64 v[42:43], v[36:37], v[34:35]
	s_delay_alu instid0(VALU_DEP_2) | instskip(NEXT) | instid1(VALU_DEP_2)
	v_fma_f64 v[8:9], -v[8:9], v[38:39], v[40:41]
	v_fma_f64 v[10:11], -v[10:11], v[42:43], v[36:37]
	s_delay_alu instid0(VALU_DEP_2) | instskip(SKIP_1) | instid1(VALU_DEP_2)
	v_div_fmas_f64 v[8:9], v[8:9], v[32:33], v[38:39]
	s_mov_b32 vcc_lo, s0
	v_div_fmas_f64 v[10:11], v[10:11], v[34:35], v[42:43]
	s_delay_alu instid0(VALU_DEP_2) | instskip(NEXT) | instid1(VALU_DEP_2)
	v_div_fixup_f64 v[8:9], v[8:9], s[2:3], v[0:1]
	v_div_fixup_f64 v[10:11], v[10:11], s[4:5], v[2:3]
.LBB55_87:                              ;   in Loop: Header=BB55_57 Depth=1
	s_cbranch_execnz .LBB55_56
.LBB55_88:                              ;   in Loop: Header=BB55_57 Depth=1
	s_waitcnt vmcnt(2)
	v_fma_f64 v[8:9], v[24:25], v[0:1], v[2:3]
	v_fma_f64 v[0:1], v[24:25], v[2:3], -v[0:1]
	s_delay_alu instid0(VALU_DEP_2) | instskip(NEXT) | instid1(VALU_DEP_2)
	v_mul_f64 v[8:9], v[28:29], v[8:9]
	v_mul_f64 v[10:11], v[28:29], v[0:1]
	s_branch .LBB55_56
.LBB55_89:
	s_nop 0
	s_sendmsg sendmsg(MSG_DEALLOC_VGPRS)
	s_endpgm
	.section	.rodata,"a",@progbits
	.p2align	6, 0x0
	.amdhsa_kernel _ZN2at6native12_GLOBAL__N_125multi_tensor_apply_kernelINS1_28TensorListScalarListMetadataIN3c107complexIdEELi1EEENS1_25BinaryOpScalarListFunctorIS6_Li1ELi1ELi0EEEJSt7dividesIS6_EEEEvT_T0_DpT1_
		.amdhsa_group_segment_fixed_size 0
		.amdhsa_private_segment_fixed_size 0
		.amdhsa_kernarg_size 4168
		.amdhsa_user_sgpr_count 15
		.amdhsa_user_sgpr_dispatch_ptr 0
		.amdhsa_user_sgpr_queue_ptr 0
		.amdhsa_user_sgpr_kernarg_segment_ptr 1
		.amdhsa_user_sgpr_dispatch_id 0
		.amdhsa_user_sgpr_private_segment_size 0
		.amdhsa_wavefront_size32 1
		.amdhsa_uses_dynamic_stack 0
		.amdhsa_enable_private_segment 0
		.amdhsa_system_sgpr_workgroup_id_x 1
		.amdhsa_system_sgpr_workgroup_id_y 0
		.amdhsa_system_sgpr_workgroup_id_z 0
		.amdhsa_system_sgpr_workgroup_info 0
		.amdhsa_system_vgpr_workitem_id 0
		.amdhsa_next_free_vgpr 53
		.amdhsa_next_free_sgpr 31
		.amdhsa_reserve_vcc 1
		.amdhsa_float_round_mode_32 0
		.amdhsa_float_round_mode_16_64 0
		.amdhsa_float_denorm_mode_32 3
		.amdhsa_float_denorm_mode_16_64 3
		.amdhsa_dx10_clamp 1
		.amdhsa_ieee_mode 1
		.amdhsa_fp16_overflow 0
		.amdhsa_workgroup_processor_mode 1
		.amdhsa_memory_ordered 1
		.amdhsa_forward_progress 0
		.amdhsa_shared_vgpr_count 0
		.amdhsa_exception_fp_ieee_invalid_op 0
		.amdhsa_exception_fp_denorm_src 0
		.amdhsa_exception_fp_ieee_div_zero 0
		.amdhsa_exception_fp_ieee_overflow 0
		.amdhsa_exception_fp_ieee_underflow 0
		.amdhsa_exception_fp_ieee_inexact 0
		.amdhsa_exception_int_div_zero 0
	.end_amdhsa_kernel
	.section	.text._ZN2at6native12_GLOBAL__N_125multi_tensor_apply_kernelINS1_28TensorListScalarListMetadataIN3c107complexIdEELi1EEENS1_25BinaryOpScalarListFunctorIS6_Li1ELi1ELi0EEEJSt7dividesIS6_EEEEvT_T0_DpT1_,"axG",@progbits,_ZN2at6native12_GLOBAL__N_125multi_tensor_apply_kernelINS1_28TensorListScalarListMetadataIN3c107complexIdEELi1EEENS1_25BinaryOpScalarListFunctorIS6_Li1ELi1ELi0EEEJSt7dividesIS6_EEEEvT_T0_DpT1_,comdat
.Lfunc_end55:
	.size	_ZN2at6native12_GLOBAL__N_125multi_tensor_apply_kernelINS1_28TensorListScalarListMetadataIN3c107complexIdEELi1EEENS1_25BinaryOpScalarListFunctorIS6_Li1ELi1ELi0EEEJSt7dividesIS6_EEEEvT_T0_DpT1_, .Lfunc_end55-_ZN2at6native12_GLOBAL__N_125multi_tensor_apply_kernelINS1_28TensorListScalarListMetadataIN3c107complexIdEELi1EEENS1_25BinaryOpScalarListFunctorIS6_Li1ELi1ELi0EEEJSt7dividesIS6_EEEEvT_T0_DpT1_
                                        ; -- End function
	.section	.AMDGPU.csdata,"",@progbits
; Kernel info:
; codeLenInByte = 4828
; NumSgprs: 33
; NumVgprs: 53
; ScratchSize: 0
; MemoryBound: 1
; FloatMode: 240
; IeeeMode: 1
; LDSByteSize: 0 bytes/workgroup (compile time only)
; SGPRBlocks: 4
; VGPRBlocks: 6
; NumSGPRsForWavesPerEU: 33
; NumVGPRsForWavesPerEU: 53
; Occupancy: 16
; WaveLimiterHint : 0
; COMPUTE_PGM_RSRC2:SCRATCH_EN: 0
; COMPUTE_PGM_RSRC2:USER_SGPR: 15
; COMPUTE_PGM_RSRC2:TRAP_HANDLER: 0
; COMPUTE_PGM_RSRC2:TGID_X_EN: 1
; COMPUTE_PGM_RSRC2:TGID_Y_EN: 0
; COMPUTE_PGM_RSRC2:TGID_Z_EN: 0
; COMPUTE_PGM_RSRC2:TIDIG_COMP_CNT: 0
	.section	.text._ZN2at6native12_GLOBAL__N_125multi_tensor_apply_kernelINS1_28TensorListScalarListMetadataIN3c107complexIfEELi1EEENS1_25BinaryOpScalarListFunctorIS6_Li1ELi1ELi0EEEJSt7dividesIS6_EEEEvT_T0_DpT1_,"axG",@progbits,_ZN2at6native12_GLOBAL__N_125multi_tensor_apply_kernelINS1_28TensorListScalarListMetadataIN3c107complexIfEELi1EEENS1_25BinaryOpScalarListFunctorIS6_Li1ELi1ELi0EEEJSt7dividesIS6_EEEEvT_T0_DpT1_,comdat
	.globl	_ZN2at6native12_GLOBAL__N_125multi_tensor_apply_kernelINS1_28TensorListScalarListMetadataIN3c107complexIfEELi1EEENS1_25BinaryOpScalarListFunctorIS6_Li1ELi1ELi0EEEJSt7dividesIS6_EEEEvT_T0_DpT1_ ; -- Begin function _ZN2at6native12_GLOBAL__N_125multi_tensor_apply_kernelINS1_28TensorListScalarListMetadataIN3c107complexIfEELi1EEENS1_25BinaryOpScalarListFunctorIS6_Li1ELi1ELi0EEEJSt7dividesIS6_EEEEvT_T0_DpT1_
	.p2align	8
	.type	_ZN2at6native12_GLOBAL__N_125multi_tensor_apply_kernelINS1_28TensorListScalarListMetadataIN3c107complexIfEELi1EEENS1_25BinaryOpScalarListFunctorIS6_Li1ELi1ELi0EEEJSt7dividesIS6_EEEEvT_T0_DpT1_,@function
_ZN2at6native12_GLOBAL__N_125multi_tensor_apply_kernelINS1_28TensorListScalarListMetadataIN3c107complexIfEELi1EEENS1_25BinaryOpScalarListFunctorIS6_Li1ELi1ELi0EEEJSt7dividesIS6_EEEEvT_T0_DpT1_: ; @_ZN2at6native12_GLOBAL__N_125multi_tensor_apply_kernelINS1_28TensorListScalarListMetadataIN3c107complexIfEELi1EEENS1_25BinaryOpScalarListFunctorIS6_Li1ELi1ELi0EEEJSt7dividesIS6_EEEEvT_T0_DpT1_
; %bb.0:
	v_mov_b32_e32 v1, s15
	s_add_u32 s2, s0, s15
	s_mul_hi_u32 s3, s15, 3
	s_mul_i32 s15, s15, 3
	s_addc_u32 s4, s1, 0
	global_load_u8 v1, v1, s[0:1] offset:2304
	s_add_u32 s2, s2, s15
	s_addc_u32 s3, s4, s3
	s_mov_b32 s7, 0
	s_load_b32 s2, s[2:3], 0xa40
	s_waitcnt vmcnt(0)
	v_readfirstlane_b32 s5, v1
	s_delay_alu instid0(VALU_DEP_1)
	s_lshl_b32 s3, s5, 3
	s_clause 0x2
	s_load_b64 s[14:15], s[0:1], s3 offset:0x600
	s_load_b64 s[10:11], s[0:1], s3 offset:0x0
	;; [unrolled: 1-line block ×3, first 2 shown]
	s_waitcnt lgkmcnt(0)
	s_ashr_i32 s3, s2, 31
	s_delay_alu instid0(SALU_CYCLE_1) | instskip(NEXT) | instid1(SALU_CYCLE_1)
	s_lshl_b64 s[12:13], s[2:3], 19
	s_add_u32 s20, s10, s12
	s_addc_u32 s21, s11, s13
	s_lshl_b64 s[2:3], s[2:3], 16
	s_and_b32 s6, s20, 31
	s_sub_u32 s8, s4, s2
	s_subb_u32 s9, s5, s3
	s_and_b32 s2, s4, 3
	s_mov_b32 s3, s7
	s_delay_alu instid0(SALU_CYCLE_1) | instskip(NEXT) | instid1(SALU_CYCLE_1)
	s_or_b64 s[2:3], s[6:7], s[2:3]
	s_cmp_eq_u64 s[2:3], 0
	s_cbranch_scc1 .LBB56_53
; %bb.1:
	v_cmp_lt_i64_e64 s2, s[8:9], 1
	s_delay_alu instid0(VALU_DEP_1)
	s_and_b32 vcc_lo, exec_lo, s2
	s_cbranch_vccnz .LBB56_52
; %bb.2:
	v_div_scale_f32 v1, null, s14, s14, s15
	v_div_scale_f32 v4, vcc_lo, s15, s14, s15
	s_load_b32 s3, s[0:1], 0xf54
	s_delay_alu instid0(VALU_DEP_2)
	v_rcp_f32_e32 v2, v1
	v_cmp_gt_u64_e64 s4, 0x10000, s[8:9]
	v_cmp_neq_f32_e64 s5, s14, 0
	v_cmp_neq_f32_e64 s6, s15, 0
	s_mov_b64 s[18:19], 0
	s_waitcnt_depctr 0xfff
	v_fma_f32 v3, -v1, v2, 1.0
	s_delay_alu instid0(VALU_DEP_1) | instskip(SKIP_2) | instid1(VALU_DEP_1)
	v_fmac_f32_e32 v2, v3, v2
	s_waitcnt lgkmcnt(0)
	s_and_b32 s3, s3, 0xffff
	v_mul_f32_e32 v3, v4, v2
	s_and_b32 s4, s4, exec_lo
	s_cselect_b32 s17, s9, 0
	s_cselect_b32 s16, s8, 0x10000
	s_or_b32 s22, s5, s6
	v_fma_f32 v5, -v1, v3, v4
	v_add_co_u32 v19, s5, v0, s3
	s_delay_alu instid0(VALU_DEP_1) | instskip(NEXT) | instid1(VALU_DEP_3)
	v_add_co_ci_u32_e64 v20, null, 0, 0, s5
	v_fmac_f32_e32 v3, v5, v2
	s_lshl_b32 s5, s3, 4
	s_lshl_b32 s4, s3, 1
	s_mul_i32 s7, s3, 3
	v_add_co_u32 v27, s4, s4, v0
	v_fma_f32 v1, -v1, v3, v4
	v_lshlrev_b32_e32 v23, 3, v19
	v_add_co_ci_u32_e64 v28, null, 0, 0, s4
	s_lshl_b32 s23, s3, 2
	s_delay_alu instid0(VALU_DEP_3) | instskip(SKIP_2) | instid1(VALU_DEP_2)
	v_div_fmas_f32 v1, v1, v2, v3
	v_div_scale_f32 v2, null, s15, s15, s14
	s_lshl_b32 s24, s3, 5
	v_div_fixup_f32 v15, v1, s14, s15
	s_delay_alu instid0(VALU_DEP_2) | instskip(NEXT) | instid1(VALU_DEP_1)
	v_rcp_f32_e32 v4, v2
	v_fma_f32 v5, v15, s15, s14
	s_delay_alu instid0(VALU_DEP_1) | instskip(SKIP_4) | instid1(VALU_DEP_2)
	v_div_scale_f32 v1, null, v5, v5, 1.0
	s_waitcnt_depctr 0xfff
	v_fma_f32 v7, -v2, v4, 1.0
	v_div_scale_f32 v8, vcc_lo, 1.0, v5, 1.0
	v_rcp_f32_e32 v3, v1
	v_fmac_f32_e32 v4, v7, v4
	s_waitcnt_depctr 0xfff
	v_fma_f32 v6, -v1, v3, 1.0
	s_delay_alu instid0(VALU_DEP_1) | instskip(SKIP_1) | instid1(VALU_DEP_2)
	v_fmac_f32_e32 v3, v6, v3
	v_div_scale_f32 v6, s2, s14, s15, s14
	v_mul_f32_e32 v7, v8, v3
	s_delay_alu instid0(VALU_DEP_2) | instskip(NEXT) | instid1(VALU_DEP_2)
	v_mul_f32_e32 v9, v6, v4
	v_fma_f32 v10, -v1, v7, v8
	s_delay_alu instid0(VALU_DEP_2) | instskip(NEXT) | instid1(VALU_DEP_2)
	v_fma_f32 v11, -v2, v9, v6
	v_fmac_f32_e32 v7, v10, v3
	s_delay_alu instid0(VALU_DEP_2) | instskip(NEXT) | instid1(VALU_DEP_2)
	v_fmac_f32_e32 v9, v11, v4
	v_fma_f32 v1, -v1, v7, v8
	s_delay_alu instid0(VALU_DEP_2) | instskip(NEXT) | instid1(VALU_DEP_2)
	v_fma_f32 v2, -v2, v9, v6
	v_div_fmas_f32 v6, v1, v3, v7
	s_mov_b32 vcc_lo, s2
	v_cmp_lt_f32_e64 s2, s14, 0
	s_delay_alu instid0(VALU_DEP_3) | instskip(SKIP_2) | instid1(VALU_DEP_4)
	v_div_fmas_f32 v1, v2, v4, v9
	v_mov_b32_e32 v2, 0
	v_div_fixup_f32 v25, v6, v5, 1.0
	v_cndmask_b32_e64 v17, s14, -s14, s2
	s_delay_alu instid0(VALU_DEP_4) | instskip(SKIP_2) | instid1(VALU_DEP_3)
	v_div_fixup_f32 v16, v1, s15, s14
	v_lshlrev_b32_e32 v1, 3, v0
	v_cmp_lt_f32_e64 s2, s15, 0
	v_fma_f32 v7, v16, s14, s15
	s_delay_alu instid0(VALU_DEP_2) | instskip(NEXT) | instid1(VALU_DEP_2)
	v_cndmask_b32_e64 v18, s15, -s15, s2
	v_div_scale_f32 v8, null, v7, v7, 1.0
	v_div_scale_f32 v10, vcc_lo, 1.0, v7, 1.0
	s_delay_alu instid0(VALU_DEP_3) | instskip(NEXT) | instid1(VALU_DEP_3)
	v_cmp_ge_f32_e64 s2, v17, v18
	v_rcp_f32_e32 v9, v8
	s_waitcnt_depctr 0xfff
	v_fma_f32 v3, -v8, v9, 1.0
	s_delay_alu instid0(VALU_DEP_1) | instskip(SKIP_2) | instid1(VALU_DEP_3)
	v_fmac_f32_e32 v9, v3, v9
	v_mad_u64_u32 v[3:4], null, s3, 24, v[1:2]
	v_add_co_u32 v2, s6, s7, v0
	v_mul_f32_e32 v11, v10, v9
	v_add_co_ci_u32_e64 v21, null, 0, 0, s6
	s_delay_alu instid0(VALU_DEP_4) | instskip(NEXT) | instid1(VALU_DEP_3)
	v_or_b32_e32 v3, 4, v3
	v_fma_f32 v12, -v8, v11, v10
	s_delay_alu instid0(VALU_DEP_1) | instskip(NEXT) | instid1(VALU_DEP_1)
	v_fmac_f32_e32 v11, v12, v9
	v_fma_f32 v8, -v8, v11, v10
	v_add_co_u32 v10, s5, s5, v1
	s_delay_alu instid0(VALU_DEP_1) | instskip(NEXT) | instid1(VALU_DEP_3)
	v_add_co_ci_u32_e64 v22, null, 0, 0, s5
	v_div_fmas_f32 v8, v8, v9, v11
	s_delay_alu instid0(VALU_DEP_3) | instskip(NEXT) | instid1(VALU_DEP_2)
	v_or_b32_e32 v24, 4, v10
	v_div_fixup_f32 v26, v8, v7, 1.0
	s_branch .LBB56_4
.LBB56_3:                               ;   in Loop: Header=BB56_4 Depth=1
	s_or_b32 exec_lo, exec_lo, s3
	s_add_u32 s18, s18, s23
	s_addc_u32 s19, s19, 0
	s_delay_alu instid0(SALU_CYCLE_1) | instskip(SKIP_1) | instid1(VALU_DEP_1)
	v_cmp_ge_i64_e64 s3, s[18:19], s[8:9]
	v_cmp_lt_u64_e64 s4, 0xffff, s[18:19]
	s_or_b32 s3, s3, s4
	s_add_u32 s20, s20, s24
	s_addc_u32 s21, s21, 0
	s_and_b32 vcc_lo, exec_lo, s3
	s_cbranch_vccnz .LBB56_52
.LBB56_4:                               ; =>This Inner Loop Header: Depth=1
	v_add_co_u32 v5, s3, v0, s18
	s_delay_alu instid0(VALU_DEP_1) | instskip(SKIP_1) | instid1(VALU_DEP_2)
	v_add_co_ci_u32_e64 v6, null, 0, s19, s3
	v_dual_mov_b32 v12, 0 :: v_dual_mov_b32 v11, 0
	v_cmp_gt_u64_e64 s3, s[16:17], v[5:6]
	s_delay_alu instid0(VALU_DEP_1)
	s_and_saveexec_b32 s4, s3
	s_cbranch_execz .LBB56_6
; %bb.5:                                ;   in Loop: Header=BB56_4 Depth=1
	v_add_co_u32 v5, s5, s20, v1
	s_delay_alu instid0(VALU_DEP_1)
	v_add_co_ci_u32_e64 v6, null, s21, 0, s5
	global_load_b64 v[11:12], v[5:6], off
.LBB56_6:                               ;   in Loop: Header=BB56_4 Depth=1
	s_or_b32 exec_lo, exec_lo, s4
	v_add_co_u32 v5, vcc_lo, v19, s18
	v_add_co_ci_u32_e32 v6, vcc_lo, s19, v20, vcc_lo
	v_dual_mov_b32 v10, 0 :: v_dual_mov_b32 v13, 0
	v_mov_b32_e32 v14, 0
	s_delay_alu instid0(VALU_DEP_3) | instskip(NEXT) | instid1(VALU_DEP_1)
	v_cmp_gt_u64_e64 s4, s[16:17], v[5:6]
	s_and_saveexec_b32 s5, s4
	s_cbranch_execz .LBB56_8
; %bb.7:                                ;   in Loop: Header=BB56_4 Depth=1
	v_add_co_u32 v5, s6, s20, v23
	s_delay_alu instid0(VALU_DEP_1)
	v_add_co_ci_u32_e64 v6, null, s21, 0, s6
	global_load_b64 v[13:14], v[5:6], off
.LBB56_8:                               ;   in Loop: Header=BB56_4 Depth=1
	s_or_b32 exec_lo, exec_lo, s5
	v_add_co_u32 v5, vcc_lo, v27, s18
	v_add_co_ci_u32_e32 v6, vcc_lo, s19, v28, vcc_lo
	v_mov_b32_e32 v9, 0
	s_delay_alu instid0(VALU_DEP_2) | instskip(NEXT) | instid1(VALU_DEP_1)
	v_cmp_gt_u64_e64 s5, s[16:17], v[5:6]
	s_and_saveexec_b32 s6, s5
	s_cbranch_execz .LBB56_10
; %bb.9:                                ;   in Loop: Header=BB56_4 Depth=1
	v_add_co_u32 v5, vcc_lo, s20, v24
	v_add_co_ci_u32_e32 v6, vcc_lo, s21, v22, vcc_lo
	global_load_b64 v[9:10], v[5:6], off offset:-4
.LBB56_10:                              ;   in Loop: Header=BB56_4 Depth=1
	s_or_b32 exec_lo, exec_lo, s6
	v_add_co_u32 v5, vcc_lo, v2, s18
	v_add_co_ci_u32_e32 v6, vcc_lo, s19, v21, vcc_lo
	s_delay_alu instid0(VALU_DEP_1) | instskip(SKIP_1) | instid1(VALU_DEP_2)
	v_cmp_gt_u64_e64 s6, s[16:17], v[5:6]
	v_dual_mov_b32 v6, 0 :: v_dual_mov_b32 v5, 0
	s_and_saveexec_b32 s7, s6
	s_cbranch_execz .LBB56_12
; %bb.11:                               ;   in Loop: Header=BB56_4 Depth=1
	v_add_co_u32 v5, vcc_lo, s20, v3
	v_add_co_ci_u32_e32 v6, vcc_lo, s21, v4, vcc_lo
	global_load_b64 v[5:6], v[5:6], off offset:-4
.LBB56_12:                              ;   in Loop: Header=BB56_4 Depth=1
	s_or_b32 exec_lo, exec_lo, s7
	s_delay_alu instid0(SALU_CYCLE_1)
	s_and_b32 vcc_lo, exec_lo, s2
	s_cbranch_vccz .LBB56_15
; %bb.13:                               ;   in Loop: Header=BB56_4 Depth=1
	s_and_b32 vcc_lo, exec_lo, s22
	s_cbranch_vccz .LBB56_16
; %bb.14:                               ;   in Loop: Header=BB56_4 Depth=1
	s_waitcnt vmcnt(0)
	v_fma_f32 v7, v15, v12, v11
	v_fma_f32 v8, -v15, v11, v12
	s_delay_alu instid0(VALU_DEP_2) | instskip(NEXT) | instid1(VALU_DEP_2)
	v_mul_f32_e32 v7, v25, v7
	v_mul_f32_e32 v8, v25, v8
	s_cbranch_execz .LBB56_17
	s_branch .LBB56_18
.LBB56_15:                              ;   in Loop: Header=BB56_4 Depth=1
                                        ; implicit-def: $vgpr8
	s_branch .LBB56_19
.LBB56_16:                              ;   in Loop: Header=BB56_4 Depth=1
                                        ; implicit-def: $vgpr8
.LBB56_17:                              ;   in Loop: Header=BB56_4 Depth=1
	s_waitcnt vmcnt(0)
	v_div_scale_f32 v7, null, v17, v17, v11
	v_div_scale_f32 v8, null, v18, v18, v12
	v_div_scale_f32 v33, vcc_lo, v11, v17, v11
	s_delay_alu instid0(VALU_DEP_3) | instskip(NEXT) | instid1(VALU_DEP_2)
	v_rcp_f32_e32 v29, v7
	v_rcp_f32_e32 v30, v8
	s_waitcnt_depctr 0xfff
	v_fma_f32 v31, -v7, v29, 1.0
	v_fma_f32 v32, -v8, v30, 1.0
	s_delay_alu instid0(VALU_DEP_1) | instskip(SKIP_1) | instid1(VALU_DEP_2)
	v_dual_fmac_f32 v29, v31, v29 :: v_dual_fmac_f32 v30, v32, v30
	v_div_scale_f32 v31, s7, v12, v18, v12
	v_mul_f32_e32 v32, v33, v29
	s_delay_alu instid0(VALU_DEP_2) | instskip(NEXT) | instid1(VALU_DEP_2)
	v_mul_f32_e32 v34, v31, v30
	v_fma_f32 v35, -v7, v32, v33
	s_delay_alu instid0(VALU_DEP_2) | instskip(NEXT) | instid1(VALU_DEP_2)
	v_fma_f32 v36, -v8, v34, v31
	v_fmac_f32_e32 v32, v35, v29
	s_delay_alu instid0(VALU_DEP_2) | instskip(NEXT) | instid1(VALU_DEP_2)
	v_fmac_f32_e32 v34, v36, v30
	v_fma_f32 v7, -v7, v32, v33
	s_delay_alu instid0(VALU_DEP_2) | instskip(NEXT) | instid1(VALU_DEP_2)
	v_fma_f32 v8, -v8, v34, v31
	v_div_fmas_f32 v7, v7, v29, v32
	s_mov_b32 vcc_lo, s7
	s_delay_alu instid0(VALU_DEP_2) | instskip(NEXT) | instid1(VALU_DEP_2)
	v_div_fmas_f32 v8, v8, v30, v34
	v_div_fixup_f32 v7, v7, v17, v11
	s_delay_alu instid0(VALU_DEP_2)
	v_div_fixup_f32 v8, v8, v18, v12
.LBB56_18:                              ;   in Loop: Header=BB56_4 Depth=1
	s_cbranch_execnz .LBB56_20
.LBB56_19:                              ;   in Loop: Header=BB56_4 Depth=1
	s_waitcnt vmcnt(0)
	v_fma_f32 v7, v16, v11, v12
	v_fma_f32 v8, v16, v12, -v11
	s_delay_alu instid0(VALU_DEP_2) | instskip(NEXT) | instid1(VALU_DEP_2)
	v_mul_f32_e32 v7, v26, v7
	v_mul_f32_e32 v8, v26, v8
.LBB56_20:                              ;   in Loop: Header=BB56_4 Depth=1
	s_waitcnt vmcnt(0)
	v_cndmask_b32_e64 v11, 0, 1, s22
	s_and_not1_b32 vcc_lo, exec_lo, s2
	s_delay_alu instid0(VALU_DEP_1)
	v_cmp_ne_u32_e64 s7, 1, v11
	s_cbranch_vccnz .LBB56_23
; %bb.21:                               ;   in Loop: Header=BB56_4 Depth=1
	s_delay_alu instid0(VALU_DEP_1)
	s_and_b32 vcc_lo, exec_lo, s7
	s_cbranch_vccnz .LBB56_24
; %bb.22:                               ;   in Loop: Header=BB56_4 Depth=1
	v_fma_f32 v11, v15, v14, v13
	v_fma_f32 v12, -v15, v13, v14
	s_delay_alu instid0(VALU_DEP_2) | instskip(NEXT) | instid1(VALU_DEP_2)
	v_mul_f32_e32 v11, v25, v11
	v_mul_f32_e32 v12, v25, v12
	s_cbranch_execz .LBB56_25
	s_branch .LBB56_26
.LBB56_23:                              ;   in Loop: Header=BB56_4 Depth=1
                                        ; implicit-def: $vgpr12
	s_branch .LBB56_27
.LBB56_24:                              ;   in Loop: Header=BB56_4 Depth=1
                                        ; implicit-def: $vgpr12
.LBB56_25:                              ;   in Loop: Header=BB56_4 Depth=1
	v_div_scale_f32 v11, null, v17, v17, v13
	v_div_scale_f32 v12, null, v18, v18, v14
	v_div_scale_f32 v33, vcc_lo, v13, v17, v13
	s_delay_alu instid0(VALU_DEP_3) | instskip(NEXT) | instid1(VALU_DEP_2)
	v_rcp_f32_e32 v29, v11
	v_rcp_f32_e32 v30, v12
	s_waitcnt_depctr 0xfff
	v_fma_f32 v31, -v11, v29, 1.0
	v_fma_f32 v32, -v12, v30, 1.0
	s_delay_alu instid0(VALU_DEP_1) | instskip(SKIP_1) | instid1(VALU_DEP_2)
	v_dual_fmac_f32 v29, v31, v29 :: v_dual_fmac_f32 v30, v32, v30
	v_div_scale_f32 v31, s7, v14, v18, v14
	v_mul_f32_e32 v32, v33, v29
	s_delay_alu instid0(VALU_DEP_2) | instskip(NEXT) | instid1(VALU_DEP_2)
	v_mul_f32_e32 v34, v31, v30
	v_fma_f32 v35, -v11, v32, v33
	s_delay_alu instid0(VALU_DEP_2) | instskip(NEXT) | instid1(VALU_DEP_2)
	v_fma_f32 v36, -v12, v34, v31
	v_fmac_f32_e32 v32, v35, v29
	s_delay_alu instid0(VALU_DEP_2) | instskip(NEXT) | instid1(VALU_DEP_2)
	v_fmac_f32_e32 v34, v36, v30
	v_fma_f32 v11, -v11, v32, v33
	s_delay_alu instid0(VALU_DEP_2) | instskip(NEXT) | instid1(VALU_DEP_2)
	v_fma_f32 v12, -v12, v34, v31
	v_div_fmas_f32 v11, v11, v29, v32
	s_mov_b32 vcc_lo, s7
	s_delay_alu instid0(VALU_DEP_2) | instskip(NEXT) | instid1(VALU_DEP_2)
	v_div_fmas_f32 v12, v12, v30, v34
	v_div_fixup_f32 v11, v11, v17, v13
	s_delay_alu instid0(VALU_DEP_2)
	v_div_fixup_f32 v12, v12, v18, v14
.LBB56_26:                              ;   in Loop: Header=BB56_4 Depth=1
	s_cbranch_execnz .LBB56_28
.LBB56_27:                              ;   in Loop: Header=BB56_4 Depth=1
	v_fma_f32 v11, v16, v13, v14
	v_fma_f32 v12, v16, v14, -v13
	s_delay_alu instid0(VALU_DEP_2) | instskip(NEXT) | instid1(VALU_DEP_2)
	v_mul_f32_e32 v11, v26, v11
	v_mul_f32_e32 v12, v26, v12
.LBB56_28:                              ;   in Loop: Header=BB56_4 Depth=1
	s_and_not1_b32 vcc_lo, exec_lo, s2
	s_cbranch_vccnz .LBB56_31
; %bb.29:                               ;   in Loop: Header=BB56_4 Depth=1
	s_and_not1_b32 vcc_lo, exec_lo, s22
	s_cbranch_vccnz .LBB56_32
; %bb.30:                               ;   in Loop: Header=BB56_4 Depth=1
	v_fma_f32 v13, v15, v10, v9
	v_fma_f32 v14, -v15, v9, v10
	s_delay_alu instid0(VALU_DEP_2) | instskip(NEXT) | instid1(VALU_DEP_2)
	v_mul_f32_e32 v13, v25, v13
	v_mul_f32_e32 v14, v25, v14
	s_cbranch_execz .LBB56_33
	s_branch .LBB56_34
.LBB56_31:                              ;   in Loop: Header=BB56_4 Depth=1
                                        ; implicit-def: $vgpr14
	s_branch .LBB56_35
.LBB56_32:                              ;   in Loop: Header=BB56_4 Depth=1
                                        ; implicit-def: $vgpr14
.LBB56_33:                              ;   in Loop: Header=BB56_4 Depth=1
	v_div_scale_f32 v13, null, v17, v17, v9
	v_div_scale_f32 v14, null, v18, v18, v10
	v_div_scale_f32 v33, vcc_lo, v9, v17, v9
	s_delay_alu instid0(VALU_DEP_3) | instskip(NEXT) | instid1(VALU_DEP_2)
	v_rcp_f32_e32 v29, v13
	v_rcp_f32_e32 v30, v14
	s_waitcnt_depctr 0xfff
	v_fma_f32 v31, -v13, v29, 1.0
	v_fma_f32 v32, -v14, v30, 1.0
	s_delay_alu instid0(VALU_DEP_1) | instskip(SKIP_1) | instid1(VALU_DEP_2)
	v_dual_fmac_f32 v29, v31, v29 :: v_dual_fmac_f32 v30, v32, v30
	v_div_scale_f32 v31, s7, v10, v18, v10
	v_mul_f32_e32 v32, v33, v29
	s_delay_alu instid0(VALU_DEP_2) | instskip(NEXT) | instid1(VALU_DEP_2)
	v_mul_f32_e32 v34, v31, v30
	v_fma_f32 v35, -v13, v32, v33
	s_delay_alu instid0(VALU_DEP_2) | instskip(NEXT) | instid1(VALU_DEP_2)
	v_fma_f32 v36, -v14, v34, v31
	v_fmac_f32_e32 v32, v35, v29
	s_delay_alu instid0(VALU_DEP_2) | instskip(NEXT) | instid1(VALU_DEP_2)
	v_fmac_f32_e32 v34, v36, v30
	v_fma_f32 v13, -v13, v32, v33
	s_delay_alu instid0(VALU_DEP_2) | instskip(NEXT) | instid1(VALU_DEP_2)
	v_fma_f32 v14, -v14, v34, v31
	v_div_fmas_f32 v13, v13, v29, v32
	s_mov_b32 vcc_lo, s7
	s_delay_alu instid0(VALU_DEP_2) | instskip(NEXT) | instid1(VALU_DEP_2)
	v_div_fmas_f32 v14, v14, v30, v34
	v_div_fixup_f32 v13, v13, v17, v9
	s_delay_alu instid0(VALU_DEP_2)
	v_div_fixup_f32 v14, v14, v18, v10
.LBB56_34:                              ;   in Loop: Header=BB56_4 Depth=1
	s_cbranch_execnz .LBB56_36
.LBB56_35:                              ;   in Loop: Header=BB56_4 Depth=1
	v_fma_f32 v13, v16, v9, v10
	v_fma_f32 v9, v16, v10, -v9
	s_delay_alu instid0(VALU_DEP_2) | instskip(NEXT) | instid1(VALU_DEP_2)
	v_mul_f32_e32 v13, v26, v13
	v_mul_f32_e32 v14, v26, v9
.LBB56_36:                              ;   in Loop: Header=BB56_4 Depth=1
	s_and_not1_b32 vcc_lo, exec_lo, s2
	s_cbranch_vccnz .LBB56_39
; %bb.37:                               ;   in Loop: Header=BB56_4 Depth=1
	s_and_not1_b32 vcc_lo, exec_lo, s22
	s_cbranch_vccnz .LBB56_40
; %bb.38:                               ;   in Loop: Header=BB56_4 Depth=1
	v_fma_f32 v9, v15, v6, v5
	v_fma_f32 v10, -v15, v5, v6
	s_delay_alu instid0(VALU_DEP_2) | instskip(NEXT) | instid1(VALU_DEP_2)
	v_mul_f32_e32 v9, v25, v9
	v_mul_f32_e32 v10, v25, v10
	s_cbranch_execz .LBB56_41
	s_branch .LBB56_42
.LBB56_39:                              ;   in Loop: Header=BB56_4 Depth=1
                                        ; implicit-def: $vgpr10
	s_branch .LBB56_43
.LBB56_40:                              ;   in Loop: Header=BB56_4 Depth=1
                                        ; implicit-def: $vgpr10
.LBB56_41:                              ;   in Loop: Header=BB56_4 Depth=1
	v_div_scale_f32 v9, null, v17, v17, v5
	v_div_scale_f32 v10, null, v18, v18, v6
	v_div_scale_f32 v33, vcc_lo, v5, v17, v5
	s_delay_alu instid0(VALU_DEP_3) | instskip(NEXT) | instid1(VALU_DEP_2)
	v_rcp_f32_e32 v29, v9
	v_rcp_f32_e32 v30, v10
	s_waitcnt_depctr 0xfff
	v_fma_f32 v31, -v9, v29, 1.0
	v_fma_f32 v32, -v10, v30, 1.0
	s_delay_alu instid0(VALU_DEP_1) | instskip(SKIP_1) | instid1(VALU_DEP_2)
	v_dual_fmac_f32 v29, v31, v29 :: v_dual_fmac_f32 v30, v32, v30
	v_div_scale_f32 v31, s7, v6, v18, v6
	v_mul_f32_e32 v32, v33, v29
	s_delay_alu instid0(VALU_DEP_2) | instskip(NEXT) | instid1(VALU_DEP_2)
	v_mul_f32_e32 v34, v31, v30
	v_fma_f32 v35, -v9, v32, v33
	s_delay_alu instid0(VALU_DEP_2) | instskip(NEXT) | instid1(VALU_DEP_2)
	v_fma_f32 v36, -v10, v34, v31
	v_fmac_f32_e32 v32, v35, v29
	s_delay_alu instid0(VALU_DEP_2) | instskip(NEXT) | instid1(VALU_DEP_2)
	v_fmac_f32_e32 v34, v36, v30
	v_fma_f32 v9, -v9, v32, v33
	s_delay_alu instid0(VALU_DEP_2) | instskip(NEXT) | instid1(VALU_DEP_2)
	v_fma_f32 v10, -v10, v34, v31
	v_div_fmas_f32 v9, v9, v29, v32
	s_mov_b32 vcc_lo, s7
	s_delay_alu instid0(VALU_DEP_2) | instskip(NEXT) | instid1(VALU_DEP_2)
	v_div_fmas_f32 v10, v10, v30, v34
	v_div_fixup_f32 v9, v9, v17, v5
	s_delay_alu instid0(VALU_DEP_2)
	v_div_fixup_f32 v10, v10, v18, v6
.LBB56_42:                              ;   in Loop: Header=BB56_4 Depth=1
	s_cbranch_execnz .LBB56_44
.LBB56_43:                              ;   in Loop: Header=BB56_4 Depth=1
	v_fma_f32 v9, v16, v5, v6
	v_fma_f32 v5, v16, v6, -v5
	s_delay_alu instid0(VALU_DEP_2) | instskip(NEXT) | instid1(VALU_DEP_2)
	v_mul_f32_e32 v9, v26, v9
	v_mul_f32_e32 v10, v26, v5
.LBB56_44:                              ;   in Loop: Header=BB56_4 Depth=1
	s_and_saveexec_b32 s7, s3
	s_delay_alu instid0(SALU_CYCLE_1)
	s_xor_b32 s3, exec_lo, s7
	s_cbranch_execnz .LBB56_48
; %bb.45:                               ;   in Loop: Header=BB56_4 Depth=1
	s_or_b32 exec_lo, exec_lo, s3
	s_and_saveexec_b32 s3, s4
	s_cbranch_execnz .LBB56_49
.LBB56_46:                              ;   in Loop: Header=BB56_4 Depth=1
	s_or_b32 exec_lo, exec_lo, s3
	s_and_saveexec_b32 s3, s5
	s_cbranch_execnz .LBB56_50
.LBB56_47:                              ;   in Loop: Header=BB56_4 Depth=1
	s_or_b32 exec_lo, exec_lo, s3
	s_and_saveexec_b32 s3, s6
	s_cbranch_execz .LBB56_3
	s_branch .LBB56_51
.LBB56_48:                              ;   in Loop: Header=BB56_4 Depth=1
	v_add_co_u32 v5, s7, s20, v1
	s_delay_alu instid0(VALU_DEP_1)
	v_add_co_ci_u32_e64 v6, null, s21, 0, s7
	global_store_b64 v[5:6], v[7:8], off
	s_or_b32 exec_lo, exec_lo, s3
	s_and_saveexec_b32 s3, s4
	s_cbranch_execz .LBB56_46
.LBB56_49:                              ;   in Loop: Header=BB56_4 Depth=1
	v_add_co_u32 v5, s4, s20, v23
	s_delay_alu instid0(VALU_DEP_1)
	v_add_co_ci_u32_e64 v6, null, s21, 0, s4
	global_store_b64 v[5:6], v[11:12], off
	s_or_b32 exec_lo, exec_lo, s3
	s_and_saveexec_b32 s3, s5
	s_cbranch_execz .LBB56_47
.LBB56_50:                              ;   in Loop: Header=BB56_4 Depth=1
	v_add_co_u32 v5, vcc_lo, s20, v24
	v_add_co_ci_u32_e32 v6, vcc_lo, s21, v22, vcc_lo
	global_store_b64 v[5:6], v[13:14], off offset:-4
	s_or_b32 exec_lo, exec_lo, s3
	s_and_saveexec_b32 s3, s6
	s_cbranch_execz .LBB56_3
.LBB56_51:                              ;   in Loop: Header=BB56_4 Depth=1
	v_add_co_u32 v5, vcc_lo, s20, v3
	v_add_co_ci_u32_e32 v6, vcc_lo, s21, v4, vcc_lo
	global_store_b64 v[5:6], v[9:10], off offset:-4
	s_branch .LBB56_3
.LBB56_52:
	s_cbranch_execz .LBB56_54
	s_branch .LBB56_89
.LBB56_53:
.LBB56_54:
	v_dual_mov_b32 v13, 0 :: v_dual_lshlrev_b32 v12, 2, v0
	s_mov_b32 s3, 0
	s_mov_b32 s2, exec_lo
	s_delay_alu instid0(VALU_DEP_1)
	v_cmpx_gt_i64_e64 s[8:9], v[12:13]
	s_cbranch_execz .LBB56_89
; %bb.55:
	v_div_scale_f32 v1, null, s14, s14, s15
	v_div_scale_f32 v4, vcc_lo, s15, s14, s15
	s_load_b32 s0, s[0:1], 0xf54
	s_delay_alu instid0(VALU_DEP_2) | instskip(SKIP_2) | instid1(VALU_DEP_2)
	v_rcp_f32_e32 v2, v1
	v_cmp_lt_f32_e64 s1, s14, 0
	v_cmp_lt_f32_e64 s4, s15, 0
	v_cndmask_b32_e64 v18, s14, -s14, s1
	v_cmp_neq_f32_e64 s1, s14, 0
	s_delay_alu instid0(VALU_DEP_3) | instskip(SKIP_2) | instid1(VALU_DEP_1)
	v_cndmask_b32_e64 v19, s15, -s15, s4
	s_waitcnt_depctr 0xfff
	v_fma_f32 v3, -v1, v2, 1.0
	v_fmac_f32_e32 v2, v3, v2
	s_delay_alu instid0(VALU_DEP_1) | instskip(NEXT) | instid1(VALU_DEP_1)
	v_mul_f32_e32 v3, v4, v2
	v_fma_f32 v5, -v1, v3, v4
	s_delay_alu instid0(VALU_DEP_1) | instskip(NEXT) | instid1(VALU_DEP_1)
	v_fmac_f32_e32 v3, v5, v2
	v_fma_f32 v1, -v1, v3, v4
	s_delay_alu instid0(VALU_DEP_1) | instskip(SKIP_1) | instid1(VALU_DEP_2)
	v_div_fmas_f32 v1, v1, v2, v3
	v_div_scale_f32 v3, null, s15, s15, s14
	v_div_fixup_f32 v16, v1, s14, s15
	s_delay_alu instid0(VALU_DEP_2) | instskip(NEXT) | instid1(VALU_DEP_1)
	v_rcp_f32_e32 v5, v3
	v_fma_f32 v1, v16, s15, s14
	s_delay_alu instid0(VALU_DEP_1) | instskip(SKIP_4) | instid1(VALU_DEP_2)
	v_div_scale_f32 v2, null, v1, v1, 1.0
	s_waitcnt_depctr 0xfff
	v_fma_f32 v7, -v3, v5, 1.0
	v_div_scale_f32 v8, vcc_lo, 1.0, v1, 1.0
	v_rcp_f32_e32 v4, v2
	v_fmac_f32_e32 v5, v7, v5
	s_waitcnt_depctr 0xfff
	v_fma_f32 v6, -v2, v4, 1.0
	s_delay_alu instid0(VALU_DEP_1) | instskip(SKIP_1) | instid1(VALU_DEP_2)
	v_fmac_f32_e32 v4, v6, v4
	v_div_scale_f32 v6, s2, s14, s15, s14
	v_mul_f32_e32 v7, v8, v4
	s_delay_alu instid0(VALU_DEP_2) | instskip(NEXT) | instid1(VALU_DEP_2)
	v_mul_f32_e32 v9, v6, v5
	v_fma_f32 v10, -v2, v7, v8
	s_delay_alu instid0(VALU_DEP_2) | instskip(NEXT) | instid1(VALU_DEP_2)
	v_fma_f32 v11, -v3, v9, v6
	v_fmac_f32_e32 v7, v10, v4
	s_delay_alu instid0(VALU_DEP_2) | instskip(NEXT) | instid1(VALU_DEP_2)
	v_fmac_f32_e32 v9, v11, v5
	v_fma_f32 v2, -v2, v7, v8
	s_delay_alu instid0(VALU_DEP_2) | instskip(NEXT) | instid1(VALU_DEP_2)
	v_fma_f32 v3, -v3, v9, v6
	v_div_fmas_f32 v2, v2, v4, v7
	s_mov_b32 vcc_lo, s2
	v_cmp_neq_f32_e64 s2, s15, 0
	s_delay_alu instid0(VALU_DEP_3) | instskip(SKIP_2) | instid1(VALU_DEP_4)
	v_div_fmas_f32 v3, v3, v5, v9
	v_lshlrev_b32_e32 v9, 5, v0
	v_div_fixup_f32 v20, v2, v1, 1.0
	s_or_b32 s2, s1, s2
	s_delay_alu instid0(VALU_DEP_3)
	v_div_fixup_f32 v17, v3, s15, s14
	s_waitcnt lgkmcnt(0)
	s_and_b32 s1, s0, 0xffff
	v_cmp_ge_f32_e64 s0, v18, v19
	v_add_lshl_u32 v12, v0, s1, 2
	s_lshl_b32 s4, s1, 2
	v_fma_f32 v3, v17, s14, s15
	s_add_u32 s5, s10, s12
	s_addc_u32 s6, s11, s13
	v_add_co_u32 v14, s5, s5, v9
	s_delay_alu instid0(VALU_DEP_2) | instskip(SKIP_2) | instid1(VALU_DEP_3)
	v_div_scale_f32 v4, null, v3, v3, 1.0
	v_div_scale_f32 v7, vcc_lo, 1.0, v3, 1.0
	v_add_co_ci_u32_e64 v15, null, s6, 0, s5
	v_rcp_f32_e32 v5, v4
	s_lshl_b32 s5, s1, 5
	s_waitcnt_depctr 0xfff
	v_fma_f32 v6, -v4, v5, 1.0
	s_delay_alu instid0(VALU_DEP_1) | instskip(NEXT) | instid1(VALU_DEP_1)
	v_fmac_f32_e32 v5, v6, v5
	v_mul_f32_e32 v6, v7, v5
	s_delay_alu instid0(VALU_DEP_1) | instskip(NEXT) | instid1(VALU_DEP_1)
	v_fma_f32 v8, -v4, v6, v7
	v_fmac_f32_e32 v6, v8, v5
	s_delay_alu instid0(VALU_DEP_1) | instskip(NEXT) | instid1(VALU_DEP_1)
	v_fma_f32 v0, -v4, v6, v7
	v_div_fmas_f32 v0, v0, v5, v6
	s_delay_alu instid0(VALU_DEP_1)
	v_div_fixup_f32 v21, v0, v3, 1.0
	s_branch .LBB56_57
.LBB56_56:                              ;   in Loop: Header=BB56_57 Depth=1
	v_cmp_le_i64_e32 vcc_lo, s[8:9], v[12:13]
	v_cmp_lt_u64_e64 s1, 0xffff, v[12:13]
	s_waitcnt vmcnt(0)
	s_clause 0x1
	global_store_b128 v[14:15], v[4:7], off
	global_store_b128 v[14:15], v[8:11], off offset:16
	s_or_b32 s1, vcc_lo, s1
	v_add_co_u32 v12, vcc_lo, v12, s4
	v_add_co_ci_u32_e32 v13, vcc_lo, 0, v13, vcc_lo
	v_add_co_u32 v14, vcc_lo, v14, s5
	v_add_co_ci_u32_e32 v15, vcc_lo, 0, v15, vcc_lo
	s_and_b32 s1, exec_lo, s1
	s_delay_alu instid0(SALU_CYCLE_1) | instskip(NEXT) | instid1(SALU_CYCLE_1)
	s_or_b32 s3, s1, s3
	s_and_not1_b32 exec_lo, exec_lo, s3
	s_cbranch_execz .LBB56_89
.LBB56_57:                              ; =>This Inner Loop Header: Depth=1
	s_clause 0x1
	global_load_b128 v[0:3], v[14:15], off offset:16
	global_load_b128 v[6:9], v[14:15], off
	s_and_not1_b32 vcc_lo, exec_lo, s0
	s_cbranch_vccnz .LBB56_60
; %bb.58:                               ;   in Loop: Header=BB56_57 Depth=1
	s_and_b32 vcc_lo, exec_lo, s2
	s_cbranch_vccz .LBB56_61
; %bb.59:                               ;   in Loop: Header=BB56_57 Depth=1
	s_waitcnt vmcnt(0)
	v_fma_f32 v4, v16, v7, v6
	v_fma_f32 v5, -v16, v6, v7
	s_delay_alu instid0(VALU_DEP_2) | instskip(NEXT) | instid1(VALU_DEP_2)
	v_mul_f32_e32 v4, v20, v4
	v_mul_f32_e32 v5, v20, v5
	s_cbranch_execz .LBB56_62
	s_branch .LBB56_63
.LBB56_60:                              ;   in Loop: Header=BB56_57 Depth=1
                                        ; implicit-def: $vgpr5
	s_branch .LBB56_64
.LBB56_61:                              ;   in Loop: Header=BB56_57 Depth=1
                                        ; implicit-def: $vgpr5
.LBB56_62:                              ;   in Loop: Header=BB56_57 Depth=1
	s_waitcnt vmcnt(0)
	v_div_scale_f32 v4, null, v18, v18, v6
	v_div_scale_f32 v5, null, v19, v19, v7
	v_div_scale_f32 v24, vcc_lo, v6, v18, v6
	s_delay_alu instid0(VALU_DEP_3) | instskip(NEXT) | instid1(VALU_DEP_2)
	v_rcp_f32_e32 v10, v4
	v_rcp_f32_e32 v11, v5
	s_waitcnt_depctr 0xfff
	v_fma_f32 v22, -v4, v10, 1.0
	v_fma_f32 v23, -v5, v11, 1.0
	s_delay_alu instid0(VALU_DEP_1) | instskip(SKIP_1) | instid1(VALU_DEP_2)
	v_dual_fmac_f32 v10, v22, v10 :: v_dual_fmac_f32 v11, v23, v11
	v_div_scale_f32 v22, s1, v7, v19, v7
	v_mul_f32_e32 v23, v24, v10
	s_delay_alu instid0(VALU_DEP_2) | instskip(NEXT) | instid1(VALU_DEP_2)
	v_mul_f32_e32 v25, v22, v11
	v_fma_f32 v26, -v4, v23, v24
	s_delay_alu instid0(VALU_DEP_2) | instskip(NEXT) | instid1(VALU_DEP_2)
	v_fma_f32 v27, -v5, v25, v22
	v_fmac_f32_e32 v23, v26, v10
	s_delay_alu instid0(VALU_DEP_2) | instskip(NEXT) | instid1(VALU_DEP_2)
	v_fmac_f32_e32 v25, v27, v11
	v_fma_f32 v4, -v4, v23, v24
	s_delay_alu instid0(VALU_DEP_2) | instskip(NEXT) | instid1(VALU_DEP_2)
	v_fma_f32 v5, -v5, v25, v22
	v_div_fmas_f32 v4, v4, v10, v23
	s_mov_b32 vcc_lo, s1
	s_delay_alu instid0(VALU_DEP_2) | instskip(NEXT) | instid1(VALU_DEP_2)
	v_div_fmas_f32 v5, v5, v11, v25
	v_div_fixup_f32 v4, v4, v18, v6
	s_delay_alu instid0(VALU_DEP_2)
	v_div_fixup_f32 v5, v5, v19, v7
.LBB56_63:                              ;   in Loop: Header=BB56_57 Depth=1
	s_cbranch_execnz .LBB56_65
.LBB56_64:                              ;   in Loop: Header=BB56_57 Depth=1
	s_waitcnt vmcnt(0)
	v_fma_f32 v4, v17, v6, v7
	v_fma_f32 v5, v17, v7, -v6
	s_delay_alu instid0(VALU_DEP_2) | instskip(NEXT) | instid1(VALU_DEP_2)
	v_mul_f32_e32 v4, v21, v4
	v_mul_f32_e32 v5, v21, v5
.LBB56_65:                              ;   in Loop: Header=BB56_57 Depth=1
	s_and_not1_b32 vcc_lo, exec_lo, s0
	s_cbranch_vccnz .LBB56_68
; %bb.66:                               ;   in Loop: Header=BB56_57 Depth=1
	s_and_not1_b32 vcc_lo, exec_lo, s2
	s_cbranch_vccnz .LBB56_69
; %bb.67:                               ;   in Loop: Header=BB56_57 Depth=1
	s_waitcnt vmcnt(0)
	v_fma_f32 v6, v16, v9, v8
	v_fma_f32 v7, -v16, v8, v9
	s_delay_alu instid0(VALU_DEP_2) | instskip(NEXT) | instid1(VALU_DEP_2)
	v_mul_f32_e32 v6, v20, v6
	v_mul_f32_e32 v7, v20, v7
	s_cbranch_execz .LBB56_70
	s_branch .LBB56_71
.LBB56_68:                              ;   in Loop: Header=BB56_57 Depth=1
	s_branch .LBB56_72
.LBB56_69:                              ;   in Loop: Header=BB56_57 Depth=1
.LBB56_70:                              ;   in Loop: Header=BB56_57 Depth=1
	s_waitcnt vmcnt(0)
	v_div_scale_f32 v6, null, v18, v18, v8
	v_div_scale_f32 v7, null, v19, v19, v9
	v_div_scale_f32 v24, vcc_lo, v8, v18, v8
	s_delay_alu instid0(VALU_DEP_3) | instskip(NEXT) | instid1(VALU_DEP_2)
	v_rcp_f32_e32 v10, v6
	v_rcp_f32_e32 v11, v7
	s_waitcnt_depctr 0xfff
	v_fma_f32 v22, -v6, v10, 1.0
	v_fma_f32 v23, -v7, v11, 1.0
	s_delay_alu instid0(VALU_DEP_1) | instskip(SKIP_1) | instid1(VALU_DEP_2)
	v_dual_fmac_f32 v10, v22, v10 :: v_dual_fmac_f32 v11, v23, v11
	v_div_scale_f32 v22, s1, v9, v19, v9
	v_mul_f32_e32 v23, v24, v10
	s_delay_alu instid0(VALU_DEP_2) | instskip(NEXT) | instid1(VALU_DEP_2)
	v_mul_f32_e32 v25, v22, v11
	v_fma_f32 v26, -v6, v23, v24
	s_delay_alu instid0(VALU_DEP_2) | instskip(NEXT) | instid1(VALU_DEP_2)
	v_fma_f32 v27, -v7, v25, v22
	v_fmac_f32_e32 v23, v26, v10
	s_delay_alu instid0(VALU_DEP_2) | instskip(NEXT) | instid1(VALU_DEP_2)
	v_fmac_f32_e32 v25, v27, v11
	v_fma_f32 v6, -v6, v23, v24
	s_delay_alu instid0(VALU_DEP_2) | instskip(NEXT) | instid1(VALU_DEP_2)
	v_fma_f32 v7, -v7, v25, v22
	v_div_fmas_f32 v6, v6, v10, v23
	s_mov_b32 vcc_lo, s1
	s_delay_alu instid0(VALU_DEP_2) | instskip(NEXT) | instid1(VALU_DEP_2)
	v_div_fmas_f32 v7, v7, v11, v25
	v_div_fixup_f32 v6, v6, v18, v8
	s_delay_alu instid0(VALU_DEP_2)
	v_div_fixup_f32 v7, v7, v19, v9
.LBB56_71:                              ;   in Loop: Header=BB56_57 Depth=1
	s_cbranch_execnz .LBB56_73
.LBB56_72:                              ;   in Loop: Header=BB56_57 Depth=1
	s_waitcnt vmcnt(0)
	v_fma_f32 v6, v17, v8, v9
	v_fma_f32 v7, v17, v9, -v8
	s_delay_alu instid0(VALU_DEP_2) | instskip(NEXT) | instid1(VALU_DEP_2)
	v_mul_f32_e32 v6, v21, v6
	v_mul_f32_e32 v7, v21, v7
.LBB56_73:                              ;   in Loop: Header=BB56_57 Depth=1
	s_and_not1_b32 vcc_lo, exec_lo, s0
	s_cbranch_vccnz .LBB56_76
; %bb.74:                               ;   in Loop: Header=BB56_57 Depth=1
	s_and_not1_b32 vcc_lo, exec_lo, s2
	s_cbranch_vccnz .LBB56_77
; %bb.75:                               ;   in Loop: Header=BB56_57 Depth=1
	s_waitcnt vmcnt(0)
	v_fma_f32 v8, v16, v1, v0
	v_fma_f32 v9, -v16, v0, v1
	s_delay_alu instid0(VALU_DEP_2) | instskip(NEXT) | instid1(VALU_DEP_2)
	v_mul_f32_e32 v8, v20, v8
	v_mul_f32_e32 v9, v20, v9
	s_cbranch_execz .LBB56_78
	s_branch .LBB56_79
.LBB56_76:                              ;   in Loop: Header=BB56_57 Depth=1
                                        ; implicit-def: $vgpr9
	s_branch .LBB56_80
.LBB56_77:                              ;   in Loop: Header=BB56_57 Depth=1
                                        ; implicit-def: $vgpr9
.LBB56_78:                              ;   in Loop: Header=BB56_57 Depth=1
	s_waitcnt vmcnt(0)
	v_div_scale_f32 v8, null, v18, v18, v0
	v_div_scale_f32 v9, null, v19, v19, v1
	v_div_scale_f32 v24, vcc_lo, v0, v18, v0
	s_delay_alu instid0(VALU_DEP_3) | instskip(NEXT) | instid1(VALU_DEP_2)
	v_rcp_f32_e32 v10, v8
	v_rcp_f32_e32 v11, v9
	s_waitcnt_depctr 0xfff
	v_fma_f32 v22, -v8, v10, 1.0
	v_fma_f32 v23, -v9, v11, 1.0
	s_delay_alu instid0(VALU_DEP_1) | instskip(SKIP_1) | instid1(VALU_DEP_2)
	v_dual_fmac_f32 v10, v22, v10 :: v_dual_fmac_f32 v11, v23, v11
	v_div_scale_f32 v22, s1, v1, v19, v1
	v_mul_f32_e32 v23, v24, v10
	s_delay_alu instid0(VALU_DEP_2) | instskip(NEXT) | instid1(VALU_DEP_2)
	v_mul_f32_e32 v25, v22, v11
	v_fma_f32 v26, -v8, v23, v24
	s_delay_alu instid0(VALU_DEP_2) | instskip(NEXT) | instid1(VALU_DEP_2)
	v_fma_f32 v27, -v9, v25, v22
	v_fmac_f32_e32 v23, v26, v10
	s_delay_alu instid0(VALU_DEP_2) | instskip(NEXT) | instid1(VALU_DEP_2)
	v_fmac_f32_e32 v25, v27, v11
	v_fma_f32 v8, -v8, v23, v24
	s_delay_alu instid0(VALU_DEP_2) | instskip(NEXT) | instid1(VALU_DEP_2)
	v_fma_f32 v9, -v9, v25, v22
	v_div_fmas_f32 v8, v8, v10, v23
	s_mov_b32 vcc_lo, s1
	s_delay_alu instid0(VALU_DEP_2) | instskip(NEXT) | instid1(VALU_DEP_2)
	v_div_fmas_f32 v9, v9, v11, v25
	v_div_fixup_f32 v8, v8, v18, v0
	s_delay_alu instid0(VALU_DEP_2)
	v_div_fixup_f32 v9, v9, v19, v1
.LBB56_79:                              ;   in Loop: Header=BB56_57 Depth=1
	s_cbranch_execnz .LBB56_81
.LBB56_80:                              ;   in Loop: Header=BB56_57 Depth=1
	s_waitcnt vmcnt(0)
	v_fma_f32 v8, v17, v0, v1
	v_fma_f32 v0, v17, v1, -v0
	s_delay_alu instid0(VALU_DEP_2) | instskip(NEXT) | instid1(VALU_DEP_2)
	v_mul_f32_e32 v8, v21, v8
	v_mul_f32_e32 v9, v21, v0
.LBB56_81:                              ;   in Loop: Header=BB56_57 Depth=1
	s_and_not1_b32 vcc_lo, exec_lo, s0
	s_cbranch_vccnz .LBB56_84
; %bb.82:                               ;   in Loop: Header=BB56_57 Depth=1
	s_and_not1_b32 vcc_lo, exec_lo, s2
	s_cbranch_vccnz .LBB56_85
; %bb.83:                               ;   in Loop: Header=BB56_57 Depth=1
	s_waitcnt vmcnt(1)
	v_fma_f32 v0, v16, v3, v2
	v_fma_f32 v1, -v16, v2, v3
	s_delay_alu instid0(VALU_DEP_2) | instskip(NEXT) | instid1(VALU_DEP_2)
	v_mul_f32_e32 v10, v20, v0
	v_mul_f32_e32 v11, v20, v1
	s_cbranch_execz .LBB56_86
	s_branch .LBB56_87
.LBB56_84:                              ;   in Loop: Header=BB56_57 Depth=1
	s_branch .LBB56_88
.LBB56_85:                              ;   in Loop: Header=BB56_57 Depth=1
.LBB56_86:                              ;   in Loop: Header=BB56_57 Depth=1
	s_waitcnt vmcnt(1)
	v_div_scale_f32 v0, null, v18, v18, v2
	v_div_scale_f32 v1, null, v19, v19, v3
	v_div_scale_f32 v24, vcc_lo, v2, v18, v2
	s_delay_alu instid0(VALU_DEP_3) | instskip(NEXT) | instid1(VALU_DEP_2)
	v_rcp_f32_e32 v10, v0
	v_rcp_f32_e32 v11, v1
	s_waitcnt_depctr 0xfff
	v_fma_f32 v22, -v0, v10, 1.0
	v_fma_f32 v23, -v1, v11, 1.0
	s_delay_alu instid0(VALU_DEP_1) | instskip(SKIP_1) | instid1(VALU_DEP_2)
	v_dual_fmac_f32 v10, v22, v10 :: v_dual_fmac_f32 v11, v23, v11
	v_div_scale_f32 v22, s1, v3, v19, v3
	v_mul_f32_e32 v23, v24, v10
	s_delay_alu instid0(VALU_DEP_2) | instskip(NEXT) | instid1(VALU_DEP_2)
	v_mul_f32_e32 v25, v22, v11
	v_fma_f32 v26, -v0, v23, v24
	s_delay_alu instid0(VALU_DEP_2) | instskip(NEXT) | instid1(VALU_DEP_2)
	v_fma_f32 v27, -v1, v25, v22
	v_fmac_f32_e32 v23, v26, v10
	s_delay_alu instid0(VALU_DEP_2) | instskip(NEXT) | instid1(VALU_DEP_2)
	v_fmac_f32_e32 v25, v27, v11
	v_fma_f32 v0, -v0, v23, v24
	s_delay_alu instid0(VALU_DEP_2) | instskip(NEXT) | instid1(VALU_DEP_2)
	v_fma_f32 v1, -v1, v25, v22
	v_div_fmas_f32 v0, v0, v10, v23
	s_mov_b32 vcc_lo, s1
	s_delay_alu instid0(VALU_DEP_2) | instskip(NEXT) | instid1(VALU_DEP_2)
	v_div_fmas_f32 v1, v1, v11, v25
	v_div_fixup_f32 v10, v0, v18, v2
	s_delay_alu instid0(VALU_DEP_2)
	v_div_fixup_f32 v11, v1, v19, v3
.LBB56_87:                              ;   in Loop: Header=BB56_57 Depth=1
	s_cbranch_execnz .LBB56_56
.LBB56_88:                              ;   in Loop: Header=BB56_57 Depth=1
	s_waitcnt vmcnt(1)
	v_fma_f32 v0, v17, v2, v3
	v_fma_f32 v1, v17, v3, -v2
	s_delay_alu instid0(VALU_DEP_2) | instskip(NEXT) | instid1(VALU_DEP_2)
	v_mul_f32_e32 v10, v21, v0
	v_mul_f32_e32 v11, v21, v1
	s_branch .LBB56_56
.LBB56_89:
	s_nop 0
	s_sendmsg sendmsg(MSG_DEALLOC_VGPRS)
	s_endpgm
	.section	.rodata,"a",@progbits
	.p2align	6, 0x0
	.amdhsa_kernel _ZN2at6native12_GLOBAL__N_125multi_tensor_apply_kernelINS1_28TensorListScalarListMetadataIN3c107complexIfEELi1EEENS1_25BinaryOpScalarListFunctorIS6_Li1ELi1ELi0EEEJSt7dividesIS6_EEEEvT_T0_DpT1_
		.amdhsa_group_segment_fixed_size 0
		.amdhsa_private_segment_fixed_size 0
		.amdhsa_kernarg_size 4168
		.amdhsa_user_sgpr_count 15
		.amdhsa_user_sgpr_dispatch_ptr 0
		.amdhsa_user_sgpr_queue_ptr 0
		.amdhsa_user_sgpr_kernarg_segment_ptr 1
		.amdhsa_user_sgpr_dispatch_id 0
		.amdhsa_user_sgpr_private_segment_size 0
		.amdhsa_wavefront_size32 1
		.amdhsa_uses_dynamic_stack 0
		.amdhsa_enable_private_segment 0
		.amdhsa_system_sgpr_workgroup_id_x 1
		.amdhsa_system_sgpr_workgroup_id_y 0
		.amdhsa_system_sgpr_workgroup_id_z 0
		.amdhsa_system_sgpr_workgroup_info 0
		.amdhsa_system_vgpr_workitem_id 0
		.amdhsa_next_free_vgpr 37
		.amdhsa_next_free_sgpr 25
		.amdhsa_reserve_vcc 1
		.amdhsa_float_round_mode_32 0
		.amdhsa_float_round_mode_16_64 0
		.amdhsa_float_denorm_mode_32 3
		.amdhsa_float_denorm_mode_16_64 3
		.amdhsa_dx10_clamp 1
		.amdhsa_ieee_mode 1
		.amdhsa_fp16_overflow 0
		.amdhsa_workgroup_processor_mode 1
		.amdhsa_memory_ordered 1
		.amdhsa_forward_progress 0
		.amdhsa_shared_vgpr_count 0
		.amdhsa_exception_fp_ieee_invalid_op 0
		.amdhsa_exception_fp_denorm_src 0
		.amdhsa_exception_fp_ieee_div_zero 0
		.amdhsa_exception_fp_ieee_overflow 0
		.amdhsa_exception_fp_ieee_underflow 0
		.amdhsa_exception_fp_ieee_inexact 0
		.amdhsa_exception_int_div_zero 0
	.end_amdhsa_kernel
	.section	.text._ZN2at6native12_GLOBAL__N_125multi_tensor_apply_kernelINS1_28TensorListScalarListMetadataIN3c107complexIfEELi1EEENS1_25BinaryOpScalarListFunctorIS6_Li1ELi1ELi0EEEJSt7dividesIS6_EEEEvT_T0_DpT1_,"axG",@progbits,_ZN2at6native12_GLOBAL__N_125multi_tensor_apply_kernelINS1_28TensorListScalarListMetadataIN3c107complexIfEELi1EEENS1_25BinaryOpScalarListFunctorIS6_Li1ELi1ELi0EEEJSt7dividesIS6_EEEEvT_T0_DpT1_,comdat
.Lfunc_end56:
	.size	_ZN2at6native12_GLOBAL__N_125multi_tensor_apply_kernelINS1_28TensorListScalarListMetadataIN3c107complexIfEELi1EEENS1_25BinaryOpScalarListFunctorIS6_Li1ELi1ELi0EEEJSt7dividesIS6_EEEEvT_T0_DpT1_, .Lfunc_end56-_ZN2at6native12_GLOBAL__N_125multi_tensor_apply_kernelINS1_28TensorListScalarListMetadataIN3c107complexIfEELi1EEENS1_25BinaryOpScalarListFunctorIS6_Li1ELi1ELi0EEEJSt7dividesIS6_EEEEvT_T0_DpT1_
                                        ; -- End function
	.section	.AMDGPU.csdata,"",@progbits
; Kernel info:
; codeLenInByte = 4296
; NumSgprs: 27
; NumVgprs: 37
; ScratchSize: 0
; MemoryBound: 1
; FloatMode: 240
; IeeeMode: 1
; LDSByteSize: 0 bytes/workgroup (compile time only)
; SGPRBlocks: 3
; VGPRBlocks: 4
; NumSGPRsForWavesPerEU: 27
; NumVGPRsForWavesPerEU: 37
; Occupancy: 16
; WaveLimiterHint : 1
; COMPUTE_PGM_RSRC2:SCRATCH_EN: 0
; COMPUTE_PGM_RSRC2:USER_SGPR: 15
; COMPUTE_PGM_RSRC2:TRAP_HANDLER: 0
; COMPUTE_PGM_RSRC2:TGID_X_EN: 1
; COMPUTE_PGM_RSRC2:TGID_Y_EN: 0
; COMPUTE_PGM_RSRC2:TGID_Z_EN: 0
; COMPUTE_PGM_RSRC2:TIDIG_COMP_CNT: 0
	.section	.text._ZN2at6native12_GLOBAL__N_125multi_tensor_apply_kernelINS1_28TensorListScalarListMetadataIbLi1EEENS1_25BinaryOpScalarListFunctorIbLi1ELi1ELi0EEEJSt7dividesIbEEEEvT_T0_DpT1_,"axG",@progbits,_ZN2at6native12_GLOBAL__N_125multi_tensor_apply_kernelINS1_28TensorListScalarListMetadataIbLi1EEENS1_25BinaryOpScalarListFunctorIbLi1ELi1ELi0EEEJSt7dividesIbEEEEvT_T0_DpT1_,comdat
	.globl	_ZN2at6native12_GLOBAL__N_125multi_tensor_apply_kernelINS1_28TensorListScalarListMetadataIbLi1EEENS1_25BinaryOpScalarListFunctorIbLi1ELi1ELi0EEEJSt7dividesIbEEEEvT_T0_DpT1_ ; -- Begin function _ZN2at6native12_GLOBAL__N_125multi_tensor_apply_kernelINS1_28TensorListScalarListMetadataIbLi1EEENS1_25BinaryOpScalarListFunctorIbLi1ELi1ELi0EEEJSt7dividesIbEEEEvT_T0_DpT1_
	.p2align	8
	.type	_ZN2at6native12_GLOBAL__N_125multi_tensor_apply_kernelINS1_28TensorListScalarListMetadataIbLi1EEENS1_25BinaryOpScalarListFunctorIbLi1ELi1ELi0EEEJSt7dividesIbEEEEvT_T0_DpT1_,@function
_ZN2at6native12_GLOBAL__N_125multi_tensor_apply_kernelINS1_28TensorListScalarListMetadataIbLi1EEENS1_25BinaryOpScalarListFunctorIbLi1ELi1ELi0EEEJSt7dividesIbEEEEvT_T0_DpT1_: ; @_ZN2at6native12_GLOBAL__N_125multi_tensor_apply_kernelINS1_28TensorListScalarListMetadataIbLi1EEENS1_25BinaryOpScalarListFunctorIbLi1ELi1ELi0EEEJSt7dividesIbEEEEvT_T0_DpT1_
; %bb.0:
	v_mov_b32_e32 v1, s15
	s_add_u32 s2, s0, s15
	s_mul_hi_u32 s3, s15, 3
	s_mul_i32 s15, s15, 3
	s_addc_u32 s4, s1, 0
	global_load_u8 v1, v1, s[0:1] offset:1632
	s_add_u32 s2, s2, s15
	s_addc_u32 s3, s4, s3
	s_load_b32 s4, s[2:3], 0x7a0
	s_waitcnt vmcnt(0)
	v_readfirstlane_b32 s5, v1
	s_delay_alu instid0(VALU_DEP_1)
	s_lshl_b32 s2, s5, 3
	s_waitcnt lgkmcnt(0)
	s_ashr_i32 s5, s4, 31
	s_clause 0x1
	s_load_b64 s[6:7], s[0:1], s2 offset:0x300
	s_load_b64 s[2:3], s[0:1], s2 offset:0x0
	s_lshl_b64 s[10:11], s[4:5], 16
	s_waitcnt lgkmcnt(0)
	s_sub_u32 s4, s6, s10
	s_subb_u32 s5, s7, s11
	s_or_b32 s6, s6, s2
	v_cmp_gt_i64_e64 s7, s[4:5], 0
	s_and_b32 s6, s6, 3
	s_delay_alu instid0(SALU_CYCLE_1)
	s_cmp_lg_u32 s6, 0
	s_cselect_b32 s6, -1, 0
	s_delay_alu instid0(VALU_DEP_1) | instid1(SALU_CYCLE_1)
	s_and_b32 s6, s6, s7
	s_delay_alu instid0(SALU_CYCLE_1)
	s_and_not1_b32 vcc_lo, exec_lo, s6
	s_mov_b64 s[6:7], 0
	s_cbranch_vccnz .LBB57_19
; %bb.1:
	s_load_b32 s0, s[0:1], 0xcb4
	v_add_co_u32 v11, s1, s10, v0
	s_delay_alu instid0(VALU_DEP_1) | instskip(SKIP_1) | instid1(VALU_DEP_3)
	v_add_co_ci_u32_e64 v12, null, s11, 0, s1
	v_cmp_gt_u64_e64 s1, 0x10000, s[4:5]
	v_add_co_u32 v1, vcc_lo, s2, v11
	s_delay_alu instid0(VALU_DEP_3) | instskip(SKIP_2) | instid1(VALU_DEP_3)
	v_add_co_ci_u32_e32 v2, vcc_lo, s3, v12, vcc_lo
	s_waitcnt lgkmcnt(0)
	s_and_b32 s0, s0, 0xffff
	s_and_b32 s1, s1, exec_lo
	s_mul_i32 s13, s0, 3
	s_cselect_b32 s9, s5, 0
	s_cselect_b32 s8, s4, 0x10000
	s_lshl_b32 s1, s0, 1
	s_lshl_b32 s12, s0, 2
	s_add_u32 s14, s10, s13
	v_add_co_u32 v3, s13, s13, v0
	s_delay_alu instid0(VALU_DEP_1)
	v_add_co_ci_u32_e64 v4, null, 0, 0, s13
	s_addc_u32 s13, s11, 0
	s_add_u32 s14, s2, s14
	s_addc_u32 s13, s3, s13
	s_add_u32 s10, s10, s1
	;; [unrolled: 2-line block ×3, first 2 shown]
	v_add_co_u32 v9, s1, s1, v0
	s_addc_u32 s11, s3, s11
	v_add_co_ci_u32_e64 v10, null, 0, 0, s1
	s_add_u32 s1, s2, s0
	v_add_co_u32 v5, s14, s14, v0
	v_add_co_u32 v7, s10, s10, v0
	s_addc_u32 s2, s3, 0
	v_add_co_u32 v11, vcc_lo, s1, v11
	v_add_co_u32 v13, s0, v0, s0
	v_add_co_ci_u32_e64 v6, null, s13, 0, s14
	v_add_co_ci_u32_e64 v8, null, s11, 0, s10
	v_add_co_ci_u32_e32 v12, vcc_lo, s2, v12, vcc_lo
	v_add_co_ci_u32_e64 v14, null, 0, 0, s0
	s_branch .LBB57_3
.LBB57_2:                               ;   in Loop: Header=BB57_3 Depth=1
	s_or_b32 exec_lo, exec_lo, s0
	s_add_u32 s6, s6, s12
	s_addc_u32 s7, s7, 0
	s_delay_alu instid0(SALU_CYCLE_1) | instskip(SKIP_1) | instid1(VALU_DEP_1)
	v_cmp_lt_i64_e64 s0, s[6:7], s[4:5]
	v_cmp_gt_u64_e64 s1, 0x10000, s[6:7]
	s_and_b32 s0, s0, s1
	s_delay_alu instid0(SALU_CYCLE_1)
	s_and_b32 vcc_lo, exec_lo, s0
	s_cbranch_vccz .LBB57_19
.LBB57_3:                               ; =>This Inner Loop Header: Depth=1
	s_waitcnt vmcnt(0)
	v_add_co_u32 v15, s0, v0, s6
	s_delay_alu instid0(VALU_DEP_1) | instskip(NEXT) | instid1(VALU_DEP_1)
	v_add_co_ci_u32_e64 v16, null, 0, s7, s0
	v_cmp_gt_u64_e32 vcc_lo, s[8:9], v[15:16]
	v_mov_b32_e32 v15, 0
	s_and_saveexec_b32 s1, vcc_lo
	s_cbranch_execz .LBB57_5
; %bb.4:                                ;   in Loop: Header=BB57_3 Depth=1
	v_add_co_u32 v15, s0, v1, s6
	s_delay_alu instid0(VALU_DEP_1)
	v_add_co_ci_u32_e64 v16, s0, s7, v2, s0
	global_load_u8 v15, v[15:16], off
.LBB57_5:                               ;   in Loop: Header=BB57_3 Depth=1
	s_or_b32 exec_lo, exec_lo, s1
	v_add_co_u32 v16, s0, v13, s6
	s_delay_alu instid0(VALU_DEP_1) | instskip(NEXT) | instid1(VALU_DEP_1)
	v_add_co_ci_u32_e64 v17, s0, s7, v14, s0
	v_cmp_gt_u64_e64 s0, s[8:9], v[16:17]
	v_mov_b32_e32 v17, 0
	s_delay_alu instid0(VALU_DEP_2)
	s_and_saveexec_b32 s2, s0
	s_cbranch_execz .LBB57_7
; %bb.6:                                ;   in Loop: Header=BB57_3 Depth=1
	v_add_co_u32 v16, s1, v11, s6
	s_delay_alu instid0(VALU_DEP_1)
	v_add_co_ci_u32_e64 v17, s1, s7, v12, s1
	global_load_u8 v17, v[16:17], off
.LBB57_7:                               ;   in Loop: Header=BB57_3 Depth=1
	s_or_b32 exec_lo, exec_lo, s2
	v_add_co_u32 v18, s1, v9, s6
	s_delay_alu instid0(VALU_DEP_1) | instskip(SKIP_1) | instid1(VALU_DEP_2)
	v_add_co_ci_u32_e64 v19, s1, s7, v10, s1
	v_mov_b32_e32 v16, 0
	v_cmp_gt_u64_e64 s1, s[8:9], v[18:19]
	v_mov_b32_e32 v18, 0
	s_delay_alu instid0(VALU_DEP_2)
	s_and_saveexec_b32 s3, s1
	s_cbranch_execz .LBB57_9
; %bb.8:                                ;   in Loop: Header=BB57_3 Depth=1
	v_add_co_u32 v18, s2, v7, s6
	s_delay_alu instid0(VALU_DEP_1)
	v_add_co_ci_u32_e64 v19, s2, s7, v8, s2
	global_load_u8 v18, v[18:19], off
.LBB57_9:                               ;   in Loop: Header=BB57_3 Depth=1
	s_or_b32 exec_lo, exec_lo, s3
	v_add_co_u32 v19, s2, v3, s6
	s_delay_alu instid0(VALU_DEP_1) | instskip(NEXT) | instid1(VALU_DEP_1)
	v_add_co_ci_u32_e64 v20, s2, s7, v4, s2
	v_cmp_gt_u64_e64 s2, s[8:9], v[19:20]
	s_delay_alu instid0(VALU_DEP_1)
	s_and_saveexec_b32 s10, s2
	s_cbranch_execnz .LBB57_14
; %bb.10:                               ;   in Loop: Header=BB57_3 Depth=1
	s_or_b32 exec_lo, exec_lo, s10
	s_and_saveexec_b32 s3, vcc_lo
	s_cbranch_execnz .LBB57_15
.LBB57_11:                              ;   in Loop: Header=BB57_3 Depth=1
	s_or_b32 exec_lo, exec_lo, s3
	s_and_saveexec_b32 s3, s0
	s_cbranch_execnz .LBB57_16
.LBB57_12:                              ;   in Loop: Header=BB57_3 Depth=1
	s_or_b32 exec_lo, exec_lo, s3
	s_and_saveexec_b32 s0, s1
	s_cbranch_execnz .LBB57_17
.LBB57_13:                              ;   in Loop: Header=BB57_3 Depth=1
	s_or_b32 exec_lo, exec_lo, s0
	s_and_saveexec_b32 s0, s2
	s_cbranch_execz .LBB57_2
	s_branch .LBB57_18
.LBB57_14:                              ;   in Loop: Header=BB57_3 Depth=1
	v_add_co_u32 v19, s3, v5, s6
	s_delay_alu instid0(VALU_DEP_1)
	v_add_co_ci_u32_e64 v20, s3, s7, v6, s3
	global_load_u8 v16, v[19:20], off
	s_or_b32 exec_lo, exec_lo, s10
	s_and_saveexec_b32 s3, vcc_lo
	s_cbranch_execz .LBB57_11
.LBB57_15:                              ;   in Loop: Header=BB57_3 Depth=1
	v_add_co_u32 v19, vcc_lo, v1, s6
	v_add_co_ci_u32_e32 v20, vcc_lo, s7, v2, vcc_lo
	s_waitcnt vmcnt(0)
	global_store_b8 v[19:20], v15, off
	s_or_b32 exec_lo, exec_lo, s3
	s_and_saveexec_b32 s3, s0
	s_cbranch_execz .LBB57_12
.LBB57_16:                              ;   in Loop: Header=BB57_3 Depth=1
	v_add_co_u32 v19, vcc_lo, v11, s6
	v_add_co_ci_u32_e32 v20, vcc_lo, s7, v12, vcc_lo
	s_waitcnt vmcnt(0)
	global_store_b8 v[19:20], v17, off
	s_or_b32 exec_lo, exec_lo, s3
	s_and_saveexec_b32 s0, s1
	s_cbranch_execz .LBB57_13
.LBB57_17:                              ;   in Loop: Header=BB57_3 Depth=1
	v_add_co_u32 v19, vcc_lo, v7, s6
	v_add_co_ci_u32_e32 v20, vcc_lo, s7, v8, vcc_lo
	s_waitcnt vmcnt(0)
	global_store_b8 v[19:20], v18, off
	s_or_b32 exec_lo, exec_lo, s0
	s_and_saveexec_b32 s0, s2
	s_cbranch_execz .LBB57_2
.LBB57_18:                              ;   in Loop: Header=BB57_3 Depth=1
	s_waitcnt vmcnt(0)
	v_add_co_u32 v17, vcc_lo, v5, s6
	v_add_co_ci_u32_e32 v18, vcc_lo, s7, v6, vcc_lo
	global_store_b8 v[17:18], v16, off
	s_branch .LBB57_2
.LBB57_19:
	s_nop 0
	s_sendmsg sendmsg(MSG_DEALLOC_VGPRS)
	s_endpgm
	.section	.rodata,"a",@progbits
	.p2align	6, 0x0
	.amdhsa_kernel _ZN2at6native12_GLOBAL__N_125multi_tensor_apply_kernelINS1_28TensorListScalarListMetadataIbLi1EEENS1_25BinaryOpScalarListFunctorIbLi1ELi1ELi0EEEJSt7dividesIbEEEEvT_T0_DpT1_
		.amdhsa_group_segment_fixed_size 0
		.amdhsa_private_segment_fixed_size 0
		.amdhsa_kernarg_size 3496
		.amdhsa_user_sgpr_count 15
		.amdhsa_user_sgpr_dispatch_ptr 0
		.amdhsa_user_sgpr_queue_ptr 0
		.amdhsa_user_sgpr_kernarg_segment_ptr 1
		.amdhsa_user_sgpr_dispatch_id 0
		.amdhsa_user_sgpr_private_segment_size 0
		.amdhsa_wavefront_size32 1
		.amdhsa_uses_dynamic_stack 0
		.amdhsa_enable_private_segment 0
		.amdhsa_system_sgpr_workgroup_id_x 1
		.amdhsa_system_sgpr_workgroup_id_y 0
		.amdhsa_system_sgpr_workgroup_id_z 0
		.amdhsa_system_sgpr_workgroup_info 0
		.amdhsa_system_vgpr_workitem_id 0
		.amdhsa_next_free_vgpr 21
		.amdhsa_next_free_sgpr 16
		.amdhsa_reserve_vcc 1
		.amdhsa_float_round_mode_32 0
		.amdhsa_float_round_mode_16_64 0
		.amdhsa_float_denorm_mode_32 3
		.amdhsa_float_denorm_mode_16_64 3
		.amdhsa_dx10_clamp 1
		.amdhsa_ieee_mode 1
		.amdhsa_fp16_overflow 0
		.amdhsa_workgroup_processor_mode 1
		.amdhsa_memory_ordered 1
		.amdhsa_forward_progress 0
		.amdhsa_shared_vgpr_count 0
		.amdhsa_exception_fp_ieee_invalid_op 0
		.amdhsa_exception_fp_denorm_src 0
		.amdhsa_exception_fp_ieee_div_zero 0
		.amdhsa_exception_fp_ieee_overflow 0
		.amdhsa_exception_fp_ieee_underflow 0
		.amdhsa_exception_fp_ieee_inexact 0
		.amdhsa_exception_int_div_zero 0
	.end_amdhsa_kernel
	.section	.text._ZN2at6native12_GLOBAL__N_125multi_tensor_apply_kernelINS1_28TensorListScalarListMetadataIbLi1EEENS1_25BinaryOpScalarListFunctorIbLi1ELi1ELi0EEEJSt7dividesIbEEEEvT_T0_DpT1_,"axG",@progbits,_ZN2at6native12_GLOBAL__N_125multi_tensor_apply_kernelINS1_28TensorListScalarListMetadataIbLi1EEENS1_25BinaryOpScalarListFunctorIbLi1ELi1ELi0EEEJSt7dividesIbEEEEvT_T0_DpT1_,comdat
.Lfunc_end57:
	.size	_ZN2at6native12_GLOBAL__N_125multi_tensor_apply_kernelINS1_28TensorListScalarListMetadataIbLi1EEENS1_25BinaryOpScalarListFunctorIbLi1ELi1ELi0EEEJSt7dividesIbEEEEvT_T0_DpT1_, .Lfunc_end57-_ZN2at6native12_GLOBAL__N_125multi_tensor_apply_kernelINS1_28TensorListScalarListMetadataIbLi1EEENS1_25BinaryOpScalarListFunctorIbLi1ELi1ELi0EEEJSt7dividesIbEEEEvT_T0_DpT1_
                                        ; -- End function
	.section	.AMDGPU.csdata,"",@progbits
; Kernel info:
; codeLenInByte = 952
; NumSgprs: 18
; NumVgprs: 21
; ScratchSize: 0
; MemoryBound: 0
; FloatMode: 240
; IeeeMode: 1
; LDSByteSize: 0 bytes/workgroup (compile time only)
; SGPRBlocks: 2
; VGPRBlocks: 2
; NumSGPRsForWavesPerEU: 18
; NumVGPRsForWavesPerEU: 21
; Occupancy: 16
; WaveLimiterHint : 0
; COMPUTE_PGM_RSRC2:SCRATCH_EN: 0
; COMPUTE_PGM_RSRC2:USER_SGPR: 15
; COMPUTE_PGM_RSRC2:TRAP_HANDLER: 0
; COMPUTE_PGM_RSRC2:TGID_X_EN: 1
; COMPUTE_PGM_RSRC2:TGID_Y_EN: 0
; COMPUTE_PGM_RSRC2:TGID_Z_EN: 0
; COMPUTE_PGM_RSRC2:TIDIG_COMP_CNT: 0
	.section	.text._ZN2at6native12_GLOBAL__N_125multi_tensor_apply_kernelINS1_28TensorListScalarListMetadataIfLi1EEENS1_25BinaryOpScalarListFunctorIN3c104HalfELi1ELi1ELi0EEEJSt7dividesIfEEEEvT_T0_DpT1_,"axG",@progbits,_ZN2at6native12_GLOBAL__N_125multi_tensor_apply_kernelINS1_28TensorListScalarListMetadataIfLi1EEENS1_25BinaryOpScalarListFunctorIN3c104HalfELi1ELi1ELi0EEEJSt7dividesIfEEEEvT_T0_DpT1_,comdat
	.globl	_ZN2at6native12_GLOBAL__N_125multi_tensor_apply_kernelINS1_28TensorListScalarListMetadataIfLi1EEENS1_25BinaryOpScalarListFunctorIN3c104HalfELi1ELi1ELi0EEEJSt7dividesIfEEEEvT_T0_DpT1_ ; -- Begin function _ZN2at6native12_GLOBAL__N_125multi_tensor_apply_kernelINS1_28TensorListScalarListMetadataIfLi1EEENS1_25BinaryOpScalarListFunctorIN3c104HalfELi1ELi1ELi0EEEJSt7dividesIfEEEEvT_T0_DpT1_
	.p2align	8
	.type	_ZN2at6native12_GLOBAL__N_125multi_tensor_apply_kernelINS1_28TensorListScalarListMetadataIfLi1EEENS1_25BinaryOpScalarListFunctorIN3c104HalfELi1ELi1ELi0EEEJSt7dividesIfEEEEvT_T0_DpT1_,@function
_ZN2at6native12_GLOBAL__N_125multi_tensor_apply_kernelINS1_28TensorListScalarListMetadataIfLi1EEENS1_25BinaryOpScalarListFunctorIN3c104HalfELi1ELi1ELi0EEEJSt7dividesIfEEEEvT_T0_DpT1_: ; @_ZN2at6native12_GLOBAL__N_125multi_tensor_apply_kernelINS1_28TensorListScalarListMetadataIfLi1EEENS1_25BinaryOpScalarListFunctorIN3c104HalfELi1ELi1ELi0EEEJSt7dividesIfEEEEvT_T0_DpT1_
; %bb.0:
	v_mov_b32_e32 v1, s15
	s_add_u32 s2, s0, s15
	s_mul_i32 s3, s15, 3
	s_mul_hi_u32 s4, s15, 3
	s_addc_u32 s5, s1, 0
	global_load_u8 v1, v1, s[0:1] offset:1920
	s_add_u32 s2, s2, s3
	s_addc_u32 s3, s5, s4
	s_load_b32 s2, s[2:3], 0x8c0
	s_waitcnt vmcnt(0)
	v_readfirstlane_b32 s3, v1
	v_lshlrev_b32_e32 v1, 2, v1
	s_delay_alu instid0(VALU_DEP_2)
	s_lshl_b32 s6, s3, 3
	s_waitcnt lgkmcnt(0)
	s_ashr_i32 s3, s2, 31
	s_clause 0x1
	s_load_b64 s[4:5], s[0:1], s6 offset:0x300
	s_load_b64 s[8:9], s[0:1], s6 offset:0x0
	s_add_u32 s6, s0, s6
	s_addc_u32 s7, s1, 0
	v_sub_co_u32 v1, s6, s6, v1
	s_delay_alu instid0(VALU_DEP_1) | instskip(SKIP_1) | instid1(VALU_DEP_2)
	v_sub_co_ci_u32_e64 v2, null, s7, 0, s6
	s_lshl_b64 s[10:11], s[2:3], 17
	v_readfirstlane_b32 s6, v1
	s_lshl_b64 s[2:3], s[2:3], 16
	s_delay_alu instid0(VALU_DEP_2)
	v_readfirstlane_b32 s7, v2
	s_load_b32 s16, s[6:7], 0x600
	s_waitcnt lgkmcnt(0)
	s_and_b32 s12, s8, 7
	s_sub_u32 s6, s4, s2
	s_subb_u32 s7, s5, s3
	s_and_b32 s2, s4, 3
	s_mov_b32 s3, 0
	s_or_b32 s2, s12, s2
	s_delay_alu instid0(SALU_CYCLE_1)
	s_cmp_eq_u64 s[2:3], 0
	s_cbranch_scc1 .LBB58_21
; %bb.1:
	v_cmp_lt_i64_e64 s2, s[6:7], 1
	s_delay_alu instid0(VALU_DEP_1)
	s_and_b32 vcc_lo, exec_lo, s2
	s_cbranch_vccnz .LBB58_20
; %bb.2:
	s_load_b32 s2, s[0:1], 0xdd4
	v_cmp_gt_u64_e64 s3, 0x10000, s[6:7]
	v_lshlrev_b32_e32 v1, 1, v0
	s_waitcnt lgkmcnt(0)
	s_and_b32 s2, s2, 0xffff
	s_delay_alu instid0(VALU_DEP_2)
	s_and_b32 s3, s3, exec_lo
	v_add_co_u32 v5, s5, v0, s2
	s_cselect_b32 s13, s7, 0
	s_cselect_b32 s12, s6, 0x10000
	s_lshl_b32 s3, s2, 1
	s_lshl_b32 s17, s2, 2
	v_lshlrev_b32_e32 v3, 1, v5
	v_add_co_ci_u32_e64 v6, null, 0, 0, s5
	s_add_u32 s5, s8, s10
	v_add_co_u32 v9, s3, s3, v0
	s_mul_i32 s4, s2, 3
	s_addc_u32 s14, s9, s11
	v_add_co_ci_u32_e64 v10, null, 0, 0, s3
	v_add_co_u32 v1, s3, s5, v1
	v_add_co_u32 v7, s4, s4, v0
	v_add_co_ci_u32_e64 v2, null, s14, 0, s3
	v_add_co_u32 v3, s3, s5, v3
	v_add_co_ci_u32_e64 v8, null, 0, 0, s4
	v_add_co_ci_u32_e64 v4, null, s14, 0, s3
	s_lshl_b32 s18, s2, 3
	s_mul_i32 s19, s2, 6
	s_mov_b64 s[14:15], 0
	s_branch .LBB58_4
.LBB58_3:                               ;   in Loop: Header=BB58_4 Depth=1
	s_or_b32 exec_lo, exec_lo, s3
	s_add_u32 s14, s14, s17
	s_addc_u32 s15, s15, 0
	v_add_co_u32 v1, vcc_lo, v1, s18
	v_cmp_lt_i64_e64 s2, s[14:15], s[6:7]
	v_cmp_gt_u64_e64 s3, 0x10000, s[14:15]
	v_add_co_ci_u32_e32 v2, vcc_lo, 0, v2, vcc_lo
	v_add_co_u32 v3, vcc_lo, v3, s18
	v_add_co_ci_u32_e32 v4, vcc_lo, 0, v4, vcc_lo
	s_delay_alu instid0(VALU_DEP_4) | instskip(NEXT) | instid1(SALU_CYCLE_1)
	s_and_b32 s2, s2, s3
	s_and_b32 vcc_lo, exec_lo, s2
	s_cbranch_vccz .LBB58_20
.LBB58_4:                               ; =>This Inner Loop Header: Depth=1
	s_waitcnt vmcnt(0)
	v_add_co_u32 v11, s2, v0, s14
	s_delay_alu instid0(VALU_DEP_1) | instskip(SKIP_1) | instid1(VALU_DEP_2)
	v_add_co_ci_u32_e64 v12, null, 0, s15, s2
	v_mov_b32_e32 v14, 0
	v_cmp_gt_u64_e32 vcc_lo, s[12:13], v[11:12]
	s_and_saveexec_b32 s2, vcc_lo
	s_cbranch_execz .LBB58_6
; %bb.5:                                ;   in Loop: Header=BB58_4 Depth=1
	global_load_u16 v14, v[1:2], off
.LBB58_6:                               ;   in Loop: Header=BB58_4 Depth=1
	s_or_b32 exec_lo, exec_lo, s2
	v_add_co_u32 v11, s2, v5, s14
	s_delay_alu instid0(VALU_DEP_1) | instskip(SKIP_1) | instid1(VALU_DEP_2)
	v_add_co_ci_u32_e64 v12, s2, s15, v6, s2
	v_mov_b32_e32 v13, 0
	v_cmp_gt_u64_e64 s4, s[12:13], v[11:12]
	s_delay_alu instid0(VALU_DEP_1)
	s_and_saveexec_b32 s2, s4
	s_cbranch_execz .LBB58_8
; %bb.7:                                ;   in Loop: Header=BB58_4 Depth=1
	global_load_u16 v13, v[3:4], off
.LBB58_8:                               ;   in Loop: Header=BB58_4 Depth=1
	s_or_b32 exec_lo, exec_lo, s2
	v_add_co_u32 v11, s2, v9, s14
	s_delay_alu instid0(VALU_DEP_1) | instskip(NEXT) | instid1(VALU_DEP_1)
	v_add_co_ci_u32_e64 v12, s2, s15, v10, s2
	v_cmp_gt_u64_e64 s3, s[12:13], v[11:12]
	v_dual_mov_b32 v11, 0 :: v_dual_mov_b32 v12, 0
	s_delay_alu instid0(VALU_DEP_2)
	s_and_saveexec_b32 s5, s3
	s_cbranch_execz .LBB58_10
; %bb.9:                                ;   in Loop: Header=BB58_4 Depth=1
	v_add_co_u32 v15, s2, v1, s17
	s_delay_alu instid0(VALU_DEP_1)
	v_add_co_ci_u32_e64 v16, s2, 0, v2, s2
	global_load_u16 v12, v[15:16], off
.LBB58_10:                              ;   in Loop: Header=BB58_4 Depth=1
	s_or_b32 exec_lo, exec_lo, s5
	v_add_co_u32 v15, s2, v7, s14
	s_delay_alu instid0(VALU_DEP_1) | instskip(NEXT) | instid1(VALU_DEP_1)
	v_add_co_ci_u32_e64 v16, s2, s15, v8, s2
	v_cmp_gt_u64_e64 s2, s[12:13], v[15:16]
	s_delay_alu instid0(VALU_DEP_1)
	s_and_saveexec_b32 s20, s2
	s_cbranch_execnz .LBB58_15
; %bb.11:                               ;   in Loop: Header=BB58_4 Depth=1
	s_or_b32 exec_lo, exec_lo, s20
	s_and_saveexec_b32 s5, vcc_lo
	s_cbranch_execnz .LBB58_16
.LBB58_12:                              ;   in Loop: Header=BB58_4 Depth=1
	s_or_b32 exec_lo, exec_lo, s5
	s_and_saveexec_b32 s5, s4
	s_cbranch_execnz .LBB58_17
.LBB58_13:                              ;   in Loop: Header=BB58_4 Depth=1
	s_or_b32 exec_lo, exec_lo, s5
	s_and_saveexec_b32 s4, s3
	s_cbranch_execnz .LBB58_18
.LBB58_14:                              ;   in Loop: Header=BB58_4 Depth=1
	s_or_b32 exec_lo, exec_lo, s4
	s_and_saveexec_b32 s3, s2
	s_cbranch_execz .LBB58_3
	s_branch .LBB58_19
.LBB58_15:                              ;   in Loop: Header=BB58_4 Depth=1
	v_add_co_u32 v15, s5, v1, s19
	s_delay_alu instid0(VALU_DEP_1)
	v_add_co_ci_u32_e64 v16, s5, 0, v2, s5
	global_load_u16 v11, v[15:16], off
	s_or_b32 exec_lo, exec_lo, s20
	s_and_saveexec_b32 s5, vcc_lo
	s_cbranch_execz .LBB58_12
.LBB58_16:                              ;   in Loop: Header=BB58_4 Depth=1
	s_waitcnt vmcnt(0)
	v_cvt_f32_f16_e32 v14, v14
	s_delay_alu instid0(VALU_DEP_1) | instskip(NEXT) | instid1(VALU_DEP_1)
	v_div_scale_f32 v15, null, s16, s16, v14
	v_rcp_f32_e32 v16, v15
	s_waitcnt_depctr 0xfff
	v_fma_f32 v17, -v15, v16, 1.0
	s_delay_alu instid0(VALU_DEP_1) | instskip(SKIP_1) | instid1(VALU_DEP_1)
	v_fmac_f32_e32 v16, v17, v16
	v_div_scale_f32 v17, vcc_lo, v14, s16, v14
	v_mul_f32_e32 v18, v17, v16
	s_delay_alu instid0(VALU_DEP_1) | instskip(NEXT) | instid1(VALU_DEP_1)
	v_fma_f32 v19, -v15, v18, v17
	v_fmac_f32_e32 v18, v19, v16
	s_delay_alu instid0(VALU_DEP_1) | instskip(NEXT) | instid1(VALU_DEP_1)
	v_fma_f32 v15, -v15, v18, v17
	v_div_fmas_f32 v15, v15, v16, v18
	s_delay_alu instid0(VALU_DEP_1) | instskip(NEXT) | instid1(VALU_DEP_1)
	v_div_fixup_f32 v14, v15, s16, v14
	v_cvt_f16_f32_e32 v14, v14
	global_store_b16 v[1:2], v14, off
	s_or_b32 exec_lo, exec_lo, s5
	s_and_saveexec_b32 s5, s4
	s_cbranch_execz .LBB58_13
.LBB58_17:                              ;   in Loop: Header=BB58_4 Depth=1
	s_waitcnt vmcnt(0)
	v_cvt_f32_f16_e32 v13, v13
	s_delay_alu instid0(VALU_DEP_1) | instskip(NEXT) | instid1(VALU_DEP_1)
	v_div_scale_f32 v14, null, s16, s16, v13
	v_rcp_f32_e32 v15, v14
	s_waitcnt_depctr 0xfff
	v_fma_f32 v16, -v14, v15, 1.0
	s_delay_alu instid0(VALU_DEP_1) | instskip(SKIP_1) | instid1(VALU_DEP_1)
	v_fmac_f32_e32 v15, v16, v15
	v_div_scale_f32 v16, vcc_lo, v13, s16, v13
	v_mul_f32_e32 v17, v16, v15
	s_delay_alu instid0(VALU_DEP_1) | instskip(NEXT) | instid1(VALU_DEP_1)
	v_fma_f32 v18, -v14, v17, v16
	v_fmac_f32_e32 v17, v18, v15
	s_delay_alu instid0(VALU_DEP_1) | instskip(NEXT) | instid1(VALU_DEP_1)
	v_fma_f32 v14, -v14, v17, v16
	v_div_fmas_f32 v14, v14, v15, v17
	s_delay_alu instid0(VALU_DEP_1) | instskip(NEXT) | instid1(VALU_DEP_1)
	v_div_fixup_f32 v13, v14, s16, v13
	v_cvt_f16_f32_e32 v13, v13
	global_store_b16 v[3:4], v13, off
	s_or_b32 exec_lo, exec_lo, s5
	s_and_saveexec_b32 s4, s3
	s_cbranch_execz .LBB58_14
.LBB58_18:                              ;   in Loop: Header=BB58_4 Depth=1
	s_waitcnt vmcnt(0)
	v_cvt_f32_f16_e32 v12, v12
	s_delay_alu instid0(VALU_DEP_1) | instskip(SKIP_1) | instid1(VALU_DEP_2)
	v_div_scale_f32 v13, null, s16, s16, v12
	v_div_scale_f32 v16, vcc_lo, v12, s16, v12
	v_rcp_f32_e32 v14, v13
	s_waitcnt_depctr 0xfff
	v_fma_f32 v15, -v13, v14, 1.0
	s_delay_alu instid0(VALU_DEP_1) | instskip(NEXT) | instid1(VALU_DEP_1)
	v_fmac_f32_e32 v14, v15, v14
	v_mul_f32_e32 v15, v16, v14
	s_delay_alu instid0(VALU_DEP_1) | instskip(NEXT) | instid1(VALU_DEP_1)
	v_fma_f32 v17, -v13, v15, v16
	v_fmac_f32_e32 v15, v17, v14
	s_delay_alu instid0(VALU_DEP_1) | instskip(NEXT) | instid1(VALU_DEP_1)
	v_fma_f32 v13, -v13, v15, v16
	v_div_fmas_f32 v13, v13, v14, v15
	s_delay_alu instid0(VALU_DEP_1) | instskip(NEXT) | instid1(VALU_DEP_1)
	v_div_fixup_f32 v12, v13, s16, v12
	v_cvt_f16_f32_e32 v14, v12
	v_add_co_u32 v12, vcc_lo, v1, s17
	v_add_co_ci_u32_e32 v13, vcc_lo, 0, v2, vcc_lo
	global_store_b16 v[12:13], v14, off
	s_or_b32 exec_lo, exec_lo, s4
	s_and_saveexec_b32 s3, s2
	s_cbranch_execz .LBB58_3
.LBB58_19:                              ;   in Loop: Header=BB58_4 Depth=1
	s_waitcnt vmcnt(0)
	v_cvt_f32_f16_e32 v11, v11
	s_delay_alu instid0(VALU_DEP_1) | instskip(SKIP_1) | instid1(VALU_DEP_2)
	v_div_scale_f32 v12, null, s16, s16, v11
	v_div_scale_f32 v15, vcc_lo, v11, s16, v11
	v_rcp_f32_e32 v13, v12
	s_waitcnt_depctr 0xfff
	v_fma_f32 v14, -v12, v13, 1.0
	s_delay_alu instid0(VALU_DEP_1) | instskip(NEXT) | instid1(VALU_DEP_1)
	v_fmac_f32_e32 v13, v14, v13
	v_mul_f32_e32 v14, v15, v13
	s_delay_alu instid0(VALU_DEP_1) | instskip(NEXT) | instid1(VALU_DEP_1)
	v_fma_f32 v16, -v12, v14, v15
	v_fmac_f32_e32 v14, v16, v13
	s_delay_alu instid0(VALU_DEP_1) | instskip(NEXT) | instid1(VALU_DEP_1)
	v_fma_f32 v12, -v12, v14, v15
	v_div_fmas_f32 v12, v12, v13, v14
	s_delay_alu instid0(VALU_DEP_1) | instskip(NEXT) | instid1(VALU_DEP_1)
	v_div_fixup_f32 v11, v12, s16, v11
	v_cvt_f16_f32_e32 v13, v11
	v_add_co_u32 v11, vcc_lo, v1, s19
	v_add_co_ci_u32_e32 v12, vcc_lo, 0, v2, vcc_lo
	global_store_b16 v[11:12], v13, off
	s_branch .LBB58_3
.LBB58_20:
	s_cbranch_execz .LBB58_22
	s_branch .LBB58_25
.LBB58_21:
.LBB58_22:
	v_dual_mov_b32 v2, 0 :: v_dual_lshlrev_b32 v1, 2, v0
	s_mov_b32 s3, 0
	s_mov_b32 s2, exec_lo
	s_delay_alu instid0(VALU_DEP_1)
	v_cmpx_gt_i64_e64 s[6:7], v[1:2]
	s_cbranch_execz .LBB58_25
; %bb.23:
	s_load_b32 s0, s[0:1], 0xdd4
	v_lshlrev_b32_e32 v1, 3, v0
	s_mov_b32 s4, s16
	s_waitcnt lgkmcnt(0)
	s_and_b32 s0, s0, 0xffff
	s_add_u32 s1, s8, s10
	s_addc_u32 s2, s9, s11
	v_add_co_u32 v1, s1, s1, v1
	s_delay_alu instid0(VALU_DEP_1) | instskip(SKIP_1) | instid1(VALU_DEP_2)
	v_add_co_ci_u32_e64 v4, null, s2, 0, s1
	s_lshl_b32 s5, s0, 3
	v_add_co_u32 v3, vcc_lo, v1, 4
	s_delay_alu instid0(VALU_DEP_2)
	v_add_co_ci_u32_e32 v4, vcc_lo, 0, v4, vcc_lo
	v_add_lshl_u32 v1, v0, s0, 2
	s_lshl_b32 s8, s0, 2
.LBB58_24:                              ; =>This Inner Loop Header: Depth=1
	global_load_b64 v[5:6], v[3:4], off offset:-4
	s_waitcnt vmcnt(0)
	v_lshrrev_b32_e32 v0, 16, v5
	v_lshrrev_b32_e32 v7, 16, v6
	v_cvt_f32_f16_e32 v5, v5
	v_cvt_f32_f16_e32 v6, v6
	s_delay_alu instid0(VALU_DEP_4) | instskip(NEXT) | instid1(VALU_DEP_4)
	v_cvt_f32_f16_e32 v0, v0
	v_cvt_f32_f16_e32 v7, v7
	s_delay_alu instid0(VALU_DEP_4) | instskip(NEXT) | instid1(VALU_DEP_4)
	v_div_scale_f32 v8, null, s16, s16, v5
	v_div_scale_f32 v9, null, s16, s16, v6
	s_delay_alu instid0(VALU_DEP_4) | instskip(NEXT) | instid1(VALU_DEP_4)
	v_div_scale_f32 v10, null, s4, s4, v0
	v_div_scale_f32 v11, null, s4, s4, v7
	s_delay_alu instid0(VALU_DEP_4) | instskip(NEXT) | instid1(VALU_DEP_2)
	v_rcp_f32_e32 v12, v8
	v_rcp_f32_e32 v14, v10
	;; [unrolled: 1-line block ×3, first 2 shown]
	s_delay_alu instid0(VALU_DEP_1) | instskip(SKIP_4) | instid1(TRANS32_DEP_3)
	v_rcp_f32_e32 v15, v11
	v_div_scale_f32 v16, s0, v5, s16, v5
	v_div_scale_f32 v18, vcc_lo, v0, s4, v0
	v_div_scale_f32 v17, s1, v6, s16, v6
	v_fma_f32 v19, -v8, v12, 1.0
	v_fma_f32 v21, -v10, v14, 1.0
	s_delay_alu instid0(TRANS32_DEP_2) | instskip(NEXT) | instid1(TRANS32_DEP_1)
	v_fma_f32 v20, -v9, v13, 1.0
	v_fma_f32 v22, -v11, v15, 1.0
	v_div_scale_f32 v23, s2, v7, s4, v7
	s_delay_alu instid0(VALU_DEP_3) | instskip(NEXT) | instid1(VALU_DEP_3)
	v_dual_fmac_f32 v12, v19, v12 :: v_dual_fmac_f32 v13, v20, v13
	v_dual_fmac_f32 v14, v21, v14 :: v_dual_fmac_f32 v15, v22, v15
	s_delay_alu instid0(VALU_DEP_2) | instskip(NEXT) | instid1(VALU_DEP_2)
	v_mul_f32_e32 v19, v16, v12
	v_dual_mul_f32 v21, v17, v13 :: v_dual_mul_f32 v20, v18, v14
	s_delay_alu instid0(VALU_DEP_3) | instskip(NEXT) | instid1(VALU_DEP_3)
	v_mul_f32_e32 v22, v23, v15
	v_fma_f32 v24, -v8, v19, v16
	s_delay_alu instid0(VALU_DEP_3) | instskip(NEXT) | instid1(VALU_DEP_4)
	v_fma_f32 v26, -v9, v21, v17
	v_fma_f32 v25, -v10, v20, v18
	s_delay_alu instid0(VALU_DEP_4) | instskip(NEXT) | instid1(VALU_DEP_4)
	v_fma_f32 v27, -v11, v22, v23
	v_fmac_f32_e32 v19, v24, v12
	s_delay_alu instid0(VALU_DEP_3) | instskip(NEXT) | instid1(VALU_DEP_3)
	v_dual_fmac_f32 v21, v26, v13 :: v_dual_fmac_f32 v20, v25, v14
	v_fmac_f32_e32 v22, v27, v15
	s_delay_alu instid0(VALU_DEP_3) | instskip(NEXT) | instid1(VALU_DEP_3)
	v_fma_f32 v8, -v8, v19, v16
	v_fma_f32 v9, -v9, v21, v17
	s_delay_alu instid0(VALU_DEP_4) | instskip(NEXT) | instid1(VALU_DEP_4)
	v_fma_f32 v10, -v10, v20, v18
	v_fma_f32 v11, -v11, v22, v23
	s_delay_alu instid0(VALU_DEP_2)
	v_div_fmas_f32 v10, v10, v14, v20
	s_mov_b32 vcc_lo, s0
	v_cmp_lt_u64_e64 s0, 0xffff, v[1:2]
	v_div_fmas_f32 v8, v8, v12, v19
	s_mov_b32 vcc_lo, s2
	v_div_fixup_f32 v0, v10, s4, v0
	v_div_fmas_f32 v11, v11, v15, v22
	s_mov_b32 vcc_lo, s1
	v_div_fixup_f32 v5, v8, s16, v5
	v_div_fmas_f32 v9, v9, v13, v21
	v_cvt_f16_f32_e32 v0, v0
	v_div_fixup_f32 v7, v11, s4, v7
	v_cmp_le_i64_e32 vcc_lo, s[6:7], v[1:2]
	v_cvt_f16_f32_e32 v5, v5
	v_div_fixup_f32 v6, v9, s16, v6
	v_add_co_u32 v1, s1, v1, s8
	v_cvt_f16_f32_e32 v7, v7
	s_delay_alu instid0(VALU_DEP_4) | instskip(NEXT) | instid1(VALU_DEP_4)
	v_pack_b32_f16 v5, v5, v0
	v_cvt_f16_f32_e32 v6, v6
	s_or_b32 s0, vcc_lo, s0
	v_add_co_ci_u32_e64 v2, s1, 0, v2, s1
	s_and_b32 s0, exec_lo, s0
	s_delay_alu instid0(VALU_DEP_2)
	v_pack_b32_f16 v6, v6, v7
	s_or_b32 s3, s0, s3
	global_store_b64 v[3:4], v[5:6], off offset:-4
	v_add_co_u32 v3, vcc_lo, v3, s5
	v_add_co_ci_u32_e32 v4, vcc_lo, 0, v4, vcc_lo
	s_and_not1_b32 exec_lo, exec_lo, s3
	s_cbranch_execnz .LBB58_24
.LBB58_25:
	s_nop 0
	s_sendmsg sendmsg(MSG_DEALLOC_VGPRS)
	s_endpgm
	.section	.rodata,"a",@progbits
	.p2align	6, 0x0
	.amdhsa_kernel _ZN2at6native12_GLOBAL__N_125multi_tensor_apply_kernelINS1_28TensorListScalarListMetadataIfLi1EEENS1_25BinaryOpScalarListFunctorIN3c104HalfELi1ELi1ELi0EEEJSt7dividesIfEEEEvT_T0_DpT1_
		.amdhsa_group_segment_fixed_size 0
		.amdhsa_private_segment_fixed_size 0
		.amdhsa_kernarg_size 3784
		.amdhsa_user_sgpr_count 15
		.amdhsa_user_sgpr_dispatch_ptr 0
		.amdhsa_user_sgpr_queue_ptr 0
		.amdhsa_user_sgpr_kernarg_segment_ptr 1
		.amdhsa_user_sgpr_dispatch_id 0
		.amdhsa_user_sgpr_private_segment_size 0
		.amdhsa_wavefront_size32 1
		.amdhsa_uses_dynamic_stack 0
		.amdhsa_enable_private_segment 0
		.amdhsa_system_sgpr_workgroup_id_x 1
		.amdhsa_system_sgpr_workgroup_id_y 0
		.amdhsa_system_sgpr_workgroup_id_z 0
		.amdhsa_system_sgpr_workgroup_info 0
		.amdhsa_system_vgpr_workitem_id 0
		.amdhsa_next_free_vgpr 28
		.amdhsa_next_free_sgpr 21
		.amdhsa_reserve_vcc 1
		.amdhsa_float_round_mode_32 0
		.amdhsa_float_round_mode_16_64 0
		.amdhsa_float_denorm_mode_32 3
		.amdhsa_float_denorm_mode_16_64 3
		.amdhsa_dx10_clamp 1
		.amdhsa_ieee_mode 1
		.amdhsa_fp16_overflow 0
		.amdhsa_workgroup_processor_mode 1
		.amdhsa_memory_ordered 1
		.amdhsa_forward_progress 0
		.amdhsa_shared_vgpr_count 0
		.amdhsa_exception_fp_ieee_invalid_op 0
		.amdhsa_exception_fp_denorm_src 0
		.amdhsa_exception_fp_ieee_div_zero 0
		.amdhsa_exception_fp_ieee_overflow 0
		.amdhsa_exception_fp_ieee_underflow 0
		.amdhsa_exception_fp_ieee_inexact 0
		.amdhsa_exception_int_div_zero 0
	.end_amdhsa_kernel
	.section	.text._ZN2at6native12_GLOBAL__N_125multi_tensor_apply_kernelINS1_28TensorListScalarListMetadataIfLi1EEENS1_25BinaryOpScalarListFunctorIN3c104HalfELi1ELi1ELi0EEEJSt7dividesIfEEEEvT_T0_DpT1_,"axG",@progbits,_ZN2at6native12_GLOBAL__N_125multi_tensor_apply_kernelINS1_28TensorListScalarListMetadataIfLi1EEENS1_25BinaryOpScalarListFunctorIN3c104HalfELi1ELi1ELi0EEEJSt7dividesIfEEEEvT_T0_DpT1_,comdat
.Lfunc_end58:
	.size	_ZN2at6native12_GLOBAL__N_125multi_tensor_apply_kernelINS1_28TensorListScalarListMetadataIfLi1EEENS1_25BinaryOpScalarListFunctorIN3c104HalfELi1ELi1ELi0EEEJSt7dividesIfEEEEvT_T0_DpT1_, .Lfunc_end58-_ZN2at6native12_GLOBAL__N_125multi_tensor_apply_kernelINS1_28TensorListScalarListMetadataIfLi1EEENS1_25BinaryOpScalarListFunctorIN3c104HalfELi1ELi1ELi0EEEJSt7dividesIfEEEEvT_T0_DpT1_
                                        ; -- End function
	.section	.AMDGPU.csdata,"",@progbits
; Kernel info:
; codeLenInByte = 1952
; NumSgprs: 23
; NumVgprs: 28
; ScratchSize: 0
; MemoryBound: 0
; FloatMode: 240
; IeeeMode: 1
; LDSByteSize: 0 bytes/workgroup (compile time only)
; SGPRBlocks: 2
; VGPRBlocks: 3
; NumSGPRsForWavesPerEU: 23
; NumVGPRsForWavesPerEU: 28
; Occupancy: 16
; WaveLimiterHint : 0
; COMPUTE_PGM_RSRC2:SCRATCH_EN: 0
; COMPUTE_PGM_RSRC2:USER_SGPR: 15
; COMPUTE_PGM_RSRC2:TRAP_HANDLER: 0
; COMPUTE_PGM_RSRC2:TGID_X_EN: 1
; COMPUTE_PGM_RSRC2:TGID_Y_EN: 0
; COMPUTE_PGM_RSRC2:TGID_Z_EN: 0
; COMPUTE_PGM_RSRC2:TIDIG_COMP_CNT: 0
	.section	.text._ZN2at6native12_GLOBAL__N_125multi_tensor_apply_kernelINS1_28TensorListScalarListMetadataIfLi1EEENS1_25BinaryOpScalarListFunctorIN3c108BFloat16ELi1ELi1ELi0EEEJSt7dividesIfEEEEvT_T0_DpT1_,"axG",@progbits,_ZN2at6native12_GLOBAL__N_125multi_tensor_apply_kernelINS1_28TensorListScalarListMetadataIfLi1EEENS1_25BinaryOpScalarListFunctorIN3c108BFloat16ELi1ELi1ELi0EEEJSt7dividesIfEEEEvT_T0_DpT1_,comdat
	.globl	_ZN2at6native12_GLOBAL__N_125multi_tensor_apply_kernelINS1_28TensorListScalarListMetadataIfLi1EEENS1_25BinaryOpScalarListFunctorIN3c108BFloat16ELi1ELi1ELi0EEEJSt7dividesIfEEEEvT_T0_DpT1_ ; -- Begin function _ZN2at6native12_GLOBAL__N_125multi_tensor_apply_kernelINS1_28TensorListScalarListMetadataIfLi1EEENS1_25BinaryOpScalarListFunctorIN3c108BFloat16ELi1ELi1ELi0EEEJSt7dividesIfEEEEvT_T0_DpT1_
	.p2align	8
	.type	_ZN2at6native12_GLOBAL__N_125multi_tensor_apply_kernelINS1_28TensorListScalarListMetadataIfLi1EEENS1_25BinaryOpScalarListFunctorIN3c108BFloat16ELi1ELi1ELi0EEEJSt7dividesIfEEEEvT_T0_DpT1_,@function
_ZN2at6native12_GLOBAL__N_125multi_tensor_apply_kernelINS1_28TensorListScalarListMetadataIfLi1EEENS1_25BinaryOpScalarListFunctorIN3c108BFloat16ELi1ELi1ELi0EEEJSt7dividesIfEEEEvT_T0_DpT1_: ; @_ZN2at6native12_GLOBAL__N_125multi_tensor_apply_kernelINS1_28TensorListScalarListMetadataIfLi1EEENS1_25BinaryOpScalarListFunctorIN3c108BFloat16ELi1ELi1ELi0EEEJSt7dividesIfEEEEvT_T0_DpT1_
; %bb.0:
	v_mov_b32_e32 v1, s15
	s_add_u32 s2, s0, s15
	s_mul_i32 s3, s15, 3
	s_mul_hi_u32 s4, s15, 3
	s_addc_u32 s5, s1, 0
	global_load_u8 v1, v1, s[0:1] offset:1920
	s_add_u32 s2, s2, s3
	s_addc_u32 s3, s5, s4
	s_load_b32 s2, s[2:3], 0x8c0
	s_waitcnt vmcnt(0)
	v_readfirstlane_b32 s3, v1
	v_lshlrev_b32_e32 v1, 2, v1
	s_delay_alu instid0(VALU_DEP_2)
	s_lshl_b32 s6, s3, 3
	s_waitcnt lgkmcnt(0)
	s_ashr_i32 s3, s2, 31
	s_clause 0x1
	s_load_b64 s[4:5], s[0:1], s6 offset:0x300
	s_load_b64 s[8:9], s[0:1], s6 offset:0x0
	s_add_u32 s6, s0, s6
	s_addc_u32 s7, s1, 0
	v_sub_co_u32 v1, s6, s6, v1
	s_delay_alu instid0(VALU_DEP_1) | instskip(SKIP_1) | instid1(VALU_DEP_2)
	v_sub_co_ci_u32_e64 v2, null, s7, 0, s6
	s_lshl_b64 s[10:11], s[2:3], 17
	v_readfirstlane_b32 s6, v1
	s_lshl_b64 s[2:3], s[2:3], 16
	s_delay_alu instid0(VALU_DEP_2)
	v_readfirstlane_b32 s7, v2
	s_load_b32 s16, s[6:7], 0x600
	s_waitcnt lgkmcnt(0)
	s_and_b32 s12, s8, 7
	s_sub_u32 s6, s4, s2
	s_subb_u32 s7, s5, s3
	s_and_b32 s2, s4, 3
	s_mov_b32 s3, 0
	s_or_b32 s2, s12, s2
	s_delay_alu instid0(SALU_CYCLE_1)
	s_cmp_eq_u64 s[2:3], 0
	s_cbranch_scc1 .LBB59_21
; %bb.1:
	v_cmp_lt_i64_e64 s2, s[6:7], 1
	s_delay_alu instid0(VALU_DEP_1)
	s_and_b32 vcc_lo, exec_lo, s2
	s_cbranch_vccnz .LBB59_20
; %bb.2:
	s_load_b32 s2, s[0:1], 0xdd4
	v_cmp_gt_u64_e64 s3, 0x10000, s[6:7]
	v_lshlrev_b32_e32 v1, 1, v0
	s_waitcnt lgkmcnt(0)
	s_and_b32 s2, s2, 0xffff
	s_delay_alu instid0(VALU_DEP_2)
	s_and_b32 s3, s3, exec_lo
	v_add_co_u32 v5, s5, v0, s2
	s_cselect_b32 s13, s7, 0
	s_cselect_b32 s12, s6, 0x10000
	s_lshl_b32 s3, s2, 1
	s_lshl_b32 s17, s2, 2
	v_lshlrev_b32_e32 v3, 1, v5
	v_add_co_ci_u32_e64 v6, null, 0, 0, s5
	s_add_u32 s5, s8, s10
	v_add_co_u32 v9, s3, s3, v0
	s_mul_i32 s4, s2, 3
	s_addc_u32 s14, s9, s11
	v_add_co_ci_u32_e64 v10, null, 0, 0, s3
	v_add_co_u32 v1, s3, s5, v1
	v_add_co_u32 v7, s4, s4, v0
	v_add_co_ci_u32_e64 v2, null, s14, 0, s3
	v_add_co_u32 v3, s3, s5, v3
	v_add_co_ci_u32_e64 v8, null, 0, 0, s4
	v_add_co_ci_u32_e64 v4, null, s14, 0, s3
	s_lshl_b32 s18, s2, 3
	s_mul_i32 s19, s2, 6
	s_mov_b64 s[14:15], 0
	s_branch .LBB59_4
.LBB59_3:                               ;   in Loop: Header=BB59_4 Depth=1
	s_or_b32 exec_lo, exec_lo, s3
	s_add_u32 s14, s14, s17
	s_addc_u32 s15, s15, 0
	v_add_co_u32 v1, vcc_lo, v1, s18
	v_cmp_lt_i64_e64 s2, s[14:15], s[6:7]
	v_cmp_gt_u64_e64 s3, 0x10000, s[14:15]
	v_add_co_ci_u32_e32 v2, vcc_lo, 0, v2, vcc_lo
	v_add_co_u32 v3, vcc_lo, v3, s18
	v_add_co_ci_u32_e32 v4, vcc_lo, 0, v4, vcc_lo
	s_delay_alu instid0(VALU_DEP_4) | instskip(NEXT) | instid1(SALU_CYCLE_1)
	s_and_b32 s2, s2, s3
	s_and_b32 vcc_lo, exec_lo, s2
	s_cbranch_vccz .LBB59_20
.LBB59_4:                               ; =>This Inner Loop Header: Depth=1
	s_waitcnt vmcnt(0)
	v_add_co_u32 v11, s2, v0, s14
	s_delay_alu instid0(VALU_DEP_1) | instskip(SKIP_1) | instid1(VALU_DEP_2)
	v_add_co_ci_u32_e64 v12, null, 0, s15, s2
	v_mov_b32_e32 v14, 0
	v_cmp_gt_u64_e32 vcc_lo, s[12:13], v[11:12]
	s_and_saveexec_b32 s2, vcc_lo
	s_cbranch_execz .LBB59_6
; %bb.5:                                ;   in Loop: Header=BB59_4 Depth=1
	global_load_u16 v14, v[1:2], off
.LBB59_6:                               ;   in Loop: Header=BB59_4 Depth=1
	s_or_b32 exec_lo, exec_lo, s2
	v_add_co_u32 v11, s2, v5, s14
	s_delay_alu instid0(VALU_DEP_1) | instskip(SKIP_1) | instid1(VALU_DEP_2)
	v_add_co_ci_u32_e64 v12, s2, s15, v6, s2
	v_mov_b32_e32 v13, 0
	v_cmp_gt_u64_e64 s4, s[12:13], v[11:12]
	s_delay_alu instid0(VALU_DEP_1)
	s_and_saveexec_b32 s2, s4
	s_cbranch_execz .LBB59_8
; %bb.7:                                ;   in Loop: Header=BB59_4 Depth=1
	global_load_u16 v13, v[3:4], off
.LBB59_8:                               ;   in Loop: Header=BB59_4 Depth=1
	s_or_b32 exec_lo, exec_lo, s2
	v_add_co_u32 v11, s2, v9, s14
	s_delay_alu instid0(VALU_DEP_1) | instskip(NEXT) | instid1(VALU_DEP_1)
	v_add_co_ci_u32_e64 v12, s2, s15, v10, s2
	v_cmp_gt_u64_e64 s3, s[12:13], v[11:12]
	v_dual_mov_b32 v11, 0 :: v_dual_mov_b32 v12, 0
	s_delay_alu instid0(VALU_DEP_2)
	s_and_saveexec_b32 s5, s3
	s_cbranch_execz .LBB59_10
; %bb.9:                                ;   in Loop: Header=BB59_4 Depth=1
	v_add_co_u32 v15, s2, v1, s17
	s_delay_alu instid0(VALU_DEP_1)
	v_add_co_ci_u32_e64 v16, s2, 0, v2, s2
	global_load_u16 v12, v[15:16], off
.LBB59_10:                              ;   in Loop: Header=BB59_4 Depth=1
	s_or_b32 exec_lo, exec_lo, s5
	v_add_co_u32 v15, s2, v7, s14
	s_delay_alu instid0(VALU_DEP_1) | instskip(NEXT) | instid1(VALU_DEP_1)
	v_add_co_ci_u32_e64 v16, s2, s15, v8, s2
	v_cmp_gt_u64_e64 s2, s[12:13], v[15:16]
	s_delay_alu instid0(VALU_DEP_1)
	s_and_saveexec_b32 s20, s2
	s_cbranch_execnz .LBB59_15
; %bb.11:                               ;   in Loop: Header=BB59_4 Depth=1
	s_or_b32 exec_lo, exec_lo, s20
	s_and_saveexec_b32 s5, vcc_lo
	s_cbranch_execnz .LBB59_16
.LBB59_12:                              ;   in Loop: Header=BB59_4 Depth=1
	s_or_b32 exec_lo, exec_lo, s5
	s_and_saveexec_b32 s5, s4
	s_cbranch_execnz .LBB59_17
.LBB59_13:                              ;   in Loop: Header=BB59_4 Depth=1
	s_or_b32 exec_lo, exec_lo, s5
	s_and_saveexec_b32 s4, s3
	s_cbranch_execnz .LBB59_18
.LBB59_14:                              ;   in Loop: Header=BB59_4 Depth=1
	s_or_b32 exec_lo, exec_lo, s4
	s_and_saveexec_b32 s3, s2
	s_cbranch_execz .LBB59_3
	s_branch .LBB59_19
.LBB59_15:                              ;   in Loop: Header=BB59_4 Depth=1
	v_add_co_u32 v15, s5, v1, s19
	s_delay_alu instid0(VALU_DEP_1)
	v_add_co_ci_u32_e64 v16, s5, 0, v2, s5
	global_load_u16 v11, v[15:16], off
	s_or_b32 exec_lo, exec_lo, s20
	s_and_saveexec_b32 s5, vcc_lo
	s_cbranch_execz .LBB59_12
.LBB59_16:                              ;   in Loop: Header=BB59_4 Depth=1
	s_waitcnt vmcnt(0)
	v_lshlrev_b32_e32 v14, 16, v14
	s_delay_alu instid0(VALU_DEP_1) | instskip(NEXT) | instid1(VALU_DEP_1)
	v_div_scale_f32 v15, null, s16, s16, v14
	v_rcp_f32_e32 v16, v15
	s_waitcnt_depctr 0xfff
	v_fma_f32 v17, -v15, v16, 1.0
	s_delay_alu instid0(VALU_DEP_1) | instskip(SKIP_1) | instid1(VALU_DEP_1)
	v_fmac_f32_e32 v16, v17, v16
	v_div_scale_f32 v17, vcc_lo, v14, s16, v14
	v_mul_f32_e32 v18, v17, v16
	s_delay_alu instid0(VALU_DEP_1) | instskip(NEXT) | instid1(VALU_DEP_1)
	v_fma_f32 v19, -v15, v18, v17
	v_fmac_f32_e32 v18, v19, v16
	s_delay_alu instid0(VALU_DEP_1) | instskip(NEXT) | instid1(VALU_DEP_1)
	v_fma_f32 v15, -v15, v18, v17
	v_div_fmas_f32 v15, v15, v16, v18
	s_delay_alu instid0(VALU_DEP_1) | instskip(NEXT) | instid1(VALU_DEP_1)
	v_div_fixup_f32 v14, v15, s16, v14
	v_bfe_u32 v15, v14, 16, 1
	v_cmp_o_f32_e32 vcc_lo, v14, v14
	s_delay_alu instid0(VALU_DEP_2) | instskip(NEXT) | instid1(VALU_DEP_1)
	v_add3_u32 v15, v14, v15, 0x7fff
	v_lshrrev_b32_e32 v15, 16, v15
	s_delay_alu instid0(VALU_DEP_1)
	v_cndmask_b32_e32 v14, 0x7fc0, v15, vcc_lo
	global_store_b16 v[1:2], v14, off
	s_or_b32 exec_lo, exec_lo, s5
	s_and_saveexec_b32 s5, s4
	s_cbranch_execz .LBB59_13
.LBB59_17:                              ;   in Loop: Header=BB59_4 Depth=1
	s_waitcnt vmcnt(0)
	v_lshlrev_b32_e32 v13, 16, v13
	s_delay_alu instid0(VALU_DEP_1) | instskip(NEXT) | instid1(VALU_DEP_1)
	v_div_scale_f32 v14, null, s16, s16, v13
	v_rcp_f32_e32 v15, v14
	s_waitcnt_depctr 0xfff
	v_fma_f32 v16, -v14, v15, 1.0
	s_delay_alu instid0(VALU_DEP_1) | instskip(SKIP_1) | instid1(VALU_DEP_1)
	v_fmac_f32_e32 v15, v16, v15
	v_div_scale_f32 v16, vcc_lo, v13, s16, v13
	v_mul_f32_e32 v17, v16, v15
	s_delay_alu instid0(VALU_DEP_1) | instskip(NEXT) | instid1(VALU_DEP_1)
	v_fma_f32 v18, -v14, v17, v16
	v_fmac_f32_e32 v17, v18, v15
	s_delay_alu instid0(VALU_DEP_1) | instskip(NEXT) | instid1(VALU_DEP_1)
	v_fma_f32 v14, -v14, v17, v16
	v_div_fmas_f32 v14, v14, v15, v17
	s_delay_alu instid0(VALU_DEP_1) | instskip(NEXT) | instid1(VALU_DEP_1)
	v_div_fixup_f32 v13, v14, s16, v13
	v_bfe_u32 v14, v13, 16, 1
	v_cmp_o_f32_e32 vcc_lo, v13, v13
	s_delay_alu instid0(VALU_DEP_2) | instskip(NEXT) | instid1(VALU_DEP_1)
	v_add3_u32 v14, v13, v14, 0x7fff
	v_lshrrev_b32_e32 v14, 16, v14
	s_delay_alu instid0(VALU_DEP_1)
	v_cndmask_b32_e32 v13, 0x7fc0, v14, vcc_lo
	global_store_b16 v[3:4], v13, off
	s_or_b32 exec_lo, exec_lo, s5
	s_and_saveexec_b32 s4, s3
	s_cbranch_execz .LBB59_14
.LBB59_18:                              ;   in Loop: Header=BB59_4 Depth=1
	s_waitcnt vmcnt(0)
	v_lshlrev_b32_e32 v12, 16, v12
	s_delay_alu instid0(VALU_DEP_1) | instskip(SKIP_1) | instid1(VALU_DEP_2)
	v_div_scale_f32 v13, null, s16, s16, v12
	v_div_scale_f32 v16, vcc_lo, v12, s16, v12
	v_rcp_f32_e32 v14, v13
	s_waitcnt_depctr 0xfff
	v_fma_f32 v15, -v13, v14, 1.0
	s_delay_alu instid0(VALU_DEP_1) | instskip(NEXT) | instid1(VALU_DEP_1)
	v_fmac_f32_e32 v14, v15, v14
	v_mul_f32_e32 v15, v16, v14
	s_delay_alu instid0(VALU_DEP_1) | instskip(NEXT) | instid1(VALU_DEP_1)
	v_fma_f32 v17, -v13, v15, v16
	v_fmac_f32_e32 v15, v17, v14
	s_delay_alu instid0(VALU_DEP_1) | instskip(NEXT) | instid1(VALU_DEP_1)
	v_fma_f32 v13, -v13, v15, v16
	v_div_fmas_f32 v13, v13, v14, v15
	s_delay_alu instid0(VALU_DEP_1) | instskip(NEXT) | instid1(VALU_DEP_1)
	v_div_fixup_f32 v12, v13, s16, v12
	v_bfe_u32 v13, v12, 16, 1
	v_cmp_o_f32_e32 vcc_lo, v12, v12
	s_delay_alu instid0(VALU_DEP_2) | instskip(NEXT) | instid1(VALU_DEP_1)
	v_add3_u32 v13, v12, v13, 0x7fff
	v_lshrrev_b32_e32 v13, 16, v13
	s_delay_alu instid0(VALU_DEP_1)
	v_cndmask_b32_e32 v14, 0x7fc0, v13, vcc_lo
	v_add_co_u32 v12, vcc_lo, v1, s17
	v_add_co_ci_u32_e32 v13, vcc_lo, 0, v2, vcc_lo
	global_store_b16 v[12:13], v14, off
	s_or_b32 exec_lo, exec_lo, s4
	s_and_saveexec_b32 s3, s2
	s_cbranch_execz .LBB59_3
.LBB59_19:                              ;   in Loop: Header=BB59_4 Depth=1
	s_waitcnt vmcnt(0)
	v_lshlrev_b32_e32 v11, 16, v11
	s_delay_alu instid0(VALU_DEP_1) | instskip(SKIP_1) | instid1(VALU_DEP_2)
	v_div_scale_f32 v12, null, s16, s16, v11
	v_div_scale_f32 v15, vcc_lo, v11, s16, v11
	v_rcp_f32_e32 v13, v12
	s_waitcnt_depctr 0xfff
	v_fma_f32 v14, -v12, v13, 1.0
	s_delay_alu instid0(VALU_DEP_1) | instskip(NEXT) | instid1(VALU_DEP_1)
	v_fmac_f32_e32 v13, v14, v13
	v_mul_f32_e32 v14, v15, v13
	s_delay_alu instid0(VALU_DEP_1) | instskip(NEXT) | instid1(VALU_DEP_1)
	v_fma_f32 v16, -v12, v14, v15
	v_fmac_f32_e32 v14, v16, v13
	s_delay_alu instid0(VALU_DEP_1) | instskip(NEXT) | instid1(VALU_DEP_1)
	v_fma_f32 v12, -v12, v14, v15
	v_div_fmas_f32 v12, v12, v13, v14
	s_delay_alu instid0(VALU_DEP_1) | instskip(NEXT) | instid1(VALU_DEP_1)
	v_div_fixup_f32 v11, v12, s16, v11
	v_bfe_u32 v12, v11, 16, 1
	v_cmp_o_f32_e32 vcc_lo, v11, v11
	s_delay_alu instid0(VALU_DEP_2) | instskip(NEXT) | instid1(VALU_DEP_1)
	v_add3_u32 v12, v11, v12, 0x7fff
	v_lshrrev_b32_e32 v12, 16, v12
	s_delay_alu instid0(VALU_DEP_1)
	v_cndmask_b32_e32 v13, 0x7fc0, v12, vcc_lo
	v_add_co_u32 v11, vcc_lo, v1, s19
	v_add_co_ci_u32_e32 v12, vcc_lo, 0, v2, vcc_lo
	global_store_b16 v[11:12], v13, off
	s_branch .LBB59_3
.LBB59_20:
	s_cbranch_execz .LBB59_22
	s_branch .LBB59_25
.LBB59_21:
.LBB59_22:
	v_dual_mov_b32 v2, 0 :: v_dual_lshlrev_b32 v1, 2, v0
	s_mov_b32 s3, 0
	s_mov_b32 s2, exec_lo
	s_delay_alu instid0(VALU_DEP_1)
	v_cmpx_gt_i64_e64 s[6:7], v[1:2]
	s_cbranch_execz .LBB59_25
; %bb.23:
	s_load_b32 s0, s[0:1], 0xdd4
	v_lshlrev_b32_e32 v1, 3, v0
	s_waitcnt lgkmcnt(0)
	s_and_b32 s0, s0, 0xffff
	s_add_u32 s1, s8, s10
	s_addc_u32 s2, s9, s11
	v_add_co_u32 v3, s1, s1, v1
	s_delay_alu instid0(VALU_DEP_1)
	v_add_co_ci_u32_e64 v4, null, s2, 0, s1
	v_add_lshl_u32 v1, v0, s0, 2
	s_lshl_b32 s4, s0, 3
	s_lshl_b32 s5, s0, 2
.LBB59_24:                              ; =>This Inner Loop Header: Depth=1
	global_load_b64 v[5:6], v[3:4], off
	s_waitcnt vmcnt(0)
	v_lshlrev_b32_e32 v0, 16, v5
	v_and_b32_e32 v7, 0xffff0000, v5
	v_alignbit_b32 v5, v6, v5, 16
	s_delay_alu instid0(VALU_DEP_3) | instskip(NEXT) | instid1(VALU_DEP_2)
	v_div_scale_f32 v8, null, s16, s16, v0
	v_and_b32_e32 v5, 0xffff0000, v5
	s_delay_alu instid0(VALU_DEP_4) | instskip(NEXT) | instid1(VALU_DEP_3)
	v_div_scale_f32 v9, null, s16, s16, v7
	v_rcp_f32_e32 v11, v8
	s_delay_alu instid0(VALU_DEP_2) | instskip(NEXT) | instid1(VALU_DEP_2)
	v_div_scale_f32 v13, null, s16, s16, v5
	v_rcp_f32_e32 v12, v9
	s_delay_alu instid0(VALU_DEP_1) | instskip(NEXT) | instid1(TRANS32_DEP_3)
	v_rcp_f32_e32 v16, v13
	v_fma_f32 v18, -v8, v11, 1.0
	s_waitcnt_depctr 0xfff
	v_fma_f32 v19, -v9, v12, 1.0
	v_fmac_f32_e32 v11, v18, v11
	v_div_scale_f32 v15, vcc_lo, v0, s16, v0
	v_fma_f32 v18, -v13, v16, 1.0
	s_delay_alu instid0(VALU_DEP_4) | instskip(SKIP_2) | instid1(VALU_DEP_4)
	v_fmac_f32_e32 v12, v19, v12
	v_div_scale_f32 v19, s2, v5, s16, v5
	v_div_scale_f32 v17, s0, v7, s16, v7
	v_fmac_f32_e32 v16, v18, v16
	v_and_b32_e32 v6, 0xffff0000, v6
	s_delay_alu instid0(VALU_DEP_3) | instskip(NEXT) | instid1(VALU_DEP_3)
	v_mul_f32_e32 v22, v17, v12
	v_mul_f32_e32 v25, v19, v16
	s_delay_alu instid0(VALU_DEP_3) | instskip(NEXT) | instid1(VALU_DEP_3)
	v_div_scale_f32 v10, null, s16, s16, v6
	v_fma_f32 v24, -v9, v22, v17
	v_div_scale_f32 v21, s1, v6, s16, v6
	s_delay_alu instid0(VALU_DEP_3) | instskip(NEXT) | instid1(VALU_DEP_2)
	v_rcp_f32_e32 v14, v10
	v_fmac_f32_e32 v22, v24, v12
	s_delay_alu instid0(VALU_DEP_1) | instskip(SKIP_2) | instid1(VALU_DEP_1)
	v_fma_f32 v9, -v9, v22, v17
	s_waitcnt_depctr 0xfff
	v_fma_f32 v20, -v10, v14, 1.0
	v_fmac_f32_e32 v14, v20, v14
	v_mul_f32_e32 v20, v15, v11
	s_delay_alu instid0(VALU_DEP_1) | instskip(NEXT) | instid1(VALU_DEP_1)
	v_fma_f32 v23, -v8, v20, v15
	v_fmac_f32_e32 v20, v23, v11
	v_fma_f32 v23, -v13, v25, v19
	v_mul_f32_e32 v18, v21, v14
	s_delay_alu instid0(VALU_DEP_3) | instskip(NEXT) | instid1(VALU_DEP_3)
	v_fma_f32 v8, -v8, v20, v15
	v_fmac_f32_e32 v25, v23, v16
	s_delay_alu instid0(VALU_DEP_3) | instskip(NEXT) | instid1(VALU_DEP_3)
	v_fma_f32 v26, -v10, v18, v21
	v_div_fmas_f32 v8, v8, v11, v20
	s_delay_alu instid0(VALU_DEP_3) | instskip(SKIP_1) | instid1(VALU_DEP_3)
	v_fma_f32 v11, -v13, v25, v19
	s_mov_b32 vcc_lo, s0
	v_fmac_f32_e32 v18, v26, v14
	v_div_fmas_f32 v9, v9, v12, v22
	s_mov_b32 vcc_lo, s2
	v_div_fixup_f32 v0, v8, s16, v0
	v_div_fmas_f32 v8, v11, v16, v25
	v_fma_f32 v10, -v10, v18, v21
	v_div_fixup_f32 v7, v9, s16, v7
	s_mov_b32 vcc_lo, s1
	v_cmp_lt_u64_e64 s0, 0xffff, v[1:2]
	v_div_fixup_f32 v5, v8, s16, v5
	v_bfe_u32 v8, v0, 16, 1
	v_div_fmas_f32 v10, v10, v14, v18
	v_bfe_u32 v9, v7, 16, 1
	v_cmp_o_f32_e32 vcc_lo, v0, v0
	s_delay_alu instid0(VALU_DEP_4) | instskip(NEXT) | instid1(VALU_DEP_4)
	v_add3_u32 v8, v0, v8, 0x7fff
	v_div_fixup_f32 v6, v10, s16, v6
	v_bfe_u32 v10, v5, 16, 1
	v_add3_u32 v9, v7, v9, 0x7fff
	s_delay_alu instid0(VALU_DEP_4) | instskip(NEXT) | instid1(VALU_DEP_4)
	v_lshrrev_b32_e32 v8, 16, v8
	v_bfe_u32 v11, v6, 16, 1
	s_delay_alu instid0(VALU_DEP_4) | instskip(NEXT) | instid1(VALU_DEP_4)
	v_add3_u32 v10, v5, v10, 0x7fff
	v_and_b32_e32 v9, 0xffff0000, v9
	s_delay_alu instid0(VALU_DEP_4)
	v_cndmask_b32_e32 v0, 0x7fc0, v8, vcc_lo
	v_cmp_o_f32_e32 vcc_lo, v7, v7
	v_add3_u32 v11, v6, v11, 0x7fff
	v_lshrrev_b32_e32 v10, 16, v10
	v_cndmask_b32_e32 v7, 0x7fc00000, v9, vcc_lo
	v_cmp_o_f32_e32 vcc_lo, v5, v5
	s_delay_alu instid0(VALU_DEP_4) | instskip(NEXT) | instid1(VALU_DEP_3)
	v_and_b32_e32 v8, 0xffff0000, v11
	v_or_b32_e32 v0, v0, v7
	v_cndmask_b32_e32 v5, 0x7fc0, v10, vcc_lo
	v_cmp_o_f32_e32 vcc_lo, v6, v6
	s_delay_alu instid0(VALU_DEP_4) | instskip(SKIP_2) | instid1(VALU_DEP_1)
	v_cndmask_b32_e32 v6, 0x7fc00000, v8, vcc_lo
	v_cmp_le_i64_e32 vcc_lo, s[6:7], v[1:2]
	v_add_co_u32 v1, s1, v1, s5
	v_add_co_ci_u32_e64 v2, s1, 0, v2, s1
	s_delay_alu instid0(VALU_DEP_4) | instskip(SKIP_2) | instid1(SALU_CYCLE_1)
	v_or3_b32 v6, 0, v5, v6
	v_or3_b32 v5, v0, 0, 0
	s_or_b32 s0, vcc_lo, s0
	s_and_b32 s0, exec_lo, s0
	global_store_b64 v[3:4], v[5:6], off
	v_add_co_u32 v3, vcc_lo, v3, s4
	v_add_co_ci_u32_e32 v4, vcc_lo, 0, v4, vcc_lo
	s_or_b32 s3, s0, s3
	s_delay_alu instid0(SALU_CYCLE_1)
	s_and_not1_b32 exec_lo, exec_lo, s3
	s_cbranch_execnz .LBB59_24
.LBB59_25:
	s_nop 0
	s_sendmsg sendmsg(MSG_DEALLOC_VGPRS)
	s_endpgm
	.section	.rodata,"a",@progbits
	.p2align	6, 0x0
	.amdhsa_kernel _ZN2at6native12_GLOBAL__N_125multi_tensor_apply_kernelINS1_28TensorListScalarListMetadataIfLi1EEENS1_25BinaryOpScalarListFunctorIN3c108BFloat16ELi1ELi1ELi0EEEJSt7dividesIfEEEEvT_T0_DpT1_
		.amdhsa_group_segment_fixed_size 0
		.amdhsa_private_segment_fixed_size 0
		.amdhsa_kernarg_size 3784
		.amdhsa_user_sgpr_count 15
		.amdhsa_user_sgpr_dispatch_ptr 0
		.amdhsa_user_sgpr_queue_ptr 0
		.amdhsa_user_sgpr_kernarg_segment_ptr 1
		.amdhsa_user_sgpr_dispatch_id 0
		.amdhsa_user_sgpr_private_segment_size 0
		.amdhsa_wavefront_size32 1
		.amdhsa_uses_dynamic_stack 0
		.amdhsa_enable_private_segment 0
		.amdhsa_system_sgpr_workgroup_id_x 1
		.amdhsa_system_sgpr_workgroup_id_y 0
		.amdhsa_system_sgpr_workgroup_id_z 0
		.amdhsa_system_sgpr_workgroup_info 0
		.amdhsa_system_vgpr_workitem_id 0
		.amdhsa_next_free_vgpr 27
		.amdhsa_next_free_sgpr 21
		.amdhsa_reserve_vcc 1
		.amdhsa_float_round_mode_32 0
		.amdhsa_float_round_mode_16_64 0
		.amdhsa_float_denorm_mode_32 3
		.amdhsa_float_denorm_mode_16_64 3
		.amdhsa_dx10_clamp 1
		.amdhsa_ieee_mode 1
		.amdhsa_fp16_overflow 0
		.amdhsa_workgroup_processor_mode 1
		.amdhsa_memory_ordered 1
		.amdhsa_forward_progress 0
		.amdhsa_shared_vgpr_count 0
		.amdhsa_exception_fp_ieee_invalid_op 0
		.amdhsa_exception_fp_denorm_src 0
		.amdhsa_exception_fp_ieee_div_zero 0
		.amdhsa_exception_fp_ieee_overflow 0
		.amdhsa_exception_fp_ieee_underflow 0
		.amdhsa_exception_fp_ieee_inexact 0
		.amdhsa_exception_int_div_zero 0
	.end_amdhsa_kernel
	.section	.text._ZN2at6native12_GLOBAL__N_125multi_tensor_apply_kernelINS1_28TensorListScalarListMetadataIfLi1EEENS1_25BinaryOpScalarListFunctorIN3c108BFloat16ELi1ELi1ELi0EEEJSt7dividesIfEEEEvT_T0_DpT1_,"axG",@progbits,_ZN2at6native12_GLOBAL__N_125multi_tensor_apply_kernelINS1_28TensorListScalarListMetadataIfLi1EEENS1_25BinaryOpScalarListFunctorIN3c108BFloat16ELi1ELi1ELi0EEEJSt7dividesIfEEEEvT_T0_DpT1_,comdat
.Lfunc_end59:
	.size	_ZN2at6native12_GLOBAL__N_125multi_tensor_apply_kernelINS1_28TensorListScalarListMetadataIfLi1EEENS1_25BinaryOpScalarListFunctorIN3c108BFloat16ELi1ELi1ELi0EEEJSt7dividesIfEEEEvT_T0_DpT1_, .Lfunc_end59-_ZN2at6native12_GLOBAL__N_125multi_tensor_apply_kernelINS1_28TensorListScalarListMetadataIfLi1EEENS1_25BinaryOpScalarListFunctorIN3c108BFloat16ELi1ELi1ELi0EEEJSt7dividesIfEEEEvT_T0_DpT1_
                                        ; -- End function
	.section	.AMDGPU.csdata,"",@progbits
; Kernel info:
; codeLenInByte = 2268
; NumSgprs: 23
; NumVgprs: 27
; ScratchSize: 0
; MemoryBound: 0
; FloatMode: 240
; IeeeMode: 1
; LDSByteSize: 0 bytes/workgroup (compile time only)
; SGPRBlocks: 2
; VGPRBlocks: 3
; NumSGPRsForWavesPerEU: 23
; NumVGPRsForWavesPerEU: 27
; Occupancy: 16
; WaveLimiterHint : 0
; COMPUTE_PGM_RSRC2:SCRATCH_EN: 0
; COMPUTE_PGM_RSRC2:USER_SGPR: 15
; COMPUTE_PGM_RSRC2:TRAP_HANDLER: 0
; COMPUTE_PGM_RSRC2:TGID_X_EN: 1
; COMPUTE_PGM_RSRC2:TGID_Y_EN: 0
; COMPUTE_PGM_RSRC2:TGID_Z_EN: 0
; COMPUTE_PGM_RSRC2:TIDIG_COMP_CNT: 0
	.section	.text._ZN2at6native12_GLOBAL__N_125multi_tensor_apply_kernelINS1_28TensorListScalarListMetadataIhLi2EEENS1_25BinaryOpScalarListFunctorIhLi2ELi1ELi1EEEJSt7dividesIhEEEEvT_T0_DpT1_,"axG",@progbits,_ZN2at6native12_GLOBAL__N_125multi_tensor_apply_kernelINS1_28TensorListScalarListMetadataIhLi2EEENS1_25BinaryOpScalarListFunctorIhLi2ELi1ELi1EEEJSt7dividesIhEEEEvT_T0_DpT1_,comdat
	.globl	_ZN2at6native12_GLOBAL__N_125multi_tensor_apply_kernelINS1_28TensorListScalarListMetadataIhLi2EEENS1_25BinaryOpScalarListFunctorIhLi2ELi1ELi1EEEJSt7dividesIhEEEEvT_T0_DpT1_ ; -- Begin function _ZN2at6native12_GLOBAL__N_125multi_tensor_apply_kernelINS1_28TensorListScalarListMetadataIhLi2EEENS1_25BinaryOpScalarListFunctorIhLi2ELi1ELi1EEEJSt7dividesIhEEEEvT_T0_DpT1_
	.p2align	8
	.type	_ZN2at6native12_GLOBAL__N_125multi_tensor_apply_kernelINS1_28TensorListScalarListMetadataIhLi2EEENS1_25BinaryOpScalarListFunctorIhLi2ELi1ELi1EEEJSt7dividesIhEEEEvT_T0_DpT1_,@function
_ZN2at6native12_GLOBAL__N_125multi_tensor_apply_kernelINS1_28TensorListScalarListMetadataIhLi2EEENS1_25BinaryOpScalarListFunctorIhLi2ELi1ELi1EEEJSt7dividesIhEEEEvT_T0_DpT1_: ; @_ZN2at6native12_GLOBAL__N_125multi_tensor_apply_kernelINS1_28TensorListScalarListMetadataIhLi2EEENS1_25BinaryOpScalarListFunctorIhLi2ELi1ELi1EEEJSt7dividesIhEEEEvT_T0_DpT1_
; %bb.0:
	v_mov_b32_e32 v1, s15
	s_mul_i32 s4, s15, 3
	s_mul_hi_u32 s5, s15, 3
	global_load_u8 v3, v1, s[0:1] offset:1600
	s_waitcnt vmcnt(0)
	v_add_co_u32 v1, s2, s0, v3
	s_delay_alu instid0(VALU_DEP_1)
	v_add_co_ci_u32_e64 v2, null, s1, 0, s2
	s_add_u32 s2, s0, s15
	s_addc_u32 s3, s1, 0
	s_add_u32 s2, s2, s4
	global_load_u8 v2, v[1:2], off offset:1536
	s_addc_u32 s3, s3, s5
	v_readfirstlane_b32 s4, v3
	s_load_b32 s6, s[2:3], 0x780
	s_delay_alu instid0(VALU_DEP_1)
	s_lshl_b32 s7, s4, 3
	s_clause 0x2
	s_load_b64 s[4:5], s[0:1], s7 offset:0x0
	s_load_b64 s[2:3], s[0:1], s7 offset:0x200
	;; [unrolled: 1-line block ×3, first 2 shown]
	s_waitcnt lgkmcnt(0)
	s_ashr_i32 s7, s6, 31
	s_delay_alu instid0(SALU_CYCLE_1) | instskip(NEXT) | instid1(SALU_CYCLE_1)
	s_lshl_b64 s[12:13], s[6:7], 16
	s_add_u32 s6, s4, s12
	s_addc_u32 s7, s5, s13
	s_add_u32 s14, s2, s12
	s_addc_u32 s15, s3, s13
	s_or_b64 s[10:11], s[8:9], s[6:7]
	s_delay_alu instid0(SALU_CYCLE_1) | instskip(NEXT) | instid1(SALU_CYCLE_1)
	s_or_b32 s10, s14, s10
	s_and_b32 s10, s10, 3
	s_sub_u32 s8, s8, s12
	s_subb_u32 s9, s9, s13
	s_cmp_eq_u32 s10, 0
	s_mov_b32 s10, -1
	s_cbranch_scc1 .LBB60_21
; %bb.1:
	v_cmp_lt_i64_e64 s10, s[8:9], 1
	s_delay_alu instid0(VALU_DEP_1)
	s_and_b32 vcc_lo, exec_lo, s10
	s_cbranch_vccnz .LBB60_20
; %bb.2:
	s_load_b32 s10, s[0:1], 0xc94
	v_cmp_gt_u64_e64 s11, 0x10000, s[8:9]
	v_add_co_u32 v18, s16, s12, v0
	s_delay_alu instid0(VALU_DEP_1) | instskip(SKIP_2) | instid1(VALU_DEP_3)
	v_add_co_ci_u32_e64 v19, null, s13, 0, s16
	s_waitcnt vmcnt(0)
	v_cvt_f32_ubyte0_e32 v1, v2
	v_add_co_u32 v4, vcc_lo, s4, v18
	s_delay_alu instid0(VALU_DEP_3)
	v_add_co_ci_u32_e32 v5, vcc_lo, s5, v19, vcc_lo
	v_add_co_u32 v6, vcc_lo, s2, v18
	v_add_co_ci_u32_e32 v7, vcc_lo, s3, v19, vcc_lo
	v_rcp_iflag_f32_e32 v3, v1
	s_waitcnt lgkmcnt(0)
	s_and_b32 s17, s10, 0xffff
	s_and_b32 s10, s11, exec_lo
	s_mul_i32 s19, s17, 3
	s_cselect_b32 s11, s9, 0
	s_cselect_b32 s10, s8, 0x10000
	s_lshl_b32 s18, s17, 1
	s_lshl_b32 s16, s17, 2
	s_add_u32 s20, s12, s19
	s_addc_u32 s21, s13, 0
	v_add_co_u32 v10, s20, s20, v0
	s_delay_alu instid0(VALU_DEP_1) | instskip(SKIP_1) | instid1(VALU_DEP_2)
	v_add_co_ci_u32_e64 v11, null, s21, 0, s20
	s_add_u32 s12, s12, s18
	v_add_co_u32 v8, vcc_lo, s4, v10
	s_addc_u32 s13, s13, 0
	v_add_co_u32 v16, s12, s12, v0
	v_add_co_ci_u32_e32 v9, vcc_lo, s5, v11, vcc_lo
	v_add_co_u32 v10, vcc_lo, s2, v10
	v_add_co_ci_u32_e64 v17, null, s13, 0, s12
	v_add_co_ci_u32_e32 v11, vcc_lo, s3, v11, vcc_lo
	v_add_co_u32 v14, vcc_lo, s4, v16
	s_delay_alu instid0(VALU_DEP_3)
	v_add_co_ci_u32_e32 v15, vcc_lo, s5, v17, vcc_lo
	v_add_co_u32 v16, vcc_lo, s2, v16
	v_add_co_ci_u32_e32 v17, vcc_lo, s3, v17, vcc_lo
	v_add_co_u32 v22, vcc_lo, v18, s17
	v_add_co_ci_u32_e32 v23, vcc_lo, 0, v19, vcc_lo
	v_add_co_u32 v12, s12, s19, v0
	s_delay_alu instid0(VALU_DEP_3) | instskip(NEXT) | instid1(VALU_DEP_3)
	v_add_co_u32 v20, vcc_lo, s4, v22
	v_add_co_ci_u32_e32 v21, vcc_lo, s5, v23, vcc_lo
	v_add_co_ci_u32_e64 v13, null, 0, 0, s12
	v_add_co_u32 v18, s12, s18, v0
	v_add_co_u32 v22, vcc_lo, s2, v22
	v_add_co_u32 v24, s2, v0, s17
	v_add_co_ci_u32_e64 v19, null, 0, 0, s12
	v_add_co_ci_u32_e32 v23, vcc_lo, s3, v23, vcc_lo
	v_add_co_ci_u32_e64 v25, null, 0, 0, s2
	s_mov_b64 s[12:13], 0
	s_branch .LBB60_4
.LBB60_3:                               ;   in Loop: Header=BB60_4 Depth=1
	s_or_b32 exec_lo, exec_lo, s2
	s_add_u32 s12, s12, s16
	s_addc_u32 s13, s13, 0
	s_delay_alu instid0(SALU_CYCLE_1) | instskip(SKIP_1) | instid1(VALU_DEP_1)
	v_cmp_lt_i64_e64 s2, s[12:13], s[8:9]
	v_cmp_gt_u64_e64 s3, 0x10000, s[12:13]
	s_and_b32 s2, s2, s3
	s_delay_alu instid0(SALU_CYCLE_1)
	s_and_b32 vcc_lo, exec_lo, s2
	s_cbranch_vccz .LBB60_20
.LBB60_4:                               ; =>This Inner Loop Header: Depth=1
	s_waitcnt vmcnt(0)
	v_add_co_u32 v26, s2, v0, s12
	s_delay_alu instid0(VALU_DEP_1) | instskip(NEXT) | instid1(VALU_DEP_1)
	v_add_co_ci_u32_e64 v27, null, 0, s13, s2
	v_cmp_gt_u64_e64 s2, s[10:11], v[26:27]
	v_mov_b32_e32 v27, 0
	s_delay_alu instid0(VALU_DEP_2)
	s_and_saveexec_b32 s3, s2
	s_cbranch_execz .LBB60_6
; %bb.5:                                ;   in Loop: Header=BB60_4 Depth=1
	v_add_co_u32 v26, vcc_lo, v4, s12
	v_add_co_ci_u32_e32 v27, vcc_lo, s13, v5, vcc_lo
	global_load_u8 v27, v[26:27], off
.LBB60_6:                               ;   in Loop: Header=BB60_4 Depth=1
	s_or_b32 exec_lo, exec_lo, s3
	v_add_co_u32 v28, vcc_lo, v24, s12
	v_add_co_ci_u32_e32 v29, vcc_lo, s13, v25, vcc_lo
	s_delay_alu instid0(VALU_DEP_1)
	v_cmp_gt_u64_e32 vcc_lo, s[10:11], v[28:29]
	v_mov_b32_e32 v28, 0
	s_and_saveexec_b32 s4, vcc_lo
	s_cbranch_execz .LBB60_8
; %bb.7:                                ;   in Loop: Header=BB60_4 Depth=1
	v_add_co_u32 v28, s3, v20, s12
	s_delay_alu instid0(VALU_DEP_1)
	v_add_co_ci_u32_e64 v29, s3, s13, v21, s3
	global_load_u8 v28, v[28:29], off
.LBB60_8:                               ;   in Loop: Header=BB60_4 Depth=1
	s_or_b32 exec_lo, exec_lo, s4
	v_add_co_u32 v29, s3, v18, s12
	s_delay_alu instid0(VALU_DEP_1) | instskip(SKIP_1) | instid1(VALU_DEP_2)
	v_add_co_ci_u32_e64 v30, s3, s13, v19, s3
	v_mov_b32_e32 v26, 0
	v_cmp_gt_u64_e64 s3, s[10:11], v[29:30]
	v_mov_b32_e32 v29, 0
	s_delay_alu instid0(VALU_DEP_2)
	s_and_saveexec_b32 s5, s3
	s_cbranch_execz .LBB60_10
; %bb.9:                                ;   in Loop: Header=BB60_4 Depth=1
	v_add_co_u32 v29, s4, v14, s12
	s_delay_alu instid0(VALU_DEP_1)
	v_add_co_ci_u32_e64 v30, s4, s13, v15, s4
	global_load_u8 v29, v[29:30], off
.LBB60_10:                              ;   in Loop: Header=BB60_4 Depth=1
	s_or_b32 exec_lo, exec_lo, s5
	v_add_co_u32 v30, s4, v12, s12
	s_delay_alu instid0(VALU_DEP_1) | instskip(NEXT) | instid1(VALU_DEP_1)
	v_add_co_ci_u32_e64 v31, s4, s13, v13, s4
	v_cmp_gt_u64_e64 s4, s[10:11], v[30:31]
	s_delay_alu instid0(VALU_DEP_1)
	s_and_saveexec_b32 s17, s4
	s_cbranch_execnz .LBB60_15
; %bb.11:                               ;   in Loop: Header=BB60_4 Depth=1
	s_or_b32 exec_lo, exec_lo, s17
	s_and_saveexec_b32 s5, s2
	s_cbranch_execnz .LBB60_16
.LBB60_12:                              ;   in Loop: Header=BB60_4 Depth=1
	s_or_b32 exec_lo, exec_lo, s5
	s_and_saveexec_b32 s2, vcc_lo
	s_cbranch_execnz .LBB60_17
.LBB60_13:                              ;   in Loop: Header=BB60_4 Depth=1
	s_or_b32 exec_lo, exec_lo, s2
	s_and_saveexec_b32 s2, s3
	s_cbranch_execnz .LBB60_18
.LBB60_14:                              ;   in Loop: Header=BB60_4 Depth=1
	s_or_b32 exec_lo, exec_lo, s2
	s_and_saveexec_b32 s2, s4
	s_cbranch_execz .LBB60_3
	s_branch .LBB60_19
.LBB60_15:                              ;   in Loop: Header=BB60_4 Depth=1
	v_add_co_u32 v30, s5, v8, s12
	s_delay_alu instid0(VALU_DEP_1)
	v_add_co_ci_u32_e64 v31, s5, s13, v9, s5
	global_load_u8 v26, v[30:31], off
	s_or_b32 exec_lo, exec_lo, s17
	s_and_saveexec_b32 s5, s2
	s_cbranch_execz .LBB60_12
.LBB60_16:                              ;   in Loop: Header=BB60_4 Depth=1
	s_waitcnt vmcnt(0)
	v_cvt_f32_ubyte0_e32 v27, v27
	s_delay_alu instid0(VALU_DEP_1) | instskip(NEXT) | instid1(VALU_DEP_1)
	v_mul_f32_e32 v30, v27, v3
	v_trunc_f32_e32 v30, v30
	s_delay_alu instid0(VALU_DEP_1) | instskip(SKIP_2) | instid1(VALU_DEP_1)
	v_fma_f32 v27, -v30, v1, v27
	v_cvt_u32_f32_e32 v32, v30
	v_add_co_u32 v30, s2, v6, s12
	v_add_co_ci_u32_e64 v31, s2, s13, v7, s2
	s_delay_alu instid0(VALU_DEP_4) | instskip(NEXT) | instid1(VALU_DEP_1)
	v_cmp_ge_f32_e64 s2, |v27|, v1
	v_add_co_ci_u32_e64 v27, s2, 0, v32, s2
	global_store_b8 v[30:31], v27, off
	s_or_b32 exec_lo, exec_lo, s5
	s_and_saveexec_b32 s2, vcc_lo
	s_cbranch_execz .LBB60_13
.LBB60_17:                              ;   in Loop: Header=BB60_4 Depth=1
	s_waitcnt vmcnt(0)
	v_cvt_f32_ubyte0_e32 v27, v28
	s_delay_alu instid0(VALU_DEP_1) | instskip(NEXT) | instid1(VALU_DEP_1)
	v_mul_f32_e32 v28, v27, v3
	v_trunc_f32_e32 v28, v28
	s_delay_alu instid0(VALU_DEP_1) | instskip(SKIP_1) | instid1(VALU_DEP_2)
	v_fma_f32 v27, -v28, v1, v27
	v_cvt_u32_f32_e32 v28, v28
	v_cmp_ge_f32_e64 vcc_lo, |v27|, v1
	s_delay_alu instid0(VALU_DEP_2)
	v_add_co_ci_u32_e32 v30, vcc_lo, 0, v28, vcc_lo
	v_add_co_u32 v27, vcc_lo, v22, s12
	v_add_co_ci_u32_e32 v28, vcc_lo, s13, v23, vcc_lo
	global_store_b8 v[27:28], v30, off
	s_or_b32 exec_lo, exec_lo, s2
	s_and_saveexec_b32 s2, s3
	s_cbranch_execz .LBB60_14
.LBB60_18:                              ;   in Loop: Header=BB60_4 Depth=1
	s_waitcnt vmcnt(0)
	v_cvt_f32_ubyte0_e32 v27, v29
	s_delay_alu instid0(VALU_DEP_1) | instskip(NEXT) | instid1(VALU_DEP_1)
	v_mul_f32_e32 v28, v27, v3
	v_trunc_f32_e32 v28, v28
	s_delay_alu instid0(VALU_DEP_1) | instskip(SKIP_1) | instid1(VALU_DEP_2)
	v_fma_f32 v27, -v28, v1, v27
	v_cvt_u32_f32_e32 v28, v28
	v_cmp_ge_f32_e64 vcc_lo, |v27|, v1
	s_delay_alu instid0(VALU_DEP_2)
	v_add_co_ci_u32_e32 v29, vcc_lo, 0, v28, vcc_lo
	v_add_co_u32 v27, vcc_lo, v16, s12
	v_add_co_ci_u32_e32 v28, vcc_lo, s13, v17, vcc_lo
	global_store_b8 v[27:28], v29, off
	s_or_b32 exec_lo, exec_lo, s2
	s_and_saveexec_b32 s2, s4
	s_cbranch_execz .LBB60_3
.LBB60_19:                              ;   in Loop: Header=BB60_4 Depth=1
	s_waitcnt vmcnt(0)
	v_cvt_f32_ubyte0_e32 v26, v26
	s_delay_alu instid0(VALU_DEP_1) | instskip(NEXT) | instid1(VALU_DEP_1)
	v_mul_f32_e32 v27, v26, v3
	v_trunc_f32_e32 v27, v27
	s_delay_alu instid0(VALU_DEP_1) | instskip(SKIP_1) | instid1(VALU_DEP_2)
	v_fma_f32 v26, -v27, v1, v26
	v_cvt_u32_f32_e32 v27, v27
	v_cmp_ge_f32_e64 vcc_lo, |v26|, v1
	s_delay_alu instid0(VALU_DEP_2)
	v_add_co_ci_u32_e32 v28, vcc_lo, 0, v27, vcc_lo
	v_add_co_u32 v26, vcc_lo, v10, s12
	v_add_co_ci_u32_e32 v27, vcc_lo, s13, v11, vcc_lo
	global_store_b8 v[26:27], v28, off
	s_branch .LBB60_3
.LBB60_20:
	s_mov_b32 s10, 0
.LBB60_21:
	s_delay_alu instid0(SALU_CYCLE_1)
	s_and_not1_b32 vcc_lo, exec_lo, s10
	s_cbranch_vccnz .LBB60_25
; %bb.22:
	v_dual_mov_b32 v1, 0 :: v_dual_lshlrev_b32 v0, 2, v0
	s_mov_b32 s2, exec_lo
	s_delay_alu instid0(VALU_DEP_1)
	v_cmpx_gt_i64_e64 s[8:9], v[0:1]
	s_cbranch_execz .LBB60_25
; %bb.23:
	s_load_b32 s0, s[0:1], 0xc94
	s_waitcnt vmcnt(0)
	v_cvt_f32_ubyte0_e32 v2, v2
	s_mov_b32 s2, 0
	s_delay_alu instid0(VALU_DEP_1) | instskip(SKIP_2) | instid1(SALU_CYCLE_1)
	v_rcp_iflag_f32_e32 v3, v2
	s_waitcnt lgkmcnt(0)
	s_and_b32 s0, s0, 0xffff
	s_lshl_b32 s1, s0, 2
.LBB60_24:                              ; =>This Inner Loop Header: Depth=1
	v_add_co_u32 v4, vcc_lo, s6, v0
	v_add_co_ci_u32_e32 v5, vcc_lo, s7, v1, vcc_lo
	global_load_b32 v6, v[4:5], off
	v_add_co_u32 v4, vcc_lo, s14, v0
	v_add_co_ci_u32_e32 v5, vcc_lo, s15, v1, vcc_lo
	v_add_co_u32 v0, vcc_lo, s1, v0
	v_add_co_ci_u32_e32 v1, vcc_lo, 0, v1, vcc_lo
	s_delay_alu instid0(VALU_DEP_1)
	v_cmp_lt_u64_e64 s0, 0xffff, v[0:1]
	s_waitcnt vmcnt(0)
	v_cvt_f32_ubyte2_e32 v9, v6
	v_cvt_f32_ubyte0_e32 v7, v6
	v_cvt_f32_ubyte1_e32 v8, v6
	v_cvt_f32_ubyte3_e32 v6, v6
	s_delay_alu instid0(VALU_DEP_4) | instskip(NEXT) | instid1(VALU_DEP_3)
	v_mul_f32_e32 v12, v9, v3
	v_mul_f32_e32 v11, v8, v3
	s_delay_alu instid0(VALU_DEP_2) | instskip(NEXT) | instid1(VALU_DEP_2)
	v_trunc_f32_e32 v12, v12
	v_trunc_f32_e32 v11, v11
	s_delay_alu instid0(VALU_DEP_2) | instskip(SKIP_1) | instid1(VALU_DEP_3)
	v_fma_f32 v9, -v12, v2, v9
	v_cvt_u32_f32_e32 v12, v12
	v_fma_f32 v8, -v11, v2, v8
	v_cvt_u32_f32_e32 v11, v11
	s_delay_alu instid0(VALU_DEP_4) | instskip(NEXT) | instid1(VALU_DEP_4)
	v_cmp_ge_f32_e64 vcc_lo, |v9|, v2
	v_add_co_ci_u32_e32 v9, vcc_lo, 0, v12, vcc_lo
	s_delay_alu instid0(VALU_DEP_1) | instskip(NEXT) | instid1(VALU_DEP_1)
	v_dual_mul_f32 v10, v7, v3 :: v_dual_and_b32 v9, 0xff, v9
	v_trunc_f32_e32 v10, v10
	s_delay_alu instid0(VALU_DEP_2) | instskip(NEXT) | instid1(VALU_DEP_2)
	v_lshlrev_b32_e32 v9, 16, v9
	v_fma_f32 v7, -v10, v2, v7
	v_cvt_u32_f32_e32 v10, v10
	s_delay_alu instid0(VALU_DEP_2) | instskip(NEXT) | instid1(VALU_DEP_2)
	v_cmp_ge_f32_e64 vcc_lo, |v7|, v2
	v_add_co_ci_u32_e32 v7, vcc_lo, 0, v10, vcc_lo
	v_cmp_ge_f32_e64 vcc_lo, |v8|, v2
	s_delay_alu instid0(VALU_DEP_2) | instskip(SKIP_1) | instid1(VALU_DEP_1)
	v_and_b32_e32 v7, 0xff, v7
	v_add_co_ci_u32_e32 v8, vcc_lo, 0, v11, vcc_lo
	v_dual_mul_f32 v13, v6, v3 :: v_dual_and_b32 v8, 0xff, v8
	s_delay_alu instid0(VALU_DEP_1) | instskip(NEXT) | instid1(VALU_DEP_2)
	v_lshlrev_b32_e32 v8, 8, v8
	v_trunc_f32_e32 v13, v13
	s_delay_alu instid0(VALU_DEP_1) | instskip(SKIP_1) | instid1(VALU_DEP_2)
	v_fma_f32 v6, -v13, v2, v6
	v_cvt_u32_f32_e32 v13, v13
	v_cmp_ge_f32_e64 vcc_lo, |v6|, v2
	s_delay_alu instid0(VALU_DEP_2) | instskip(SKIP_1) | instid1(VALU_DEP_2)
	v_add_co_ci_u32_e32 v6, vcc_lo, 0, v13, vcc_lo
	v_cmp_le_i64_e32 vcc_lo, s[8:9], v[0:1]
	v_lshl_or_b32 v6, v6, 24, v9
	s_delay_alu instid0(VALU_DEP_4) | instskip(NEXT) | instid1(VALU_DEP_1)
	s_or_b32 s0, vcc_lo, s0
	v_or3_b32 v6, v6, v8, v7
	s_and_b32 s0, exec_lo, s0
	s_delay_alu instid0(SALU_CYCLE_1)
	s_or_b32 s2, s0, s2
	global_store_b32 v[4:5], v6, off
	s_and_not1_b32 exec_lo, exec_lo, s2
	s_cbranch_execnz .LBB60_24
.LBB60_25:
	s_nop 0
	s_sendmsg sendmsg(MSG_DEALLOC_VGPRS)
	s_endpgm
	.section	.rodata,"a",@progbits
	.p2align	6, 0x0
	.amdhsa_kernel _ZN2at6native12_GLOBAL__N_125multi_tensor_apply_kernelINS1_28TensorListScalarListMetadataIhLi2EEENS1_25BinaryOpScalarListFunctorIhLi2ELi1ELi1EEEJSt7dividesIhEEEEvT_T0_DpT1_
		.amdhsa_group_segment_fixed_size 0
		.amdhsa_private_segment_fixed_size 0
		.amdhsa_kernarg_size 3464
		.amdhsa_user_sgpr_count 15
		.amdhsa_user_sgpr_dispatch_ptr 0
		.amdhsa_user_sgpr_queue_ptr 0
		.amdhsa_user_sgpr_kernarg_segment_ptr 1
		.amdhsa_user_sgpr_dispatch_id 0
		.amdhsa_user_sgpr_private_segment_size 0
		.amdhsa_wavefront_size32 1
		.amdhsa_uses_dynamic_stack 0
		.amdhsa_enable_private_segment 0
		.amdhsa_system_sgpr_workgroup_id_x 1
		.amdhsa_system_sgpr_workgroup_id_y 0
		.amdhsa_system_sgpr_workgroup_id_z 0
		.amdhsa_system_sgpr_workgroup_info 0
		.amdhsa_system_vgpr_workitem_id 0
		.amdhsa_next_free_vgpr 33
		.amdhsa_next_free_sgpr 22
		.amdhsa_reserve_vcc 1
		.amdhsa_float_round_mode_32 0
		.amdhsa_float_round_mode_16_64 0
		.amdhsa_float_denorm_mode_32 3
		.amdhsa_float_denorm_mode_16_64 3
		.amdhsa_dx10_clamp 1
		.amdhsa_ieee_mode 1
		.amdhsa_fp16_overflow 0
		.amdhsa_workgroup_processor_mode 1
		.amdhsa_memory_ordered 1
		.amdhsa_forward_progress 0
		.amdhsa_shared_vgpr_count 0
		.amdhsa_exception_fp_ieee_invalid_op 0
		.amdhsa_exception_fp_denorm_src 0
		.amdhsa_exception_fp_ieee_div_zero 0
		.amdhsa_exception_fp_ieee_overflow 0
		.amdhsa_exception_fp_ieee_underflow 0
		.amdhsa_exception_fp_ieee_inexact 0
		.amdhsa_exception_int_div_zero 0
	.end_amdhsa_kernel
	.section	.text._ZN2at6native12_GLOBAL__N_125multi_tensor_apply_kernelINS1_28TensorListScalarListMetadataIhLi2EEENS1_25BinaryOpScalarListFunctorIhLi2ELi1ELi1EEEJSt7dividesIhEEEEvT_T0_DpT1_,"axG",@progbits,_ZN2at6native12_GLOBAL__N_125multi_tensor_apply_kernelINS1_28TensorListScalarListMetadataIhLi2EEENS1_25BinaryOpScalarListFunctorIhLi2ELi1ELi1EEEJSt7dividesIhEEEEvT_T0_DpT1_,comdat
.Lfunc_end60:
	.size	_ZN2at6native12_GLOBAL__N_125multi_tensor_apply_kernelINS1_28TensorListScalarListMetadataIhLi2EEENS1_25BinaryOpScalarListFunctorIhLi2ELi1ELi1EEEJSt7dividesIhEEEEvT_T0_DpT1_, .Lfunc_end60-_ZN2at6native12_GLOBAL__N_125multi_tensor_apply_kernelINS1_28TensorListScalarListMetadataIhLi2EEENS1_25BinaryOpScalarListFunctorIhLi2ELi1ELi1EEEJSt7dividesIhEEEEvT_T0_DpT1_
                                        ; -- End function
	.section	.AMDGPU.csdata,"",@progbits
; Kernel info:
; codeLenInByte = 1700
; NumSgprs: 24
; NumVgprs: 33
; ScratchSize: 0
; MemoryBound: 0
; FloatMode: 240
; IeeeMode: 1
; LDSByteSize: 0 bytes/workgroup (compile time only)
; SGPRBlocks: 2
; VGPRBlocks: 4
; NumSGPRsForWavesPerEU: 24
; NumVGPRsForWavesPerEU: 33
; Occupancy: 16
; WaveLimiterHint : 0
; COMPUTE_PGM_RSRC2:SCRATCH_EN: 0
; COMPUTE_PGM_RSRC2:USER_SGPR: 15
; COMPUTE_PGM_RSRC2:TRAP_HANDLER: 0
; COMPUTE_PGM_RSRC2:TGID_X_EN: 1
; COMPUTE_PGM_RSRC2:TGID_Y_EN: 0
; COMPUTE_PGM_RSRC2:TGID_Z_EN: 0
; COMPUTE_PGM_RSRC2:TIDIG_COMP_CNT: 0
	.section	.text._ZN2at6native12_GLOBAL__N_125multi_tensor_apply_kernelINS1_28TensorListScalarListMetadataIaLi2EEENS1_25BinaryOpScalarListFunctorIaLi2ELi1ELi1EEEJSt7dividesIaEEEEvT_T0_DpT1_,"axG",@progbits,_ZN2at6native12_GLOBAL__N_125multi_tensor_apply_kernelINS1_28TensorListScalarListMetadataIaLi2EEENS1_25BinaryOpScalarListFunctorIaLi2ELi1ELi1EEEJSt7dividesIaEEEEvT_T0_DpT1_,comdat
	.globl	_ZN2at6native12_GLOBAL__N_125multi_tensor_apply_kernelINS1_28TensorListScalarListMetadataIaLi2EEENS1_25BinaryOpScalarListFunctorIaLi2ELi1ELi1EEEJSt7dividesIaEEEEvT_T0_DpT1_ ; -- Begin function _ZN2at6native12_GLOBAL__N_125multi_tensor_apply_kernelINS1_28TensorListScalarListMetadataIaLi2EEENS1_25BinaryOpScalarListFunctorIaLi2ELi1ELi1EEEJSt7dividesIaEEEEvT_T0_DpT1_
	.p2align	8
	.type	_ZN2at6native12_GLOBAL__N_125multi_tensor_apply_kernelINS1_28TensorListScalarListMetadataIaLi2EEENS1_25BinaryOpScalarListFunctorIaLi2ELi1ELi1EEEJSt7dividesIaEEEEvT_T0_DpT1_,@function
_ZN2at6native12_GLOBAL__N_125multi_tensor_apply_kernelINS1_28TensorListScalarListMetadataIaLi2EEENS1_25BinaryOpScalarListFunctorIaLi2ELi1ELi1EEEJSt7dividesIaEEEEvT_T0_DpT1_: ; @_ZN2at6native12_GLOBAL__N_125multi_tensor_apply_kernelINS1_28TensorListScalarListMetadataIaLi2EEENS1_25BinaryOpScalarListFunctorIaLi2ELi1ELi1EEEJSt7dividesIaEEEEvT_T0_DpT1_
; %bb.0:
	v_mov_b32_e32 v1, s15
	s_mul_i32 s4, s15, 3
	s_mul_hi_u32 s5, s15, 3
	global_load_u8 v3, v1, s[0:1] offset:1600
	s_waitcnt vmcnt(0)
	v_add_co_u32 v1, s2, s0, v3
	s_delay_alu instid0(VALU_DEP_1)
	v_add_co_ci_u32_e64 v2, null, s1, 0, s2
	s_add_u32 s2, s0, s15
	s_addc_u32 s3, s1, 0
	s_add_u32 s2, s2, s4
	global_load_u8 v2, v[1:2], off offset:1536
	s_addc_u32 s3, s3, s5
	v_readfirstlane_b32 s4, v3
	s_load_b32 s6, s[2:3], 0x780
	s_delay_alu instid0(VALU_DEP_1)
	s_lshl_b32 s7, s4, 3
	s_clause 0x2
	s_load_b64 s[4:5], s[0:1], s7 offset:0x0
	s_load_b64 s[2:3], s[0:1], s7 offset:0x200
	;; [unrolled: 1-line block ×3, first 2 shown]
	s_waitcnt lgkmcnt(0)
	s_ashr_i32 s7, s6, 31
	s_delay_alu instid0(SALU_CYCLE_1) | instskip(NEXT) | instid1(SALU_CYCLE_1)
	s_lshl_b64 s[12:13], s[6:7], 16
	s_add_u32 s6, s4, s12
	s_addc_u32 s7, s5, s13
	s_add_u32 s14, s2, s12
	s_addc_u32 s15, s3, s13
	s_or_b64 s[10:11], s[8:9], s[6:7]
	s_delay_alu instid0(SALU_CYCLE_1) | instskip(NEXT) | instid1(SALU_CYCLE_1)
	s_or_b32 s10, s14, s10
	s_and_b32 s10, s10, 3
	s_sub_u32 s8, s8, s12
	s_subb_u32 s9, s9, s13
	s_cmp_eq_u32 s10, 0
	s_mov_b32 s10, -1
	s_cbranch_scc1 .LBB61_21
; %bb.1:
	v_cmp_lt_i64_e64 s10, s[8:9], 1
	s_delay_alu instid0(VALU_DEP_1)
	s_and_b32 vcc_lo, exec_lo, s10
	s_cbranch_vccnz .LBB61_20
; %bb.2:
	s_load_b32 s10, s[0:1], 0xc94
	v_cmp_gt_u64_e64 s11, 0x10000, s[8:9]
	v_add_co_u32 v19, s16, s12, v0
	s_delay_alu instid0(VALU_DEP_1) | instskip(SKIP_2) | instid1(VALU_DEP_3)
	v_add_co_ci_u32_e64 v20, null, s13, 0, s16
	s_waitcnt vmcnt(0)
	v_bfe_i32 v1, v2, 0, 8
	v_add_co_u32 v4, vcc_lo, s4, v19
	s_delay_alu instid0(VALU_DEP_3) | instskip(SKIP_3) | instid1(VALU_DEP_1)
	v_add_co_ci_u32_e32 v5, vcc_lo, s5, v20, vcc_lo
	v_add_co_u32 v6, vcc_lo, s2, v19
	v_add_co_ci_u32_e32 v7, vcc_lo, s3, v20, vcc_lo
	v_cvt_f32_i32_e32 v3, v1
	v_rcp_iflag_f32_e32 v8, v3
	s_waitcnt lgkmcnt(0)
	s_and_b32 s17, s10, 0xffff
	s_and_b32 s10, s11, exec_lo
	s_mul_i32 s19, s17, 3
	s_cselect_b32 s11, s9, 0
	s_cselect_b32 s10, s8, 0x10000
	s_lshl_b32 s18, s17, 1
	s_lshl_b32 s16, s17, 2
	s_add_u32 s20, s12, s19
	s_addc_u32 s21, s13, 0
	v_add_co_u32 v11, s20, s20, v0
	s_delay_alu instid0(VALU_DEP_1) | instskip(SKIP_1) | instid1(VALU_DEP_2)
	v_add_co_ci_u32_e64 v12, null, s21, 0, s20
	s_add_u32 s12, s12, s18
	v_add_co_u32 v9, vcc_lo, s4, v11
	s_addc_u32 s13, s13, 0
	v_add_co_u32 v17, s12, s12, v0
	v_add_co_ci_u32_e32 v10, vcc_lo, s5, v12, vcc_lo
	v_add_co_u32 v11, vcc_lo, s2, v11
	v_add_co_ci_u32_e64 v18, null, s13, 0, s12
	v_add_co_ci_u32_e32 v12, vcc_lo, s3, v12, vcc_lo
	v_add_co_u32 v15, vcc_lo, s4, v17
	s_delay_alu instid0(VALU_DEP_3)
	v_add_co_ci_u32_e32 v16, vcc_lo, s5, v18, vcc_lo
	v_add_co_u32 v17, vcc_lo, s2, v17
	v_add_co_ci_u32_e32 v18, vcc_lo, s3, v18, vcc_lo
	v_add_co_u32 v23, vcc_lo, v19, s17
	v_add_co_ci_u32_e32 v24, vcc_lo, 0, v20, vcc_lo
	v_add_co_u32 v13, s12, s19, v0
	s_delay_alu instid0(VALU_DEP_3) | instskip(NEXT) | instid1(VALU_DEP_3)
	v_add_co_u32 v21, vcc_lo, s4, v23
	v_add_co_ci_u32_e32 v22, vcc_lo, s5, v24, vcc_lo
	v_add_co_ci_u32_e64 v14, null, 0, 0, s12
	v_add_co_u32 v19, s12, s18, v0
	v_add_co_u32 v23, vcc_lo, s2, v23
	v_add_co_u32 v25, s2, v0, s17
	v_add_co_ci_u32_e64 v20, null, 0, 0, s12
	v_add_co_ci_u32_e32 v24, vcc_lo, s3, v24, vcc_lo
	v_add_co_ci_u32_e64 v26, null, 0, 0, s2
	s_mov_b64 s[12:13], 0
	s_branch .LBB61_4
.LBB61_3:                               ;   in Loop: Header=BB61_4 Depth=1
	s_or_b32 exec_lo, exec_lo, s2
	s_add_u32 s12, s12, s16
	s_addc_u32 s13, s13, 0
	s_delay_alu instid0(SALU_CYCLE_1) | instskip(SKIP_1) | instid1(VALU_DEP_1)
	v_cmp_lt_i64_e64 s2, s[12:13], s[8:9]
	v_cmp_gt_u64_e64 s3, 0x10000, s[12:13]
	s_and_b32 s2, s2, s3
	s_delay_alu instid0(SALU_CYCLE_1)
	s_and_b32 vcc_lo, exec_lo, s2
	s_cbranch_vccz .LBB61_20
.LBB61_4:                               ; =>This Inner Loop Header: Depth=1
	s_waitcnt vmcnt(0)
	v_add_co_u32 v27, s2, v0, s12
	s_delay_alu instid0(VALU_DEP_1) | instskip(SKIP_1) | instid1(VALU_DEP_2)
	v_add_co_ci_u32_e64 v28, null, 0, s13, s2
	v_mov_b32_e32 v30, 0
	v_cmp_gt_u64_e64 s4, s[10:11], v[27:28]
	s_delay_alu instid0(VALU_DEP_1)
	s_and_saveexec_b32 s2, s4
	s_cbranch_execz .LBB61_6
; %bb.5:                                ;   in Loop: Header=BB61_4 Depth=1
	v_add_co_u32 v27, vcc_lo, v4, s12
	v_add_co_ci_u32_e32 v28, vcc_lo, s13, v5, vcc_lo
	global_load_u8 v30, v[27:28], off
.LBB61_6:                               ;   in Loop: Header=BB61_4 Depth=1
	s_or_b32 exec_lo, exec_lo, s2
	v_add_co_u32 v27, vcc_lo, v25, s12
	v_add_co_ci_u32_e32 v28, vcc_lo, s13, v26, vcc_lo
	v_mov_b32_e32 v29, 0
	s_delay_alu instid0(VALU_DEP_2) | instskip(NEXT) | instid1(VALU_DEP_1)
	v_cmp_gt_u64_e64 s3, s[10:11], v[27:28]
	s_and_saveexec_b32 s2, s3
	s_cbranch_execz .LBB61_8
; %bb.7:                                ;   in Loop: Header=BB61_4 Depth=1
	v_add_co_u32 v27, vcc_lo, v21, s12
	v_add_co_ci_u32_e32 v28, vcc_lo, s13, v22, vcc_lo
	global_load_u8 v29, v[27:28], off
.LBB61_8:                               ;   in Loop: Header=BB61_4 Depth=1
	s_or_b32 exec_lo, exec_lo, s2
	v_add_co_u32 v27, vcc_lo, v19, s12
	v_add_co_ci_u32_e32 v28, vcc_lo, s13, v20, vcc_lo
	s_delay_alu instid0(VALU_DEP_1) | instskip(SKIP_1) | instid1(VALU_DEP_2)
	v_cmp_gt_u64_e64 s2, s[10:11], v[27:28]
	v_dual_mov_b32 v27, 0 :: v_dual_mov_b32 v28, 0
	s_and_saveexec_b32 s5, s2
	s_cbranch_execz .LBB61_10
; %bb.9:                                ;   in Loop: Header=BB61_4 Depth=1
	v_add_co_u32 v31, vcc_lo, v15, s12
	v_add_co_ci_u32_e32 v32, vcc_lo, s13, v16, vcc_lo
	global_load_u8 v28, v[31:32], off
.LBB61_10:                              ;   in Loop: Header=BB61_4 Depth=1
	s_or_b32 exec_lo, exec_lo, s5
	v_add_co_u32 v31, vcc_lo, v13, s12
	v_add_co_ci_u32_e32 v32, vcc_lo, s13, v14, vcc_lo
	s_delay_alu instid0(VALU_DEP_1)
	v_cmp_gt_u64_e32 vcc_lo, s[10:11], v[31:32]
	s_and_saveexec_b32 s17, vcc_lo
	s_cbranch_execnz .LBB61_15
; %bb.11:                               ;   in Loop: Header=BB61_4 Depth=1
	s_or_b32 exec_lo, exec_lo, s17
	s_and_saveexec_b32 s5, s4
	s_cbranch_execnz .LBB61_16
.LBB61_12:                              ;   in Loop: Header=BB61_4 Depth=1
	s_or_b32 exec_lo, exec_lo, s5
	s_and_saveexec_b32 s4, s3
	s_cbranch_execnz .LBB61_17
.LBB61_13:                              ;   in Loop: Header=BB61_4 Depth=1
	s_or_b32 exec_lo, exec_lo, s4
	s_and_saveexec_b32 s3, s2
	s_cbranch_execnz .LBB61_18
.LBB61_14:                              ;   in Loop: Header=BB61_4 Depth=1
	s_or_b32 exec_lo, exec_lo, s3
	s_and_saveexec_b32 s2, vcc_lo
	s_cbranch_execz .LBB61_3
	s_branch .LBB61_19
.LBB61_15:                              ;   in Loop: Header=BB61_4 Depth=1
	v_add_co_u32 v31, s5, v9, s12
	s_delay_alu instid0(VALU_DEP_1)
	v_add_co_ci_u32_e64 v32, s5, s13, v10, s5
	global_load_u8 v27, v[31:32], off
	s_or_b32 exec_lo, exec_lo, s17
	s_and_saveexec_b32 s5, s4
	s_cbranch_execz .LBB61_12
.LBB61_16:                              ;   in Loop: Header=BB61_4 Depth=1
	s_waitcnt vmcnt(0)
	v_bfe_i32 v30, v30, 0, 8
	s_delay_alu instid0(VALU_DEP_1) | instskip(SKIP_1) | instid1(VALU_DEP_2)
	v_cvt_f32_i32_e32 v31, v30
	v_xor_b32_e32 v30, v30, v1
	v_mul_f32_e32 v32, v31, v8
	s_delay_alu instid0(VALU_DEP_2) | instskip(NEXT) | instid1(VALU_DEP_2)
	v_ashrrev_i32_e32 v30, 30, v30
	v_trunc_f32_e32 v32, v32
	s_delay_alu instid0(VALU_DEP_2) | instskip(NEXT) | instid1(VALU_DEP_2)
	v_or_b32_e32 v30, 1, v30
	v_fma_f32 v31, -v32, v3, v31
	v_cvt_i32_f32_e32 v32, v32
	s_delay_alu instid0(VALU_DEP_2) | instskip(NEXT) | instid1(VALU_DEP_1)
	v_cmp_ge_f32_e64 s4, |v31|, |v3|
	v_cndmask_b32_e64 v33, 0, v30, s4
	v_add_co_u32 v30, s4, v6, s12
	s_delay_alu instid0(VALU_DEP_1) | instskip(NEXT) | instid1(VALU_DEP_3)
	v_add_co_ci_u32_e64 v31, s4, s13, v7, s4
	v_add_nc_u32_e32 v32, v32, v33
	global_store_b8 v[30:31], v32, off
	s_or_b32 exec_lo, exec_lo, s5
	s_and_saveexec_b32 s4, s3
	s_cbranch_execz .LBB61_13
.LBB61_17:                              ;   in Loop: Header=BB61_4 Depth=1
	s_waitcnt vmcnt(0)
	v_bfe_i32 v29, v29, 0, 8
	s_delay_alu instid0(VALU_DEP_1) | instskip(SKIP_1) | instid1(VALU_DEP_2)
	v_cvt_f32_i32_e32 v30, v29
	v_xor_b32_e32 v29, v29, v1
	v_mul_f32_e32 v31, v30, v8
	s_delay_alu instid0(VALU_DEP_2) | instskip(NEXT) | instid1(VALU_DEP_2)
	v_ashrrev_i32_e32 v29, 30, v29
	v_trunc_f32_e32 v31, v31
	s_delay_alu instid0(VALU_DEP_2) | instskip(NEXT) | instid1(VALU_DEP_2)
	v_or_b32_e32 v29, 1, v29
	v_fma_f32 v30, -v31, v3, v30
	v_cvt_i32_f32_e32 v31, v31
	s_delay_alu instid0(VALU_DEP_2) | instskip(NEXT) | instid1(VALU_DEP_1)
	v_cmp_ge_f32_e64 s3, |v30|, |v3|
	v_cndmask_b32_e64 v29, 0, v29, s3
	s_delay_alu instid0(VALU_DEP_1) | instskip(SKIP_1) | instid1(VALU_DEP_1)
	v_add_nc_u32_e32 v31, v31, v29
	v_add_co_u32 v29, s3, v23, s12
	v_add_co_ci_u32_e64 v30, s3, s13, v24, s3
	global_store_b8 v[29:30], v31, off
	s_or_b32 exec_lo, exec_lo, s4
	s_and_saveexec_b32 s3, s2
	s_cbranch_execz .LBB61_14
.LBB61_18:                              ;   in Loop: Header=BB61_4 Depth=1
	s_waitcnt vmcnt(0)
	v_bfe_i32 v28, v28, 0, 8
	s_delay_alu instid0(VALU_DEP_1) | instskip(SKIP_1) | instid1(VALU_DEP_2)
	v_cvt_f32_i32_e32 v29, v28
	v_xor_b32_e32 v28, v28, v1
	v_mul_f32_e32 v30, v29, v8
	s_delay_alu instid0(VALU_DEP_2) | instskip(NEXT) | instid1(VALU_DEP_2)
	v_ashrrev_i32_e32 v28, 30, v28
	v_trunc_f32_e32 v30, v30
	s_delay_alu instid0(VALU_DEP_2) | instskip(NEXT) | instid1(VALU_DEP_2)
	v_or_b32_e32 v28, 1, v28
	v_fma_f32 v29, -v30, v3, v29
	v_cvt_i32_f32_e32 v30, v30
	s_delay_alu instid0(VALU_DEP_2) | instskip(NEXT) | instid1(VALU_DEP_1)
	v_cmp_ge_f32_e64 s2, |v29|, |v3|
	v_cndmask_b32_e64 v28, 0, v28, s2
	s_delay_alu instid0(VALU_DEP_1) | instskip(SKIP_1) | instid1(VALU_DEP_1)
	v_add_nc_u32_e32 v30, v30, v28
	v_add_co_u32 v28, s2, v17, s12
	v_add_co_ci_u32_e64 v29, s2, s13, v18, s2
	global_store_b8 v[28:29], v30, off
	s_or_b32 exec_lo, exec_lo, s3
	s_and_saveexec_b32 s2, vcc_lo
	s_cbranch_execz .LBB61_3
.LBB61_19:                              ;   in Loop: Header=BB61_4 Depth=1
	s_waitcnt vmcnt(0)
	v_bfe_i32 v27, v27, 0, 8
	s_delay_alu instid0(VALU_DEP_1) | instskip(SKIP_1) | instid1(VALU_DEP_2)
	v_cvt_f32_i32_e32 v28, v27
	v_xor_b32_e32 v27, v27, v1
	v_mul_f32_e32 v29, v28, v8
	s_delay_alu instid0(VALU_DEP_2) | instskip(NEXT) | instid1(VALU_DEP_2)
	v_ashrrev_i32_e32 v27, 30, v27
	v_trunc_f32_e32 v29, v29
	s_delay_alu instid0(VALU_DEP_2) | instskip(NEXT) | instid1(VALU_DEP_2)
	v_or_b32_e32 v27, 1, v27
	v_fma_f32 v28, -v29, v3, v28
	v_cvt_i32_f32_e32 v29, v29
	s_delay_alu instid0(VALU_DEP_2) | instskip(NEXT) | instid1(VALU_DEP_4)
	v_cmp_ge_f32_e64 vcc_lo, |v28|, |v3|
	v_cndmask_b32_e32 v27, 0, v27, vcc_lo
	s_delay_alu instid0(VALU_DEP_1)
	v_add_nc_u32_e32 v29, v29, v27
	v_add_co_u32 v27, vcc_lo, v11, s12
	v_add_co_ci_u32_e32 v28, vcc_lo, s13, v12, vcc_lo
	global_store_b8 v[27:28], v29, off
	s_branch .LBB61_3
.LBB61_20:
	s_mov_b32 s10, 0
.LBB61_21:
	s_delay_alu instid0(SALU_CYCLE_1)
	s_and_not1_b32 vcc_lo, exec_lo, s10
	s_cbranch_vccnz .LBB61_25
; %bb.22:
	v_dual_mov_b32 v1, 0 :: v_dual_lshlrev_b32 v0, 2, v0
	s_mov_b32 s2, exec_lo
	s_delay_alu instid0(VALU_DEP_1)
	v_cmpx_gt_i64_e64 s[8:9], v[0:1]
	s_cbranch_execz .LBB61_25
; %bb.23:
	s_load_b32 s0, s[0:1], 0xc94
	s_waitcnt vmcnt(0)
	v_bfe_i32 v2, v2, 0, 8
	s_mov_b32 s2, 0
	s_delay_alu instid0(VALU_DEP_1) | instskip(NEXT) | instid1(VALU_DEP_1)
	v_cvt_f32_i32_e32 v3, v2
	v_rcp_iflag_f32_e32 v4, v3
	s_waitcnt lgkmcnt(0)
	s_and_b32 s0, s0, 0xffff
	s_delay_alu instid0(SALU_CYCLE_1)
	s_lshl_b32 s1, s0, 2
.LBB61_24:                              ; =>This Inner Loop Header: Depth=1
	v_add_co_u32 v5, vcc_lo, s6, v0
	v_add_co_ci_u32_e32 v6, vcc_lo, s7, v1, vcc_lo
	global_load_b32 v7, v[5:6], off
	v_add_co_u32 v5, vcc_lo, s14, v0
	v_add_co_ci_u32_e32 v6, vcc_lo, s15, v1, vcc_lo
	v_add_co_u32 v0, vcc_lo, s1, v0
	v_add_co_ci_u32_e32 v1, vcc_lo, 0, v1, vcc_lo
	s_delay_alu instid0(VALU_DEP_1)
	v_cmp_le_i64_e32 vcc_lo, s[8:9], v[0:1]
	s_waitcnt vmcnt(0)
	v_bfe_i32 v10, v7, 16, 8
	v_bfe_i32 v8, v7, 0, 8
	;; [unrolled: 1-line block ×3, first 2 shown]
	v_ashrrev_i32_e32 v7, 24, v7
	s_delay_alu instid0(VALU_DEP_4) | instskip(SKIP_2) | instid1(VALU_DEP_4)
	v_xor_b32_e32 v13, v10, v2
	v_cvt_f32_i32_e32 v10, v10
	v_xor_b32_e32 v11, v8, v2
	v_xor_b32_e32 v14, v7, v2
	v_cvt_f32_i32_e32 v7, v7
	v_ashrrev_i32_e32 v13, 30, v13
	v_mul_f32_e32 v17, v10, v4
	v_cvt_f32_i32_e32 v8, v8
	v_xor_b32_e32 v12, v9, v2
	v_mul_f32_e32 v18, v7, v4
	v_or_b32_e32 v13, 1, v13
	v_trunc_f32_e32 v17, v17
	v_cvt_f32_i32_e32 v9, v9
	v_ashrrev_i32_e32 v11, 30, v11
	v_trunc_f32_e32 v18, v18
	v_ashrrev_i32_e32 v12, 30, v12
	v_fma_f32 v10, -v17, v3, v10
	v_cvt_i32_f32_e32 v17, v17
	v_or_b32_e32 v11, 1, v11
	v_fma_f32 v7, -v18, v3, v7
	v_cvt_i32_f32_e32 v18, v18
	v_cmp_ge_f32_e64 s0, |v10|, |v3|
	v_mul_f32_e32 v16, v9, v4
	v_ashrrev_i32_e32 v14, 30, v14
	v_or_b32_e32 v12, 1, v12
	s_delay_alu instid0(VALU_DEP_4) | instskip(SKIP_3) | instid1(VALU_DEP_4)
	v_cndmask_b32_e64 v10, 0, v13, s0
	v_mul_f32_e32 v15, v8, v4
	v_trunc_f32_e32 v16, v16
	v_or_b32_e32 v14, 1, v14
	v_add_nc_u32_e32 v10, v17, v10
	s_delay_alu instid0(VALU_DEP_4) | instskip(NEXT) | instid1(VALU_DEP_4)
	v_trunc_f32_e32 v15, v15
	v_fma_f32 v9, -v16, v3, v9
	v_cvt_i32_f32_e32 v16, v16
	s_delay_alu instid0(VALU_DEP_4) | instskip(NEXT) | instid1(VALU_DEP_4)
	v_and_b32_e32 v10, 0xff, v10
	v_fma_f32 v8, -v15, v3, v8
	v_cvt_i32_f32_e32 v15, v15
	s_delay_alu instid0(VALU_DEP_3) | instskip(NEXT) | instid1(VALU_DEP_3)
	v_lshlrev_b32_e32 v10, 16, v10
	v_cmp_ge_f32_e64 s0, |v8|, |v3|
	s_delay_alu instid0(VALU_DEP_1) | instskip(SKIP_1) | instid1(VALU_DEP_2)
	v_cndmask_b32_e64 v8, 0, v11, s0
	v_cmp_ge_f32_e64 s0, |v9|, |v3|
	v_add_nc_u32_e32 v8, v15, v8
	s_delay_alu instid0(VALU_DEP_2) | instskip(SKIP_1) | instid1(VALU_DEP_3)
	v_cndmask_b32_e64 v9, 0, v12, s0
	v_cmp_ge_f32_e64 s0, |v7|, |v3|
	v_and_b32_e32 v8, 0xff, v8
	s_delay_alu instid0(VALU_DEP_3) | instskip(NEXT) | instid1(VALU_DEP_3)
	v_add_nc_u32_e32 v9, v16, v9
	v_cndmask_b32_e64 v7, 0, v14, s0
	v_cmp_lt_u64_e64 s0, 0xffff, v[0:1]
	s_delay_alu instid0(VALU_DEP_3) | instskip(NEXT) | instid1(VALU_DEP_3)
	v_lshlrev_b16 v9, 8, v9
	v_add_nc_u32_e32 v7, v18, v7
	s_delay_alu instid0(VALU_DEP_3) | instskip(NEXT) | instid1(VALU_DEP_2)
	s_or_b32 s0, vcc_lo, s0
	v_and_b32_e32 v9, 0xffff, v9
	s_delay_alu instid0(VALU_DEP_2) | instskip(SKIP_1) | instid1(SALU_CYCLE_1)
	v_lshl_or_b32 v7, v7, 24, v10
	s_and_b32 s0, exec_lo, s0
	s_or_b32 s2, s0, s2
	s_delay_alu instid0(VALU_DEP_1)
	v_or3_b32 v7, v7, v9, v8
	global_store_b32 v[5:6], v7, off
	s_and_not1_b32 exec_lo, exec_lo, s2
	s_cbranch_execnz .LBB61_24
.LBB61_25:
	s_nop 0
	s_sendmsg sendmsg(MSG_DEALLOC_VGPRS)
	s_endpgm
	.section	.rodata,"a",@progbits
	.p2align	6, 0x0
	.amdhsa_kernel _ZN2at6native12_GLOBAL__N_125multi_tensor_apply_kernelINS1_28TensorListScalarListMetadataIaLi2EEENS1_25BinaryOpScalarListFunctorIaLi2ELi1ELi1EEEJSt7dividesIaEEEEvT_T0_DpT1_
		.amdhsa_group_segment_fixed_size 0
		.amdhsa_private_segment_fixed_size 0
		.amdhsa_kernarg_size 3464
		.amdhsa_user_sgpr_count 15
		.amdhsa_user_sgpr_dispatch_ptr 0
		.amdhsa_user_sgpr_queue_ptr 0
		.amdhsa_user_sgpr_kernarg_segment_ptr 1
		.amdhsa_user_sgpr_dispatch_id 0
		.amdhsa_user_sgpr_private_segment_size 0
		.amdhsa_wavefront_size32 1
		.amdhsa_uses_dynamic_stack 0
		.amdhsa_enable_private_segment 0
		.amdhsa_system_sgpr_workgroup_id_x 1
		.amdhsa_system_sgpr_workgroup_id_y 0
		.amdhsa_system_sgpr_workgroup_id_z 0
		.amdhsa_system_sgpr_workgroup_info 0
		.amdhsa_system_vgpr_workitem_id 0
		.amdhsa_next_free_vgpr 34
		.amdhsa_next_free_sgpr 22
		.amdhsa_reserve_vcc 1
		.amdhsa_float_round_mode_32 0
		.amdhsa_float_round_mode_16_64 0
		.amdhsa_float_denorm_mode_32 3
		.amdhsa_float_denorm_mode_16_64 3
		.amdhsa_dx10_clamp 1
		.amdhsa_ieee_mode 1
		.amdhsa_fp16_overflow 0
		.amdhsa_workgroup_processor_mode 1
		.amdhsa_memory_ordered 1
		.amdhsa_forward_progress 0
		.amdhsa_shared_vgpr_count 0
		.amdhsa_exception_fp_ieee_invalid_op 0
		.amdhsa_exception_fp_denorm_src 0
		.amdhsa_exception_fp_ieee_div_zero 0
		.amdhsa_exception_fp_ieee_overflow 0
		.amdhsa_exception_fp_ieee_underflow 0
		.amdhsa_exception_fp_ieee_inexact 0
		.amdhsa_exception_int_div_zero 0
	.end_amdhsa_kernel
	.section	.text._ZN2at6native12_GLOBAL__N_125multi_tensor_apply_kernelINS1_28TensorListScalarListMetadataIaLi2EEENS1_25BinaryOpScalarListFunctorIaLi2ELi1ELi1EEEJSt7dividesIaEEEEvT_T0_DpT1_,"axG",@progbits,_ZN2at6native12_GLOBAL__N_125multi_tensor_apply_kernelINS1_28TensorListScalarListMetadataIaLi2EEENS1_25BinaryOpScalarListFunctorIaLi2ELi1ELi1EEEJSt7dividesIaEEEEvT_T0_DpT1_,comdat
.Lfunc_end61:
	.size	_ZN2at6native12_GLOBAL__N_125multi_tensor_apply_kernelINS1_28TensorListScalarListMetadataIaLi2EEENS1_25BinaryOpScalarListFunctorIaLi2ELi1ELi1EEEJSt7dividesIaEEEEvT_T0_DpT1_, .Lfunc_end61-_ZN2at6native12_GLOBAL__N_125multi_tensor_apply_kernelINS1_28TensorListScalarListMetadataIaLi2EEENS1_25BinaryOpScalarListFunctorIaLi2ELi1ELi1EEEJSt7dividesIaEEEEvT_T0_DpT1_
                                        ; -- End function
	.section	.AMDGPU.csdata,"",@progbits
; Kernel info:
; codeLenInByte = 1940
; NumSgprs: 24
; NumVgprs: 34
; ScratchSize: 0
; MemoryBound: 0
; FloatMode: 240
; IeeeMode: 1
; LDSByteSize: 0 bytes/workgroup (compile time only)
; SGPRBlocks: 2
; VGPRBlocks: 4
; NumSGPRsForWavesPerEU: 24
; NumVGPRsForWavesPerEU: 34
; Occupancy: 16
; WaveLimiterHint : 0
; COMPUTE_PGM_RSRC2:SCRATCH_EN: 0
; COMPUTE_PGM_RSRC2:USER_SGPR: 15
; COMPUTE_PGM_RSRC2:TRAP_HANDLER: 0
; COMPUTE_PGM_RSRC2:TGID_X_EN: 1
; COMPUTE_PGM_RSRC2:TGID_Y_EN: 0
; COMPUTE_PGM_RSRC2:TGID_Z_EN: 0
; COMPUTE_PGM_RSRC2:TIDIG_COMP_CNT: 0
	.section	.text._ZN2at6native12_GLOBAL__N_125multi_tensor_apply_kernelINS1_28TensorListScalarListMetadataIiLi2EEENS1_25BinaryOpScalarListFunctorIiLi2ELi1ELi1EEEJSt7dividesIiEEEEvT_T0_DpT1_,"axG",@progbits,_ZN2at6native12_GLOBAL__N_125multi_tensor_apply_kernelINS1_28TensorListScalarListMetadataIiLi2EEENS1_25BinaryOpScalarListFunctorIiLi2ELi1ELi1EEEJSt7dividesIiEEEEvT_T0_DpT1_,comdat
	.globl	_ZN2at6native12_GLOBAL__N_125multi_tensor_apply_kernelINS1_28TensorListScalarListMetadataIiLi2EEENS1_25BinaryOpScalarListFunctorIiLi2ELi1ELi1EEEJSt7dividesIiEEEEvT_T0_DpT1_ ; -- Begin function _ZN2at6native12_GLOBAL__N_125multi_tensor_apply_kernelINS1_28TensorListScalarListMetadataIiLi2EEENS1_25BinaryOpScalarListFunctorIiLi2ELi1ELi1EEEJSt7dividesIiEEEEvT_T0_DpT1_
	.p2align	8
	.type	_ZN2at6native12_GLOBAL__N_125multi_tensor_apply_kernelINS1_28TensorListScalarListMetadataIiLi2EEENS1_25BinaryOpScalarListFunctorIiLi2ELi1ELi1EEEJSt7dividesIiEEEEvT_T0_DpT1_,@function
_ZN2at6native12_GLOBAL__N_125multi_tensor_apply_kernelINS1_28TensorListScalarListMetadataIiLi2EEENS1_25BinaryOpScalarListFunctorIiLi2ELi1ELi1EEEJSt7dividesIiEEEEvT_T0_DpT1_: ; @_ZN2at6native12_GLOBAL__N_125multi_tensor_apply_kernelINS1_28TensorListScalarListMetadataIiLi2EEENS1_25BinaryOpScalarListFunctorIiLi2ELi1ELi1EEEJSt7dividesIiEEEEvT_T0_DpT1_
; %bb.0:
	v_mov_b32_e32 v1, s15
	s_add_u32 s2, s0, s15
	s_mul_hi_u32 s3, s15, 3
	s_mul_i32 s15, s15, 3
	s_addc_u32 s4, s1, 0
	global_load_u8 v1, v1, s[0:1] offset:1792
	s_add_u32 s2, s2, s15
	s_addc_u32 s3, s4, s3
	s_load_b32 s6, s[2:3], 0x840
	s_waitcnt lgkmcnt(0)
	s_ashr_i32 s7, s6, 31
	s_waitcnt vmcnt(0)
	v_readfirstlane_b32 s12, v1
	s_delay_alu instid0(VALU_DEP_1)
	s_lshl_b32 s8, s12, 3
	s_clause 0x2
	s_load_b64 s[2:3], s[0:1], s8 offset:0x0
	s_load_b64 s[4:5], s[0:1], s8 offset:0x200
	;; [unrolled: 1-line block ×3, first 2 shown]
	s_add_u32 s13, s0, s8
	s_addc_u32 s19, s1, 0
	s_lshl_b64 s[8:9], s[6:7], 18
	s_waitcnt lgkmcnt(0)
	s_add_u32 s14, s2, s8
	s_addc_u32 s15, s3, s9
	s_and_b32 s18, s14, 15
	s_add_u32 s16, s4, s8
	s_addc_u32 s17, s5, s9
	s_and_b32 s20, s10, 3
	s_and_b32 s21, s16, 15
	s_or_b32 s18, s18, s20
	s_lshl_b32 s20, s12, 2
	s_or_b32 s12, s21, s18
	s_sub_u32 s18, s13, s20
	s_subb_u32 s19, s19, 0
	s_lshl_b64 s[6:7], s[6:7], 16
	s_load_b32 s18, s[18:19], 0x600
	s_mov_b32 s13, 0
	s_sub_u32 s6, s10, s6
	s_subb_u32 s7, s11, s7
	s_cmp_eq_u64 s[12:13], 0
	s_mov_b32 s10, -1
	s_cbranch_scc1 .LBB62_21
; %bb.1:
	v_cmp_lt_i64_e64 s10, s[6:7], 1
	s_delay_alu instid0(VALU_DEP_1)
	s_and_b32 vcc_lo, exec_lo, s10
	s_cbranch_vccnz .LBB62_20
; %bb.2:
	s_load_b32 s10, s[0:1], 0xd54
	v_dual_mov_b32 v10, 0 :: v_dual_lshlrev_b32 v9, 2, v0
	v_cmp_gt_u64_e64 s11, 0x10000, s[6:7]
	s_delay_alu instid0(VALU_DEP_2) | instskip(NEXT) | instid1(VALU_DEP_1)
	v_add_co_u32 v1, s12, s2, v9
	v_add_co_ci_u32_e64 v2, null, s3, 0, s12
	v_add_co_u32 v3, s12, s4, v9
	s_delay_alu instid0(VALU_DEP_1)
	v_add_co_ci_u32_e64 v4, null, s5, 0, s12
	s_waitcnt lgkmcnt(0)
	s_and_b32 s12, s10, 0xffff
	s_and_b32 s10, s11, exec_lo
	s_cselect_b32 s11, s7, 0
	s_cselect_b32 s10, s6, 0x10000
	s_abs_i32 s19, s18
	v_mad_u64_u32 v[17:18], null, s12, 12, v[9:10]
	v_cvt_f32_u32_e32 v5, s19
	s_mul_i32 s21, s12, 3
	s_lshl_b32 s22, s12, 3
	v_add_co_u32 v7, s21, s21, v0
	s_delay_alu instid0(VALU_DEP_2) | instskip(SKIP_1) | instid1(VALU_DEP_1)
	v_rcp_iflag_f32_e32 v10, v5
	v_add_co_u32 v5, s23, v0, s12
	v_add_co_ci_u32_e64 v6, null, 0, 0, s23
	s_sub_i32 s23, 0, s19
	v_add_co_ci_u32_e64 v8, null, 0, 0, s21
	v_add_co_u32 v13, s21, s22, v9
	s_waitcnt_depctr 0xfff
	v_mul_f32_e32 v10, 0x4f7ffffe, v10
	v_add_co_ci_u32_e64 v14, null, 0, 0, s21
	v_add_co_u32 v11, vcc_lo, s2, v13
	s_delay_alu instid0(VALU_DEP_3) | instskip(SKIP_1) | instid1(VALU_DEP_4)
	v_cvt_u32_f32_e32 v19, v10
	v_lshlrev_b32_e32 v22, 2, v5
	v_add_co_ci_u32_e32 v12, vcc_lo, s3, v14, vcc_lo
	v_add_co_u32 v13, vcc_lo, s4, v13
	s_delay_alu instid0(VALU_DEP_4) | instskip(SKIP_4) | instid1(VALU_DEP_1)
	v_mul_lo_u32 v15, s23, v19
	v_add_co_ci_u32_e32 v14, vcc_lo, s5, v14, vcc_lo
	s_lshl_b32 s13, s12, 1
	s_lshl_b32 s20, s12, 2
	v_add_co_u32 v9, s13, s13, v0
	v_add_co_ci_u32_e64 v10, null, 0, 0, s13
	s_delay_alu instid0(VALU_DEP_4)
	v_mul_hi_u32 v20, v19, v15
	v_add_co_u32 v15, vcc_lo, s2, v17
	v_add_co_ci_u32_e32 v16, vcc_lo, s3, v18, vcc_lo
	v_add_co_u32 v17, vcc_lo, s4, v17
	v_add_co_ci_u32_e32 v18, vcc_lo, s5, v18, vcc_lo
	v_add_nc_u32_e32 v19, v19, v20
	v_add_co_u32 v20, s2, s2, v22
	s_delay_alu instid0(VALU_DEP_1) | instskip(SKIP_1) | instid1(VALU_DEP_1)
	v_add_co_ci_u32_e64 v21, null, s3, 0, s2
	v_add_co_u32 v22, s2, s4, v22
	v_add_co_ci_u32_e64 v23, null, s5, 0, s2
	s_ashr_i32 s21, s18, 31
	s_lshl_b32 s22, s12, 4
	s_mov_b64 s[12:13], 0
	s_branch .LBB62_4
.LBB62_3:                               ;   in Loop: Header=BB62_4 Depth=1
	s_or_b32 exec_lo, exec_lo, s2
	v_add_co_u32 v1, vcc_lo, v1, s22
	v_add_co_ci_u32_e32 v2, vcc_lo, 0, v2, vcc_lo
	v_add_co_u32 v3, vcc_lo, v3, s22
	v_add_co_ci_u32_e32 v4, vcc_lo, 0, v4, vcc_lo
	v_add_co_u32 v15, vcc_lo, v15, s22
	v_add_co_ci_u32_e32 v16, vcc_lo, 0, v16, vcc_lo
	v_add_co_u32 v17, vcc_lo, v17, s22
	v_add_co_ci_u32_e32 v18, vcc_lo, 0, v18, vcc_lo
	v_add_co_u32 v11, vcc_lo, v11, s22
	v_add_co_ci_u32_e32 v12, vcc_lo, 0, v12, vcc_lo
	s_add_u32 s12, s12, s20
	v_add_co_u32 v13, vcc_lo, v13, s22
	s_addc_u32 s13, s13, 0
	v_add_co_ci_u32_e32 v14, vcc_lo, 0, v14, vcc_lo
	v_cmp_lt_i64_e64 s2, s[12:13], s[6:7]
	v_cmp_gt_u64_e64 s3, 0x10000, s[12:13]
	v_add_co_u32 v20, vcc_lo, v20, s22
	v_add_co_ci_u32_e32 v21, vcc_lo, 0, v21, vcc_lo
	v_add_co_u32 v22, vcc_lo, v22, s22
	v_add_co_ci_u32_e32 v23, vcc_lo, 0, v23, vcc_lo
	s_and_b32 s2, s2, s3
	s_delay_alu instid0(SALU_CYCLE_1)
	s_and_b32 vcc_lo, exec_lo, s2
	s_cbranch_vccz .LBB62_20
.LBB62_4:                               ; =>This Inner Loop Header: Depth=1
	s_waitcnt vmcnt(0)
	v_add_co_u32 v24, s2, v0, s12
	s_delay_alu instid0(VALU_DEP_1) | instskip(SKIP_1) | instid1(VALU_DEP_2)
	v_add_co_ci_u32_e64 v25, null, 0, s13, s2
	v_mov_b32_e32 v27, 0
	v_cmp_gt_u64_e64 s4, s[10:11], v[24:25]
	s_delay_alu instid0(VALU_DEP_1)
	s_and_saveexec_b32 s2, s4
	s_cbranch_execz .LBB62_6
; %bb.5:                                ;   in Loop: Header=BB62_4 Depth=1
	v_add_co_u32 v24, vcc_lo, v1, s8
	v_add_co_ci_u32_e32 v25, vcc_lo, s9, v2, vcc_lo
	global_load_b32 v27, v[24:25], off
.LBB62_6:                               ;   in Loop: Header=BB62_4 Depth=1
	s_or_b32 exec_lo, exec_lo, s2
	v_add_co_u32 v24, vcc_lo, v5, s12
	v_add_co_ci_u32_e32 v25, vcc_lo, s13, v6, vcc_lo
	v_mov_b32_e32 v26, 0
	s_delay_alu instid0(VALU_DEP_2) | instskip(NEXT) | instid1(VALU_DEP_1)
	v_cmp_gt_u64_e64 s3, s[10:11], v[24:25]
	s_and_saveexec_b32 s2, s3
	s_cbranch_execz .LBB62_8
; %bb.7:                                ;   in Loop: Header=BB62_4 Depth=1
	v_add_co_u32 v24, vcc_lo, v20, s8
	v_add_co_ci_u32_e32 v25, vcc_lo, s9, v21, vcc_lo
	global_load_b32 v26, v[24:25], off
.LBB62_8:                               ;   in Loop: Header=BB62_4 Depth=1
	s_or_b32 exec_lo, exec_lo, s2
	v_add_co_u32 v24, vcc_lo, v9, s12
	v_add_co_ci_u32_e32 v25, vcc_lo, s13, v10, vcc_lo
	s_delay_alu instid0(VALU_DEP_1) | instskip(SKIP_1) | instid1(VALU_DEP_2)
	v_cmp_gt_u64_e64 s2, s[10:11], v[24:25]
	v_dual_mov_b32 v24, 0 :: v_dual_mov_b32 v25, 0
	s_and_saveexec_b32 s5, s2
	s_cbranch_execz .LBB62_10
; %bb.9:                                ;   in Loop: Header=BB62_4 Depth=1
	v_add_co_u32 v28, vcc_lo, v11, s8
	v_add_co_ci_u32_e32 v29, vcc_lo, s9, v12, vcc_lo
	global_load_b32 v25, v[28:29], off
.LBB62_10:                              ;   in Loop: Header=BB62_4 Depth=1
	s_or_b32 exec_lo, exec_lo, s5
	v_add_co_u32 v28, vcc_lo, v7, s12
	v_add_co_ci_u32_e32 v29, vcc_lo, s13, v8, vcc_lo
	s_delay_alu instid0(VALU_DEP_1)
	v_cmp_gt_u64_e32 vcc_lo, s[10:11], v[28:29]
	s_and_saveexec_b32 s23, vcc_lo
	s_cbranch_execnz .LBB62_15
; %bb.11:                               ;   in Loop: Header=BB62_4 Depth=1
	s_or_b32 exec_lo, exec_lo, s23
	s_and_saveexec_b32 s5, s4
	s_cbranch_execnz .LBB62_16
.LBB62_12:                              ;   in Loop: Header=BB62_4 Depth=1
	s_or_b32 exec_lo, exec_lo, s5
	s_and_saveexec_b32 s4, s3
	s_cbranch_execnz .LBB62_17
.LBB62_13:                              ;   in Loop: Header=BB62_4 Depth=1
	s_or_b32 exec_lo, exec_lo, s4
	s_and_saveexec_b32 s3, s2
	s_cbranch_execnz .LBB62_18
.LBB62_14:                              ;   in Loop: Header=BB62_4 Depth=1
	s_or_b32 exec_lo, exec_lo, s3
	s_and_saveexec_b32 s2, vcc_lo
	s_cbranch_execz .LBB62_3
	s_branch .LBB62_19
.LBB62_15:                              ;   in Loop: Header=BB62_4 Depth=1
	v_add_co_u32 v28, s5, v15, s8
	s_delay_alu instid0(VALU_DEP_1)
	v_add_co_ci_u32_e64 v29, s5, s9, v16, s5
	global_load_b32 v24, v[28:29], off
	s_or_b32 exec_lo, exec_lo, s23
	s_and_saveexec_b32 s5, s4
	s_cbranch_execz .LBB62_12
.LBB62_16:                              ;   in Loop: Header=BB62_4 Depth=1
	s_waitcnt vmcnt(0)
	v_sub_nc_u32_e32 v28, 0, v27
	s_delay_alu instid0(VALU_DEP_1) | instskip(SKIP_1) | instid1(VALU_DEP_2)
	v_max_i32_e32 v28, v27, v28
	v_ashrrev_i32_e32 v27, 31, v27
	v_mul_hi_u32 v29, v28, v19
	s_delay_alu instid0(VALU_DEP_1) | instskip(NEXT) | instid1(VALU_DEP_1)
	v_mul_lo_u32 v30, v29, s19
	v_sub_nc_u32_e32 v28, v28, v30
	v_add_nc_u32_e32 v30, 1, v29
	s_delay_alu instid0(VALU_DEP_2) | instskip(SKIP_1) | instid1(VALU_DEP_1)
	v_subrev_nc_u32_e32 v31, s19, v28
	v_cmp_le_u32_e64 s4, s19, v28
	v_cndmask_b32_e64 v29, v29, v30, s4
	s_delay_alu instid0(VALU_DEP_3) | instskip(SKIP_1) | instid1(VALU_DEP_3)
	v_cndmask_b32_e64 v28, v28, v31, s4
	v_xor_b32_e32 v31, s21, v27
	v_add_nc_u32_e32 v30, 1, v29
	s_delay_alu instid0(VALU_DEP_3) | instskip(NEXT) | instid1(VALU_DEP_1)
	v_cmp_le_u32_e64 s4, s19, v28
	v_cndmask_b32_e64 v27, v29, v30, s4
	s_delay_alu instid0(VALU_DEP_1) | instskip(SKIP_1) | instid1(VALU_DEP_1)
	v_xor_b32_e32 v29, v27, v31
	v_add_co_u32 v27, s4, v3, s8
	v_add_co_ci_u32_e64 v28, s4, s9, v4, s4
	s_delay_alu instid0(VALU_DEP_3)
	v_sub_nc_u32_e32 v29, v29, v31
	global_store_b32 v[27:28], v29, off
	s_or_b32 exec_lo, exec_lo, s5
	s_and_saveexec_b32 s4, s3
	s_cbranch_execz .LBB62_13
.LBB62_17:                              ;   in Loop: Header=BB62_4 Depth=1
	s_waitcnt vmcnt(0)
	v_sub_nc_u32_e32 v27, 0, v26
	s_delay_alu instid0(VALU_DEP_1) | instskip(SKIP_1) | instid1(VALU_DEP_2)
	v_max_i32_e32 v27, v26, v27
	v_ashrrev_i32_e32 v26, 31, v26
	v_mul_hi_u32 v28, v27, v19
	s_delay_alu instid0(VALU_DEP_2) | instskip(NEXT) | instid1(VALU_DEP_2)
	v_xor_b32_e32 v26, s21, v26
	v_mul_lo_u32 v29, v28, s19
	s_delay_alu instid0(VALU_DEP_1) | instskip(SKIP_1) | instid1(VALU_DEP_2)
	v_sub_nc_u32_e32 v27, v27, v29
	v_add_nc_u32_e32 v29, 1, v28
	v_subrev_nc_u32_e32 v30, s19, v27
	v_cmp_le_u32_e64 s3, s19, v27
	s_delay_alu instid0(VALU_DEP_1) | instskip(NEXT) | instid1(VALU_DEP_3)
	v_cndmask_b32_e64 v28, v28, v29, s3
	v_cndmask_b32_e64 v27, v27, v30, s3
	s_delay_alu instid0(VALU_DEP_2) | instskip(NEXT) | instid1(VALU_DEP_2)
	v_add_nc_u32_e32 v29, 1, v28
	v_cmp_le_u32_e64 s3, s19, v27
	s_delay_alu instid0(VALU_DEP_1) | instskip(NEXT) | instid1(VALU_DEP_1)
	v_cndmask_b32_e64 v27, v28, v29, s3
	v_xor_b32_e32 v27, v27, v26
	s_delay_alu instid0(VALU_DEP_1) | instskip(SKIP_1) | instid1(VALU_DEP_1)
	v_sub_nc_u32_e32 v28, v27, v26
	v_add_co_u32 v26, s3, v22, s8
	v_add_co_ci_u32_e64 v27, s3, s9, v23, s3
	global_store_b32 v[26:27], v28, off
	s_or_b32 exec_lo, exec_lo, s4
	s_and_saveexec_b32 s3, s2
	s_cbranch_execz .LBB62_14
.LBB62_18:                              ;   in Loop: Header=BB62_4 Depth=1
	s_waitcnt vmcnt(0)
	v_sub_nc_u32_e32 v26, 0, v25
	s_delay_alu instid0(VALU_DEP_1) | instskip(SKIP_1) | instid1(VALU_DEP_2)
	v_max_i32_e32 v26, v25, v26
	v_ashrrev_i32_e32 v25, 31, v25
	v_mul_hi_u32 v27, v26, v19
	s_delay_alu instid0(VALU_DEP_2) | instskip(NEXT) | instid1(VALU_DEP_2)
	v_xor_b32_e32 v25, s21, v25
	v_mul_lo_u32 v28, v27, s19
	s_delay_alu instid0(VALU_DEP_1) | instskip(SKIP_1) | instid1(VALU_DEP_2)
	v_sub_nc_u32_e32 v26, v26, v28
	v_add_nc_u32_e32 v28, 1, v27
	v_subrev_nc_u32_e32 v29, s19, v26
	v_cmp_le_u32_e64 s2, s19, v26
	s_delay_alu instid0(VALU_DEP_1) | instskip(NEXT) | instid1(VALU_DEP_3)
	v_cndmask_b32_e64 v27, v27, v28, s2
	v_cndmask_b32_e64 v26, v26, v29, s2
	s_delay_alu instid0(VALU_DEP_2) | instskip(NEXT) | instid1(VALU_DEP_2)
	v_add_nc_u32_e32 v28, 1, v27
	v_cmp_le_u32_e64 s2, s19, v26
	s_delay_alu instid0(VALU_DEP_1) | instskip(NEXT) | instid1(VALU_DEP_1)
	v_cndmask_b32_e64 v26, v27, v28, s2
	v_xor_b32_e32 v26, v26, v25
	s_delay_alu instid0(VALU_DEP_1) | instskip(SKIP_1) | instid1(VALU_DEP_1)
	v_sub_nc_u32_e32 v27, v26, v25
	v_add_co_u32 v25, s2, v13, s8
	v_add_co_ci_u32_e64 v26, s2, s9, v14, s2
	global_store_b32 v[25:26], v27, off
	s_or_b32 exec_lo, exec_lo, s3
	s_and_saveexec_b32 s2, vcc_lo
	s_cbranch_execz .LBB62_3
.LBB62_19:                              ;   in Loop: Header=BB62_4 Depth=1
	s_waitcnt vmcnt(0)
	v_sub_nc_u32_e32 v25, 0, v24
	s_delay_alu instid0(VALU_DEP_1) | instskip(SKIP_1) | instid1(VALU_DEP_2)
	v_max_i32_e32 v25, v24, v25
	v_ashrrev_i32_e32 v24, 31, v24
	v_mul_hi_u32 v26, v25, v19
	s_delay_alu instid0(VALU_DEP_2) | instskip(NEXT) | instid1(VALU_DEP_2)
	v_xor_b32_e32 v24, s21, v24
	v_mul_lo_u32 v27, v26, s19
	s_delay_alu instid0(VALU_DEP_1) | instskip(SKIP_1) | instid1(VALU_DEP_2)
	v_sub_nc_u32_e32 v25, v25, v27
	v_add_nc_u32_e32 v27, 1, v26
	v_subrev_nc_u32_e32 v28, s19, v25
	v_cmp_le_u32_e32 vcc_lo, s19, v25
	s_delay_alu instid0(VALU_DEP_2) | instskip(NEXT) | instid1(VALU_DEP_1)
	v_dual_cndmask_b32 v26, v26, v27 :: v_dual_cndmask_b32 v25, v25, v28
	v_add_nc_u32_e32 v27, 1, v26
	s_delay_alu instid0(VALU_DEP_2) | instskip(NEXT) | instid1(VALU_DEP_2)
	v_cmp_le_u32_e32 vcc_lo, s19, v25
	v_cndmask_b32_e32 v25, v26, v27, vcc_lo
	s_delay_alu instid0(VALU_DEP_1) | instskip(NEXT) | instid1(VALU_DEP_1)
	v_xor_b32_e32 v25, v25, v24
	v_sub_nc_u32_e32 v26, v25, v24
	v_add_co_u32 v24, vcc_lo, v17, s8
	v_add_co_ci_u32_e32 v25, vcc_lo, s9, v18, vcc_lo
	global_store_b32 v[24:25], v26, off
	s_branch .LBB62_3
.LBB62_20:
	s_mov_b32 s10, 0
.LBB62_21:
	s_delay_alu instid0(SALU_CYCLE_1)
	s_and_not1_b32 vcc_lo, exec_lo, s10
	s_cbranch_vccnz .LBB62_25
; %bb.22:
	v_dual_mov_b32 v2, 0 :: v_dual_lshlrev_b32 v1, 2, v0
	s_mov_b32 s3, 0
	s_mov_b32 s2, exec_lo
	s_delay_alu instid0(VALU_DEP_1)
	v_cmpx_gt_i64_e64 s[6:7], v[1:2]
	s_cbranch_execz .LBB62_25
; %bb.23:
	s_waitcnt lgkmcnt(0)
	s_abs_i32 s4, s18
	s_load_b32 s0, s[0:1], 0xd54
	v_cvt_f32_u32_e32 v1, s4
	s_sub_i32 s1, 0, s4
	s_ashr_i32 s5, s18, 31
	s_delay_alu instid0(VALU_DEP_1) | instskip(SKIP_4) | instid1(VALU_DEP_1)
	v_rcp_iflag_f32_e32 v1, v1
	s_waitcnt_depctr 0xfff
	v_mul_f32_e32 v1, 0x4f7ffffe, v1
	s_waitcnt lgkmcnt(0)
	s_and_b32 s0, s0, 0xffff
	v_cvt_u32_f32_e32 v3, v1
	s_lshl_b32 s8, s0, 2
	s_lshl_b32 s9, s0, 4
	s_delay_alu instid0(VALU_DEP_1) | instskip(NEXT) | instid1(VALU_DEP_1)
	v_mul_lo_u32 v1, s1, v3
	v_mul_hi_u32 v4, v3, v1
	v_add_lshl_u32 v1, v0, s0, 2
	v_lshlrev_b32_e32 v0, 4, v0
	s_delay_alu instid0(VALU_DEP_3)
	v_add_nc_u32_e32 v3, v3, v4
.LBB62_24:                              ; =>This Inner Loop Header: Depth=1
	s_delay_alu instid0(VALU_DEP_2) | instskip(NEXT) | instid1(VALU_DEP_1)
	v_add_co_u32 v4, s0, s14, v0
	v_add_co_ci_u32_e64 v5, null, s15, 0, s0
	v_cmp_le_i64_e32 vcc_lo, s[6:7], v[1:2]
	v_cmp_lt_u64_e64 s0, 0xffff, v[1:2]
	v_add_co_u32 v8, s1, s16, v0
	global_load_b128 v[4:7], v[4:5], off
	v_add_co_ci_u32_e64 v9, null, s17, 0, s1
	s_or_b32 s10, vcc_lo, s0
	v_add_co_u32 v1, s1, v1, s8
	s_delay_alu instid0(VALU_DEP_1)
	v_add_co_ci_u32_e64 v2, s1, 0, v2, s1
	s_add_u32 s14, s14, s9
	s_addc_u32 s15, s15, 0
	s_add_u32 s16, s16, s9
	s_addc_u32 s17, s17, 0
	s_waitcnt vmcnt(0)
	v_sub_nc_u32_e32 v11, 0, v4
	v_sub_nc_u32_e32 v13, 0, v5
	v_ashrrev_i32_e32 v10, 31, v4
	v_ashrrev_i32_e32 v12, 31, v5
	;; [unrolled: 1-line block ×3, first 2 shown]
	v_sub_nc_u32_e32 v15, 0, v6
	v_max_i32_e32 v4, v4, v11
	v_max_i32_e32 v5, v5, v13
	v_ashrrev_i32_e32 v16, 31, v7
	v_xor_b32_e32 v11, s5, v12
	v_xor_b32_e32 v12, s5, v14
	v_max_i32_e32 v6, v6, v15
	v_mul_hi_u32 v14, v4, v3
	v_mul_hi_u32 v15, v5, v3
	v_sub_nc_u32_e32 v17, 0, v7
	v_xor_b32_e32 v13, s5, v16
	v_mul_hi_u32 v16, v6, v3
	v_xor_b32_e32 v10, s5, v10
	s_delay_alu instid0(VALU_DEP_4) | instskip(SKIP_3) | instid1(VALU_DEP_4)
	v_max_i32_e32 v7, v7, v17
	v_mul_lo_u32 v18, v14, s4
	v_mul_lo_u32 v20, v15, s4
	;; [unrolled: 1-line block ×3, first 2 shown]
	v_mul_hi_u32 v17, v7, v3
	s_delay_alu instid0(VALU_DEP_4) | instskip(NEXT) | instid1(VALU_DEP_4)
	v_sub_nc_u32_e32 v4, v4, v18
	v_sub_nc_u32_e32 v5, v5, v20
	s_delay_alu instid0(VALU_DEP_4) | instskip(NEXT) | instid1(VALU_DEP_3)
	v_sub_nc_u32_e32 v6, v6, v21
	v_cmp_le_u32_e32 vcc_lo, s4, v4
	v_subrev_nc_u32_e32 v18, s4, v4
	v_add_nc_u32_e32 v23, 1, v15
	v_cmp_le_u32_e64 s0, s4, v5
	v_mul_lo_u32 v22, v17, s4
	v_cmp_le_u32_e64 s1, s4, v6
	v_cndmask_b32_e32 v4, v4, v18, vcc_lo
	v_subrev_nc_u32_e32 v20, s4, v6
	v_cndmask_b32_e64 v15, v15, v23, s0
	v_add_nc_u32_e32 v24, 1, v16
	v_sub_nc_u32_e32 v7, v7, v22
	s_delay_alu instid0(VALU_DEP_4) | instskip(NEXT) | instid1(VALU_DEP_3)
	v_cndmask_b32_e64 v6, v6, v20, s1
	v_cndmask_b32_e64 v16, v16, v24, s1
	s_delay_alu instid0(VALU_DEP_3) | instskip(SKIP_1) | instid1(VALU_DEP_3)
	v_cmp_le_u32_e64 s2, s4, v7
	v_subrev_nc_u32_e32 v21, s4, v7
	v_add_nc_u32_e32 v20, 1, v16
	v_add_nc_u32_e32 v19, 1, v14
	;; [unrolled: 1-line block ×3, first 2 shown]
	s_delay_alu instid0(VALU_DEP_4) | instskip(NEXT) | instid1(VALU_DEP_3)
	v_cndmask_b32_e64 v7, v7, v21, s2
	v_cndmask_b32_e32 v14, v14, v19, vcc_lo
	v_subrev_nc_u32_e32 v19, s4, v5
	s_delay_alu instid0(VALU_DEP_4) | instskip(SKIP_1) | instid1(VALU_DEP_3)
	v_cndmask_b32_e64 v17, v17, v25, s2
	v_cmp_le_u32_e32 vcc_lo, s4, v4
	v_cndmask_b32_e64 v5, v5, v19, s0
	s_delay_alu instid0(VALU_DEP_3) | instskip(SKIP_3) | instid1(SALU_CYCLE_1)
	v_add_nc_u32_e32 v21, 1, v17
	v_add_nc_u32_e32 v18, 1, v14
	;; [unrolled: 1-line block ×3, first 2 shown]
	s_and_b32 s0, exec_lo, s10
	s_or_b32 s3, s0, s3
	s_delay_alu instid0(VALU_DEP_2) | instskip(SKIP_1) | instid1(VALU_DEP_2)
	v_cndmask_b32_e32 v4, v14, v18, vcc_lo
	v_cmp_le_u32_e32 vcc_lo, s4, v5
	v_xor_b32_e32 v4, v4, v10
	v_cndmask_b32_e32 v5, v15, v19, vcc_lo
	v_cmp_le_u32_e32 vcc_lo, s4, v6
	s_delay_alu instid0(VALU_DEP_3) | instskip(NEXT) | instid1(VALU_DEP_3)
	v_sub_nc_u32_e32 v4, v4, v10
	v_xor_b32_e32 v5, v5, v11
	v_cndmask_b32_e32 v6, v16, v20, vcc_lo
	v_cmp_le_u32_e32 vcc_lo, s4, v7
	s_delay_alu instid0(VALU_DEP_3) | instskip(NEXT) | instid1(VALU_DEP_3)
	v_sub_nc_u32_e32 v5, v5, v11
	v_xor_b32_e32 v6, v6, v12
	v_cndmask_b32_e32 v7, v17, v21, vcc_lo
	s_delay_alu instid0(VALU_DEP_2) | instskip(NEXT) | instid1(VALU_DEP_2)
	v_sub_nc_u32_e32 v6, v6, v12
	v_xor_b32_e32 v7, v7, v13
	s_delay_alu instid0(VALU_DEP_1)
	v_sub_nc_u32_e32 v7, v7, v13
	global_store_b128 v[8:9], v[4:7], off
	s_and_not1_b32 exec_lo, exec_lo, s3
	s_cbranch_execnz .LBB62_24
.LBB62_25:
	s_nop 0
	s_sendmsg sendmsg(MSG_DEALLOC_VGPRS)
	s_endpgm
	.section	.rodata,"a",@progbits
	.p2align	6, 0x0
	.amdhsa_kernel _ZN2at6native12_GLOBAL__N_125multi_tensor_apply_kernelINS1_28TensorListScalarListMetadataIiLi2EEENS1_25BinaryOpScalarListFunctorIiLi2ELi1ELi1EEEJSt7dividesIiEEEEvT_T0_DpT1_
		.amdhsa_group_segment_fixed_size 0
		.amdhsa_private_segment_fixed_size 0
		.amdhsa_kernarg_size 3656
		.amdhsa_user_sgpr_count 15
		.amdhsa_user_sgpr_dispatch_ptr 0
		.amdhsa_user_sgpr_queue_ptr 0
		.amdhsa_user_sgpr_kernarg_segment_ptr 1
		.amdhsa_user_sgpr_dispatch_id 0
		.amdhsa_user_sgpr_private_segment_size 0
		.amdhsa_wavefront_size32 1
		.amdhsa_uses_dynamic_stack 0
		.amdhsa_enable_private_segment 0
		.amdhsa_system_sgpr_workgroup_id_x 1
		.amdhsa_system_sgpr_workgroup_id_y 0
		.amdhsa_system_sgpr_workgroup_id_z 0
		.amdhsa_system_sgpr_workgroup_info 0
		.amdhsa_system_vgpr_workitem_id 0
		.amdhsa_next_free_vgpr 32
		.amdhsa_next_free_sgpr 24
		.amdhsa_reserve_vcc 1
		.amdhsa_float_round_mode_32 0
		.amdhsa_float_round_mode_16_64 0
		.amdhsa_float_denorm_mode_32 3
		.amdhsa_float_denorm_mode_16_64 3
		.amdhsa_dx10_clamp 1
		.amdhsa_ieee_mode 1
		.amdhsa_fp16_overflow 0
		.amdhsa_workgroup_processor_mode 1
		.amdhsa_memory_ordered 1
		.amdhsa_forward_progress 0
		.amdhsa_shared_vgpr_count 0
		.amdhsa_exception_fp_ieee_invalid_op 0
		.amdhsa_exception_fp_denorm_src 0
		.amdhsa_exception_fp_ieee_div_zero 0
		.amdhsa_exception_fp_ieee_overflow 0
		.amdhsa_exception_fp_ieee_underflow 0
		.amdhsa_exception_fp_ieee_inexact 0
		.amdhsa_exception_int_div_zero 0
	.end_amdhsa_kernel
	.section	.text._ZN2at6native12_GLOBAL__N_125multi_tensor_apply_kernelINS1_28TensorListScalarListMetadataIiLi2EEENS1_25BinaryOpScalarListFunctorIiLi2ELi1ELi1EEEJSt7dividesIiEEEEvT_T0_DpT1_,"axG",@progbits,_ZN2at6native12_GLOBAL__N_125multi_tensor_apply_kernelINS1_28TensorListScalarListMetadataIiLi2EEENS1_25BinaryOpScalarListFunctorIiLi2ELi1ELi1EEEJSt7dividesIiEEEEvT_T0_DpT1_,comdat
.Lfunc_end62:
	.size	_ZN2at6native12_GLOBAL__N_125multi_tensor_apply_kernelINS1_28TensorListScalarListMetadataIiLi2EEENS1_25BinaryOpScalarListFunctorIiLi2ELi1ELi1EEEJSt7dividesIiEEEEvT_T0_DpT1_, .Lfunc_end62-_ZN2at6native12_GLOBAL__N_125multi_tensor_apply_kernelINS1_28TensorListScalarListMetadataIiLi2EEENS1_25BinaryOpScalarListFunctorIiLi2ELi1ELi1EEEJSt7dividesIiEEEEvT_T0_DpT1_
                                        ; -- End function
	.section	.AMDGPU.csdata,"",@progbits
; Kernel info:
; codeLenInByte = 2344
; NumSgprs: 26
; NumVgprs: 32
; ScratchSize: 0
; MemoryBound: 0
; FloatMode: 240
; IeeeMode: 1
; LDSByteSize: 0 bytes/workgroup (compile time only)
; SGPRBlocks: 3
; VGPRBlocks: 3
; NumSGPRsForWavesPerEU: 26
; NumVGPRsForWavesPerEU: 32
; Occupancy: 16
; WaveLimiterHint : 0
; COMPUTE_PGM_RSRC2:SCRATCH_EN: 0
; COMPUTE_PGM_RSRC2:USER_SGPR: 15
; COMPUTE_PGM_RSRC2:TRAP_HANDLER: 0
; COMPUTE_PGM_RSRC2:TGID_X_EN: 1
; COMPUTE_PGM_RSRC2:TGID_Y_EN: 0
; COMPUTE_PGM_RSRC2:TGID_Z_EN: 0
; COMPUTE_PGM_RSRC2:TIDIG_COMP_CNT: 0
	.section	.text._ZN2at6native12_GLOBAL__N_125multi_tensor_apply_kernelINS1_28TensorListScalarListMetadataIlLi2EEENS1_25BinaryOpScalarListFunctorIlLi2ELi1ELi1EEEJSt7dividesIlEEEEvT_T0_DpT1_,"axG",@progbits,_ZN2at6native12_GLOBAL__N_125multi_tensor_apply_kernelINS1_28TensorListScalarListMetadataIlLi2EEENS1_25BinaryOpScalarListFunctorIlLi2ELi1ELi1EEEJSt7dividesIlEEEEvT_T0_DpT1_,comdat
	.globl	_ZN2at6native12_GLOBAL__N_125multi_tensor_apply_kernelINS1_28TensorListScalarListMetadataIlLi2EEENS1_25BinaryOpScalarListFunctorIlLi2ELi1ELi1EEEJSt7dividesIlEEEEvT_T0_DpT1_ ; -- Begin function _ZN2at6native12_GLOBAL__N_125multi_tensor_apply_kernelINS1_28TensorListScalarListMetadataIlLi2EEENS1_25BinaryOpScalarListFunctorIlLi2ELi1ELi1EEEJSt7dividesIlEEEEvT_T0_DpT1_
	.p2align	8
	.type	_ZN2at6native12_GLOBAL__N_125multi_tensor_apply_kernelINS1_28TensorListScalarListMetadataIlLi2EEENS1_25BinaryOpScalarListFunctorIlLi2ELi1ELi1EEEJSt7dividesIlEEEEvT_T0_DpT1_,@function
_ZN2at6native12_GLOBAL__N_125multi_tensor_apply_kernelINS1_28TensorListScalarListMetadataIlLi2EEENS1_25BinaryOpScalarListFunctorIlLi2ELi1ELi1EEEJSt7dividesIlEEEEvT_T0_DpT1_: ; @_ZN2at6native12_GLOBAL__N_125multi_tensor_apply_kernelINS1_28TensorListScalarListMetadataIlLi2EEENS1_25BinaryOpScalarListFunctorIlLi2ELi1ELi1EEEJSt7dividesIlEEEEvT_T0_DpT1_
; %bb.0:
	v_mov_b32_e32 v1, s15
	s_add_u32 s2, s0, s15
	s_mul_hi_u32 s3, s15, 3
	s_mul_i32 s15, s15, 3
	s_addc_u32 s4, s1, 0
	global_load_u8 v1, v1, s[0:1] offset:2048
	s_add_u32 s2, s2, s15
	s_addc_u32 s3, s4, s3
	s_mov_b32 s15, 0
	s_load_b32 s6, s[2:3], 0x940
	s_mov_b32 s17, s15
	s_mov_b32 s19, s15
	s_waitcnt vmcnt(0)
	v_readfirstlane_b32 s2, v1
	s_delay_alu instid0(VALU_DEP_1)
	s_lshl_b32 s7, s2, 3
	s_clause 0x3
	s_load_b64 s[2:3], s[0:1], s7 offset:0x0
	s_load_b64 s[8:9], s[0:1], s7 offset:0x600
	;; [unrolled: 1-line block ×4, first 2 shown]
	s_waitcnt lgkmcnt(0)
	s_ashr_i32 s7, s6, 31
	s_delay_alu instid0(SALU_CYCLE_1) | instskip(NEXT) | instid1(SALU_CYCLE_1)
	s_lshl_b64 s[12:13], s[6:7], 19
	s_add_u32 s22, s2, s12
	s_addc_u32 s23, s3, s13
	s_and_b32 s14, s22, 31
	s_add_u32 s24, s4, s12
	s_addc_u32 s25, s5, s13
	s_and_b32 s16, s10, 3
	s_and_b32 s18, s24, 31
	s_or_b64 s[14:15], s[14:15], s[16:17]
	s_lshl_b64 s[6:7], s[6:7], 16
	s_or_b64 s[14:15], s[18:19], s[14:15]
	s_sub_u32 s10, s10, s6
	s_subb_u32 s11, s11, s7
	s_cmp_eq_u64 s[14:15], 0
	s_mov_b32 s6, -1
	s_cbranch_scc1 .LBB63_37
; %bb.1:
	v_cmp_lt_i64_e64 s6, s[10:11], 1
	s_delay_alu instid0(VALU_DEP_1)
	s_and_b32 vcc_lo, exec_lo, s6
	s_cbranch_vccnz .LBB63_36
; %bb.2:
	s_load_b32 s6, s[0:1], 0xe54
	v_dual_mov_b32 v1, 0 :: v_dual_lshlrev_b32 v2, 3, v0
	v_cmp_gt_u64_e64 s7, 0x10000, s[10:11]
	s_delay_alu instid0(VALU_DEP_2) | instskip(NEXT) | instid1(VALU_DEP_3)
	v_mov_b32_e32 v3, v1
	v_add_co_u32 v13, s14, s2, v2
	s_delay_alu instid0(VALU_DEP_1) | instskip(SKIP_1) | instid1(VALU_DEP_1)
	v_add_co_ci_u32_e64 v14, null, s3, 0, s14
	v_add_co_u32 v15, s14, s4, v2
	v_add_co_ci_u32_e64 v16, null, s5, 0, s14
	s_waitcnt lgkmcnt(0)
	s_and_b32 s6, s6, 0xffff
	s_and_b32 s7, s7, exec_lo
	v_mad_u64_u32 v[4:5], null, s6, 24, v[2:3]
	s_cselect_b32 s15, s11, 0
	s_cselect_b32 s14, s10, 0x10000
	s_lshl_b32 s17, s6, 4
	s_lshl_b32 s7, s6, 1
	v_add_co_u32 v2, s17, s17, v2
	s_delay_alu instid0(VALU_DEP_2) | instskip(NEXT) | instid1(VALU_DEP_3)
	v_add_co_u32 v17, vcc_lo, s2, v4
	v_add_co_ci_u32_e32 v18, vcc_lo, s3, v5, vcc_lo
	v_add_co_u32 v19, vcc_lo, s4, v4
	v_add_co_ci_u32_e64 v3, null, 0, 0, s17
	s_mul_i32 s16, s6, 3
	s_lshl_b32 s26, s6, 2
	s_lshl_b32 s27, s6, 5
	v_add_co_u32 v25, s6, v0, s6
	v_add_co_ci_u32_e32 v20, vcc_lo, s5, v5, vcc_lo
	v_add_co_u32 v23, vcc_lo, s2, v2
	v_add_co_ci_u32_e32 v24, vcc_lo, s3, v3, vcc_lo
	v_add_co_u32 v26, vcc_lo, s4, v2
	v_lshlrev_b32_e32 v2, 3, v25
	v_add_co_u32 v21, s16, s16, v0
	v_add_co_ci_u32_e64 v28, null, 0, 0, s6
	s_delay_alu instid0(VALU_DEP_3)
	v_add_co_u32 v31, s2, s2, v2
	v_add_co_u32 v29, s6, s7, v0
	v_add_co_ci_u32_e64 v32, null, s3, 0, s2
	v_add_co_u32 v33, s2, s4, v2
	v_add_co_ci_u32_e64 v22, null, 0, 0, s16
	v_add_co_ci_u32_e32 v27, vcc_lo, s5, v3, vcc_lo
	v_add_co_ci_u32_e64 v30, null, 0, 0, s6
	v_add_co_ci_u32_e64 v34, null, s5, 0, s2
	s_mov_b64 s[16:17], 0
	s_ashr_i32 s18, s9, 31
	s_sub_i32 s28, 0, s8
	s_branch .LBB63_4
.LBB63_3:                               ;   in Loop: Header=BB63_4 Depth=1
	s_or_b32 exec_lo, exec_lo, s2
	v_add_co_u32 v13, vcc_lo, v13, s27
	v_add_co_ci_u32_e32 v14, vcc_lo, 0, v14, vcc_lo
	v_add_co_u32 v15, vcc_lo, v15, s27
	v_add_co_ci_u32_e32 v16, vcc_lo, 0, v16, vcc_lo
	;; [unrolled: 2-line block ×5, first 2 shown]
	s_add_u32 s16, s16, s26
	v_add_co_u32 v26, vcc_lo, v26, s27
	s_addc_u32 s17, s17, 0
	v_add_co_ci_u32_e32 v27, vcc_lo, 0, v27, vcc_lo
	v_cmp_lt_i64_e64 s2, s[16:17], s[10:11]
	v_cmp_gt_u64_e64 s3, 0x10000, s[16:17]
	v_add_co_u32 v31, vcc_lo, v31, s27
	v_add_co_ci_u32_e32 v32, vcc_lo, 0, v32, vcc_lo
	v_add_co_u32 v33, vcc_lo, v33, s27
	v_add_co_ci_u32_e32 v34, vcc_lo, 0, v34, vcc_lo
	s_and_b32 s2, s2, s3
	s_delay_alu instid0(SALU_CYCLE_1)
	s_and_b32 vcc_lo, exec_lo, s2
	s_cbranch_vccz .LBB63_36
.LBB63_4:                               ; =>This Inner Loop Header: Depth=1
	v_add_co_u32 v2, s2, v0, s16
	s_delay_alu instid0(VALU_DEP_1) | instskip(SKIP_2) | instid1(VALU_DEP_3)
	v_add_co_ci_u32_e64 v3, null, 0, s17, s2
	v_mov_b32_e32 v9, 0
	v_mov_b32_e32 v10, 0
	v_cmp_gt_u64_e64 s5, s[14:15], v[2:3]
	s_delay_alu instid0(VALU_DEP_2) | instskip(NEXT) | instid1(VALU_DEP_2)
	v_dual_mov_b32 v3, v9 :: v_dual_mov_b32 v4, v10
	s_and_saveexec_b32 s2, s5
	s_cbranch_execz .LBB63_6
; %bb.5:                                ;   in Loop: Header=BB63_4 Depth=1
	v_add_co_u32 v2, vcc_lo, v13, s12
	v_add_co_ci_u32_e32 v3, vcc_lo, s13, v14, vcc_lo
	global_load_b64 v[3:4], v[2:3], off
.LBB63_6:                               ;   in Loop: Header=BB63_4 Depth=1
	s_or_b32 exec_lo, exec_lo, s2
	v_add_co_u32 v5, vcc_lo, v25, s16
	v_add_co_ci_u32_e32 v6, vcc_lo, s17, v28, vcc_lo
	s_delay_alu instid0(VALU_DEP_1) | instskip(NEXT) | instid1(VALU_DEP_1)
	v_cmp_gt_u64_e64 s2, s[14:15], v[5:6]
	s_and_saveexec_b32 s3, s2
	s_cbranch_execz .LBB63_8
; %bb.7:                                ;   in Loop: Header=BB63_4 Depth=1
	v_add_co_u32 v5, vcc_lo, v31, s12
	v_add_co_ci_u32_e32 v6, vcc_lo, s13, v32, vcc_lo
	global_load_b64 v[9:10], v[5:6], off
.LBB63_8:                               ;   in Loop: Header=BB63_4 Depth=1
	s_or_b32 exec_lo, exec_lo, s3
	v_add_co_u32 v5, vcc_lo, v29, s16
	v_add_co_ci_u32_e32 v6, vcc_lo, s17, v30, vcc_lo
	v_mov_b32_e32 v7, 0
	v_mov_b32_e32 v8, 0
	s_delay_alu instid0(VALU_DEP_3) | instskip(NEXT) | instid1(VALU_DEP_2)
	v_cmp_gt_u64_e64 s3, s[14:15], v[5:6]
	v_dual_mov_b32 v12, v8 :: v_dual_mov_b32 v11, v7
	s_delay_alu instid0(VALU_DEP_2)
	s_and_saveexec_b32 s4, s3
	s_cbranch_execz .LBB63_10
; %bb.9:                                ;   in Loop: Header=BB63_4 Depth=1
	v_add_co_u32 v5, vcc_lo, v23, s12
	v_add_co_ci_u32_e32 v6, vcc_lo, s13, v24, vcc_lo
	global_load_b64 v[11:12], v[5:6], off
.LBB63_10:                              ;   in Loop: Header=BB63_4 Depth=1
	s_or_b32 exec_lo, exec_lo, s4
	v_add_co_u32 v5, vcc_lo, v21, s16
	v_add_co_ci_u32_e32 v6, vcc_lo, s17, v22, vcc_lo
	s_delay_alu instid0(VALU_DEP_1) | instskip(NEXT) | instid1(VALU_DEP_1)
	v_cmp_gt_u64_e64 s4, s[14:15], v[5:6]
	s_and_saveexec_b32 s6, s4
	s_cbranch_execz .LBB63_12
; %bb.11:                               ;   in Loop: Header=BB63_4 Depth=1
	v_add_co_u32 v5, vcc_lo, v17, s12
	v_add_co_ci_u32_e32 v6, vcc_lo, s13, v18, vcc_lo
	global_load_b64 v[7:8], v[5:6], off
.LBB63_12:                              ;   in Loop: Header=BB63_4 Depth=1
	s_or_b32 exec_lo, exec_lo, s6
	s_waitcnt vmcnt(0)
	v_or_b32_e32 v2, s9, v10
                                        ; implicit-def: $vgpr5_vgpr6
	s_mov_b32 s6, exec_lo
	s_delay_alu instid0(VALU_DEP_1)
	v_cmpx_ne_u64_e32 0, v[1:2]
	s_xor_b32 s7, exec_lo, s6
	s_cbranch_execz .LBB63_14
; %bb.13:                               ;   in Loop: Header=BB63_4 Depth=1
	s_add_u32 s20, s8, s18
	s_mov_b32 s19, s18
	s_addc_u32 s21, s9, s18
	s_delay_alu instid0(SALU_CYCLE_1) | instskip(NEXT) | instid1(SALU_CYCLE_1)
	s_xor_b64 s[20:21], s[20:21], s[18:19]
	v_cvt_f32_u32_e32 v2, s20
	v_cvt_f32_u32_e32 v5, s21
	s_sub_u32 s6, 0, s20
	s_subb_u32 s19, 0, s21
	s_delay_alu instid0(VALU_DEP_1) | instskip(NEXT) | instid1(VALU_DEP_1)
	v_fmac_f32_e32 v2, 0x4f800000, v5
	v_rcp_f32_e32 v2, v2
	s_waitcnt_depctr 0xfff
	v_mul_f32_e32 v2, 0x5f7ffffc, v2
	s_delay_alu instid0(VALU_DEP_1) | instskip(NEXT) | instid1(VALU_DEP_1)
	v_mul_f32_e32 v5, 0x2f800000, v2
	v_trunc_f32_e32 v5, v5
	s_delay_alu instid0(VALU_DEP_1) | instskip(SKIP_1) | instid1(VALU_DEP_2)
	v_fmac_f32_e32 v2, 0xcf800000, v5
	v_cvt_u32_f32_e32 v5, v5
	v_cvt_u32_f32_e32 v2, v2
	s_delay_alu instid0(VALU_DEP_2) | instskip(NEXT) | instid1(VALU_DEP_2)
	v_mul_lo_u32 v6, s6, v5
	v_mul_hi_u32 v35, s6, v2
	v_mul_lo_u32 v36, s19, v2
	s_delay_alu instid0(VALU_DEP_2) | instskip(SKIP_1) | instid1(VALU_DEP_2)
	v_add_nc_u32_e32 v6, v35, v6
	v_mul_lo_u32 v35, s6, v2
	v_add_nc_u32_e32 v6, v6, v36
	s_delay_alu instid0(VALU_DEP_2) | instskip(NEXT) | instid1(VALU_DEP_2)
	v_mul_hi_u32 v36, v2, v35
	v_mul_lo_u32 v37, v2, v6
	v_mul_hi_u32 v38, v2, v6
	v_mul_hi_u32 v39, v5, v35
	v_mul_lo_u32 v35, v5, v35
	v_mul_hi_u32 v40, v5, v6
	v_mul_lo_u32 v6, v5, v6
	v_add_co_u32 v36, vcc_lo, v36, v37
	v_add_co_ci_u32_e32 v37, vcc_lo, 0, v38, vcc_lo
	s_delay_alu instid0(VALU_DEP_2) | instskip(NEXT) | instid1(VALU_DEP_2)
	v_add_co_u32 v35, vcc_lo, v36, v35
	v_add_co_ci_u32_e32 v35, vcc_lo, v37, v39, vcc_lo
	v_add_co_ci_u32_e32 v36, vcc_lo, 0, v40, vcc_lo
	v_ashrrev_i32_e32 v39, 31, v10
	s_delay_alu instid0(VALU_DEP_3) | instskip(NEXT) | instid1(VALU_DEP_3)
	v_add_co_u32 v6, vcc_lo, v35, v6
	v_add_co_ci_u32_e32 v35, vcc_lo, 0, v36, vcc_lo
	s_delay_alu instid0(VALU_DEP_2) | instskip(NEXT) | instid1(VALU_DEP_2)
	v_add_co_u32 v2, vcc_lo, v2, v6
	v_add_co_ci_u32_e32 v5, vcc_lo, v5, v35, vcc_lo
	s_delay_alu instid0(VALU_DEP_2) | instskip(SKIP_1) | instid1(VALU_DEP_3)
	v_mul_hi_u32 v6, s6, v2
	v_mul_lo_u32 v36, s19, v2
	v_mul_lo_u32 v35, s6, v5
	s_delay_alu instid0(VALU_DEP_1) | instskip(SKIP_1) | instid1(VALU_DEP_2)
	v_add_nc_u32_e32 v6, v6, v35
	v_mul_lo_u32 v35, s6, v2
	v_add_nc_u32_e32 v6, v6, v36
	s_delay_alu instid0(VALU_DEP_2) | instskip(NEXT) | instid1(VALU_DEP_2)
	v_mul_hi_u32 v36, v2, v35
	v_mul_lo_u32 v37, v2, v6
	v_mul_hi_u32 v38, v2, v6
	v_mul_hi_u32 v40, v5, v35
	v_mul_lo_u32 v35, v5, v35
	v_mul_hi_u32 v41, v5, v6
	v_mul_lo_u32 v6, v5, v6
	v_add_co_u32 v36, vcc_lo, v36, v37
	v_add_co_ci_u32_e32 v37, vcc_lo, 0, v38, vcc_lo
	s_delay_alu instid0(VALU_DEP_2) | instskip(NEXT) | instid1(VALU_DEP_2)
	v_add_co_u32 v35, vcc_lo, v36, v35
	v_add_co_ci_u32_e32 v35, vcc_lo, v37, v40, vcc_lo
	v_add_co_ci_u32_e32 v36, vcc_lo, 0, v41, vcc_lo
	v_add_co_u32 v9, vcc_lo, v9, v39
	v_add_co_ci_u32_e32 v10, vcc_lo, v10, v39, vcc_lo
	s_delay_alu instid0(VALU_DEP_4) | instskip(NEXT) | instid1(VALU_DEP_4)
	v_add_co_u32 v6, vcc_lo, v35, v6
	v_add_co_ci_u32_e32 v35, vcc_lo, 0, v36, vcc_lo
	s_delay_alu instid0(VALU_DEP_4) | instskip(NEXT) | instid1(VALU_DEP_3)
	v_xor_b32_e32 v37, v9, v39
	v_add_co_u32 v2, vcc_lo, v2, v6
	s_delay_alu instid0(VALU_DEP_3) | instskip(SKIP_1) | instid1(VALU_DEP_3)
	v_add_co_ci_u32_e32 v38, vcc_lo, v5, v35, vcc_lo
	v_xor_b32_e32 v40, v10, v39
	v_mul_hi_u32 v41, v37, v2
	s_delay_alu instid0(VALU_DEP_3) | instskip(NEXT) | instid1(VALU_DEP_3)
	v_mad_u64_u32 v[5:6], null, v37, v38, 0
	v_mad_u64_u32 v[9:10], null, v40, v2, 0
	;; [unrolled: 1-line block ×3, first 2 shown]
	s_delay_alu instid0(VALU_DEP_3) | instskip(NEXT) | instid1(VALU_DEP_4)
	v_add_co_u32 v2, vcc_lo, v41, v5
	v_add_co_ci_u32_e32 v5, vcc_lo, 0, v6, vcc_lo
	s_delay_alu instid0(VALU_DEP_2) | instskip(NEXT) | instid1(VALU_DEP_2)
	v_add_co_u32 v2, vcc_lo, v2, v9
	v_add_co_ci_u32_e32 v2, vcc_lo, v5, v10, vcc_lo
	v_add_co_ci_u32_e32 v5, vcc_lo, 0, v36, vcc_lo
	s_delay_alu instid0(VALU_DEP_2) | instskip(NEXT) | instid1(VALU_DEP_2)
	v_add_co_u32 v2, vcc_lo, v2, v35
	v_add_co_ci_u32_e32 v9, vcc_lo, 0, v5, vcc_lo
	s_delay_alu instid0(VALU_DEP_2) | instskip(SKIP_1) | instid1(VALU_DEP_3)
	v_mul_lo_u32 v10, s21, v2
	v_mad_u64_u32 v[5:6], null, s20, v2, 0
	v_mul_lo_u32 v35, s20, v9
	s_delay_alu instid0(VALU_DEP_2) | instskip(NEXT) | instid1(VALU_DEP_2)
	v_sub_co_u32 v5, vcc_lo, v37, v5
	v_add3_u32 v6, v6, v35, v10
	s_delay_alu instid0(VALU_DEP_1) | instskip(NEXT) | instid1(VALU_DEP_1)
	v_sub_nc_u32_e32 v10, v40, v6
	v_subrev_co_ci_u32_e64 v10, s6, s21, v10, vcc_lo
	v_add_co_u32 v35, s6, v2, 2
	s_delay_alu instid0(VALU_DEP_1) | instskip(SKIP_3) | instid1(VALU_DEP_3)
	v_add_co_ci_u32_e64 v36, s6, 0, v9, s6
	v_sub_co_u32 v37, s6, v5, s20
	v_sub_co_ci_u32_e32 v6, vcc_lo, v40, v6, vcc_lo
	v_subrev_co_ci_u32_e64 v10, s6, 0, v10, s6
	v_cmp_le_u32_e32 vcc_lo, s20, v37
	s_delay_alu instid0(VALU_DEP_3) | instskip(SKIP_1) | instid1(VALU_DEP_4)
	v_cmp_eq_u32_e64 s6, s21, v6
	v_cndmask_b32_e64 v37, 0, -1, vcc_lo
	v_cmp_le_u32_e32 vcc_lo, s21, v10
	v_cndmask_b32_e64 v38, 0, -1, vcc_lo
	v_cmp_le_u32_e32 vcc_lo, s20, v5
	;; [unrolled: 2-line block ×3, first 2 shown]
	v_cndmask_b32_e64 v40, 0, -1, vcc_lo
	v_cmp_eq_u32_e32 vcc_lo, s21, v10
	s_delay_alu instid0(VALU_DEP_2) | instskip(SKIP_3) | instid1(VALU_DEP_3)
	v_cndmask_b32_e64 v5, v40, v5, s6
	v_cndmask_b32_e32 v10, v38, v37, vcc_lo
	v_add_co_u32 v37, vcc_lo, v2, 1
	v_add_co_ci_u32_e32 v38, vcc_lo, 0, v9, vcc_lo
	v_cmp_ne_u32_e32 vcc_lo, 0, v10
	s_delay_alu instid0(VALU_DEP_2) | instskip(NEXT) | instid1(VALU_DEP_4)
	v_cndmask_b32_e32 v6, v38, v36, vcc_lo
	v_cndmask_b32_e32 v10, v37, v35, vcc_lo
	v_cmp_ne_u32_e32 vcc_lo, 0, v5
	v_xor_b32_e32 v35, s18, v39
	s_delay_alu instid0(VALU_DEP_3) | instskip(SKIP_1) | instid1(VALU_DEP_2)
	v_cndmask_b32_e32 v2, v2, v10, vcc_lo
	v_cndmask_b32_e32 v5, v9, v6, vcc_lo
                                        ; implicit-def: $vgpr9_vgpr10
	v_xor_b32_e32 v2, v2, v35
	s_delay_alu instid0(VALU_DEP_2) | instskip(NEXT) | instid1(VALU_DEP_2)
	v_xor_b32_e32 v6, v5, v35
	v_sub_co_u32 v5, vcc_lo, v2, v35
	s_delay_alu instid0(VALU_DEP_2)
	v_sub_co_ci_u32_e32 v6, vcc_lo, v6, v35, vcc_lo
.LBB63_14:                              ;   in Loop: Header=BB63_4 Depth=1
	s_and_not1_saveexec_b32 s6, s7
	s_cbranch_execz .LBB63_16
; %bb.15:                               ;   in Loop: Header=BB63_4 Depth=1
	v_cvt_f32_u32_e32 v2, s8
	s_delay_alu instid0(VALU_DEP_1) | instskip(SKIP_2) | instid1(VALU_DEP_1)
	v_rcp_iflag_f32_e32 v2, v2
	s_waitcnt_depctr 0xfff
	v_mul_f32_e32 v2, 0x4f7ffffe, v2
	v_cvt_u32_f32_e32 v2, v2
	s_delay_alu instid0(VALU_DEP_1) | instskip(NEXT) | instid1(VALU_DEP_1)
	v_mul_lo_u32 v5, s28, v2
	v_mul_hi_u32 v5, v2, v5
	s_delay_alu instid0(VALU_DEP_1) | instskip(NEXT) | instid1(VALU_DEP_1)
	v_add_nc_u32_e32 v2, v2, v5
	v_mul_hi_u32 v2, v9, v2
	s_delay_alu instid0(VALU_DEP_1) | instskip(SKIP_1) | instid1(VALU_DEP_2)
	v_mul_lo_u32 v5, v2, s8
	v_add_nc_u32_e32 v6, 1, v2
	v_sub_nc_u32_e32 v5, v9, v5
	s_delay_alu instid0(VALU_DEP_1) | instskip(SKIP_1) | instid1(VALU_DEP_2)
	v_subrev_nc_u32_e32 v9, s8, v5
	v_cmp_le_u32_e32 vcc_lo, s8, v5
	v_dual_cndmask_b32 v5, v5, v9 :: v_dual_cndmask_b32 v2, v2, v6
	s_delay_alu instid0(VALU_DEP_1) | instskip(NEXT) | instid1(VALU_DEP_2)
	v_cmp_le_u32_e32 vcc_lo, s8, v5
	v_add_nc_u32_e32 v6, 1, v2
	s_delay_alu instid0(VALU_DEP_1)
	v_dual_cndmask_b32 v5, v2, v6 :: v_dual_mov_b32 v6, v1
.LBB63_16:                              ;   in Loop: Header=BB63_4 Depth=1
	s_or_b32 exec_lo, exec_lo, s6
	v_or_b32_e32 v2, s9, v12
                                        ; implicit-def: $vgpr9_vgpr10
	s_mov_b32 s6, exec_lo
	s_delay_alu instid0(VALU_DEP_1)
	v_cmpx_ne_u64_e32 0, v[1:2]
	s_xor_b32 s7, exec_lo, s6
	s_cbranch_execz .LBB63_18
; %bb.17:                               ;   in Loop: Header=BB63_4 Depth=1
	s_add_u32 s20, s8, s18
	s_mov_b32 s19, s18
	s_addc_u32 s21, s9, s18
	s_delay_alu instid0(SALU_CYCLE_1) | instskip(NEXT) | instid1(SALU_CYCLE_1)
	s_xor_b64 s[20:21], s[20:21], s[18:19]
	v_cvt_f32_u32_e32 v2, s20
	v_cvt_f32_u32_e32 v9, s21
	s_sub_u32 s6, 0, s20
	s_subb_u32 s19, 0, s21
	s_delay_alu instid0(VALU_DEP_1) | instskip(NEXT) | instid1(VALU_DEP_1)
	v_fmac_f32_e32 v2, 0x4f800000, v9
	v_rcp_f32_e32 v2, v2
	s_waitcnt_depctr 0xfff
	v_mul_f32_e32 v2, 0x5f7ffffc, v2
	s_delay_alu instid0(VALU_DEP_1) | instskip(NEXT) | instid1(VALU_DEP_1)
	v_mul_f32_e32 v9, 0x2f800000, v2
	v_trunc_f32_e32 v9, v9
	s_delay_alu instid0(VALU_DEP_1) | instskip(SKIP_1) | instid1(VALU_DEP_2)
	v_fmac_f32_e32 v2, 0xcf800000, v9
	v_cvt_u32_f32_e32 v9, v9
	v_cvt_u32_f32_e32 v2, v2
	s_delay_alu instid0(VALU_DEP_2) | instskip(NEXT) | instid1(VALU_DEP_2)
	v_mul_lo_u32 v10, s6, v9
	v_mul_hi_u32 v35, s6, v2
	v_mul_lo_u32 v36, s19, v2
	s_delay_alu instid0(VALU_DEP_2) | instskip(SKIP_1) | instid1(VALU_DEP_2)
	v_add_nc_u32_e32 v10, v35, v10
	v_mul_lo_u32 v35, s6, v2
	v_add_nc_u32_e32 v10, v10, v36
	s_delay_alu instid0(VALU_DEP_2) | instskip(NEXT) | instid1(VALU_DEP_2)
	v_mul_hi_u32 v36, v2, v35
	v_mul_lo_u32 v37, v2, v10
	v_mul_hi_u32 v38, v2, v10
	v_mul_hi_u32 v39, v9, v35
	v_mul_lo_u32 v35, v9, v35
	v_mul_hi_u32 v40, v9, v10
	v_mul_lo_u32 v10, v9, v10
	v_add_co_u32 v36, vcc_lo, v36, v37
	v_add_co_ci_u32_e32 v37, vcc_lo, 0, v38, vcc_lo
	s_delay_alu instid0(VALU_DEP_2) | instskip(NEXT) | instid1(VALU_DEP_2)
	v_add_co_u32 v35, vcc_lo, v36, v35
	v_add_co_ci_u32_e32 v35, vcc_lo, v37, v39, vcc_lo
	v_add_co_ci_u32_e32 v36, vcc_lo, 0, v40, vcc_lo
	v_ashrrev_i32_e32 v39, 31, v12
	s_delay_alu instid0(VALU_DEP_3) | instskip(NEXT) | instid1(VALU_DEP_3)
	v_add_co_u32 v10, vcc_lo, v35, v10
	v_add_co_ci_u32_e32 v35, vcc_lo, 0, v36, vcc_lo
	s_delay_alu instid0(VALU_DEP_2) | instskip(NEXT) | instid1(VALU_DEP_2)
	v_add_co_u32 v2, vcc_lo, v2, v10
	v_add_co_ci_u32_e32 v9, vcc_lo, v9, v35, vcc_lo
	s_delay_alu instid0(VALU_DEP_2) | instskip(SKIP_1) | instid1(VALU_DEP_3)
	v_mul_hi_u32 v10, s6, v2
	v_mul_lo_u32 v36, s19, v2
	v_mul_lo_u32 v35, s6, v9
	s_delay_alu instid0(VALU_DEP_1) | instskip(SKIP_1) | instid1(VALU_DEP_2)
	v_add_nc_u32_e32 v10, v10, v35
	v_mul_lo_u32 v35, s6, v2
	v_add_nc_u32_e32 v10, v10, v36
	s_delay_alu instid0(VALU_DEP_2) | instskip(NEXT) | instid1(VALU_DEP_2)
	v_mul_hi_u32 v36, v2, v35
	v_mul_lo_u32 v37, v2, v10
	v_mul_hi_u32 v38, v2, v10
	v_mul_hi_u32 v40, v9, v35
	v_mul_lo_u32 v35, v9, v35
	v_mul_hi_u32 v41, v9, v10
	v_mul_lo_u32 v10, v9, v10
	v_add_co_u32 v36, vcc_lo, v36, v37
	v_add_co_ci_u32_e32 v37, vcc_lo, 0, v38, vcc_lo
	s_delay_alu instid0(VALU_DEP_2) | instskip(NEXT) | instid1(VALU_DEP_2)
	v_add_co_u32 v35, vcc_lo, v36, v35
	v_add_co_ci_u32_e32 v35, vcc_lo, v37, v40, vcc_lo
	v_add_co_ci_u32_e32 v36, vcc_lo, 0, v41, vcc_lo
	v_add_co_u32 v11, vcc_lo, v11, v39
	v_add_co_ci_u32_e32 v12, vcc_lo, v12, v39, vcc_lo
	s_delay_alu instid0(VALU_DEP_4) | instskip(NEXT) | instid1(VALU_DEP_4)
	v_add_co_u32 v10, vcc_lo, v35, v10
	v_add_co_ci_u32_e32 v35, vcc_lo, 0, v36, vcc_lo
	s_delay_alu instid0(VALU_DEP_4) | instskip(NEXT) | instid1(VALU_DEP_3)
	v_xor_b32_e32 v37, v11, v39
	v_add_co_u32 v2, vcc_lo, v2, v10
	s_delay_alu instid0(VALU_DEP_3) | instskip(SKIP_1) | instid1(VALU_DEP_3)
	v_add_co_ci_u32_e32 v38, vcc_lo, v9, v35, vcc_lo
	v_xor_b32_e32 v40, v12, v39
	v_mul_hi_u32 v41, v37, v2
	s_delay_alu instid0(VALU_DEP_3) | instskip(NEXT) | instid1(VALU_DEP_3)
	v_mad_u64_u32 v[9:10], null, v37, v38, 0
	v_mad_u64_u32 v[11:12], null, v40, v2, 0
	;; [unrolled: 1-line block ×3, first 2 shown]
	s_delay_alu instid0(VALU_DEP_3) | instskip(NEXT) | instid1(VALU_DEP_4)
	v_add_co_u32 v2, vcc_lo, v41, v9
	v_add_co_ci_u32_e32 v9, vcc_lo, 0, v10, vcc_lo
	s_delay_alu instid0(VALU_DEP_2) | instskip(NEXT) | instid1(VALU_DEP_2)
	v_add_co_u32 v2, vcc_lo, v2, v11
	v_add_co_ci_u32_e32 v2, vcc_lo, v9, v12, vcc_lo
	v_add_co_ci_u32_e32 v9, vcc_lo, 0, v36, vcc_lo
	s_delay_alu instid0(VALU_DEP_2) | instskip(NEXT) | instid1(VALU_DEP_2)
	v_add_co_u32 v2, vcc_lo, v2, v35
	v_add_co_ci_u32_e32 v11, vcc_lo, 0, v9, vcc_lo
	s_delay_alu instid0(VALU_DEP_2) | instskip(SKIP_1) | instid1(VALU_DEP_3)
	v_mul_lo_u32 v12, s21, v2
	v_mad_u64_u32 v[9:10], null, s20, v2, 0
	v_mul_lo_u32 v35, s20, v11
	s_delay_alu instid0(VALU_DEP_2) | instskip(NEXT) | instid1(VALU_DEP_2)
	v_sub_co_u32 v9, vcc_lo, v37, v9
	v_add3_u32 v10, v10, v35, v12
	s_delay_alu instid0(VALU_DEP_1) | instskip(NEXT) | instid1(VALU_DEP_1)
	v_sub_nc_u32_e32 v12, v40, v10
	v_subrev_co_ci_u32_e64 v12, s6, s21, v12, vcc_lo
	v_add_co_u32 v35, s6, v2, 2
	s_delay_alu instid0(VALU_DEP_1) | instskip(SKIP_3) | instid1(VALU_DEP_3)
	v_add_co_ci_u32_e64 v36, s6, 0, v11, s6
	v_sub_co_u32 v37, s6, v9, s20
	v_sub_co_ci_u32_e32 v10, vcc_lo, v40, v10, vcc_lo
	v_subrev_co_ci_u32_e64 v12, s6, 0, v12, s6
	v_cmp_le_u32_e32 vcc_lo, s20, v37
	s_delay_alu instid0(VALU_DEP_3) | instskip(SKIP_1) | instid1(VALU_DEP_4)
	v_cmp_eq_u32_e64 s6, s21, v10
	v_cndmask_b32_e64 v37, 0, -1, vcc_lo
	v_cmp_le_u32_e32 vcc_lo, s21, v12
	v_cndmask_b32_e64 v38, 0, -1, vcc_lo
	v_cmp_le_u32_e32 vcc_lo, s20, v9
	;; [unrolled: 2-line block ×3, first 2 shown]
	v_cndmask_b32_e64 v40, 0, -1, vcc_lo
	v_cmp_eq_u32_e32 vcc_lo, s21, v12
	s_delay_alu instid0(VALU_DEP_2) | instskip(SKIP_3) | instid1(VALU_DEP_3)
	v_cndmask_b32_e64 v9, v40, v9, s6
	v_cndmask_b32_e32 v12, v38, v37, vcc_lo
	v_add_co_u32 v37, vcc_lo, v2, 1
	v_add_co_ci_u32_e32 v38, vcc_lo, 0, v11, vcc_lo
	v_cmp_ne_u32_e32 vcc_lo, 0, v12
	s_delay_alu instid0(VALU_DEP_2) | instskip(NEXT) | instid1(VALU_DEP_4)
	v_cndmask_b32_e32 v10, v38, v36, vcc_lo
	v_cndmask_b32_e32 v12, v37, v35, vcc_lo
	v_cmp_ne_u32_e32 vcc_lo, 0, v9
	v_xor_b32_e32 v35, s18, v39
	s_delay_alu instid0(VALU_DEP_3) | instskip(NEXT) | instid1(VALU_DEP_1)
	v_dual_cndmask_b32 v2, v2, v12 :: v_dual_cndmask_b32 v9, v11, v10
                                        ; implicit-def: $vgpr11_vgpr12
	v_xor_b32_e32 v2, v2, v35
	s_delay_alu instid0(VALU_DEP_2) | instskip(NEXT) | instid1(VALU_DEP_2)
	v_xor_b32_e32 v10, v9, v35
	v_sub_co_u32 v9, vcc_lo, v2, v35
	s_delay_alu instid0(VALU_DEP_2)
	v_sub_co_ci_u32_e32 v10, vcc_lo, v10, v35, vcc_lo
.LBB63_18:                              ;   in Loop: Header=BB63_4 Depth=1
	s_and_not1_saveexec_b32 s6, s7
	s_cbranch_execz .LBB63_20
; %bb.19:                               ;   in Loop: Header=BB63_4 Depth=1
	v_cvt_f32_u32_e32 v2, s8
	s_delay_alu instid0(VALU_DEP_1) | instskip(SKIP_2) | instid1(VALU_DEP_1)
	v_rcp_iflag_f32_e32 v2, v2
	s_waitcnt_depctr 0xfff
	v_mul_f32_e32 v2, 0x4f7ffffe, v2
	v_cvt_u32_f32_e32 v2, v2
	s_delay_alu instid0(VALU_DEP_1) | instskip(NEXT) | instid1(VALU_DEP_1)
	v_mul_lo_u32 v9, s28, v2
	v_mul_hi_u32 v9, v2, v9
	s_delay_alu instid0(VALU_DEP_1) | instskip(NEXT) | instid1(VALU_DEP_1)
	v_add_nc_u32_e32 v2, v2, v9
	v_mul_hi_u32 v2, v11, v2
	s_delay_alu instid0(VALU_DEP_1) | instskip(SKIP_1) | instid1(VALU_DEP_2)
	v_mul_lo_u32 v9, v2, s8
	v_add_nc_u32_e32 v10, 1, v2
	v_sub_nc_u32_e32 v9, v11, v9
	s_delay_alu instid0(VALU_DEP_1) | instskip(SKIP_1) | instid1(VALU_DEP_2)
	v_subrev_nc_u32_e32 v11, s8, v9
	v_cmp_le_u32_e32 vcc_lo, s8, v9
	v_dual_cndmask_b32 v9, v9, v11 :: v_dual_cndmask_b32 v2, v2, v10
	s_delay_alu instid0(VALU_DEP_1) | instskip(NEXT) | instid1(VALU_DEP_2)
	v_cmp_le_u32_e32 vcc_lo, s8, v9
	v_add_nc_u32_e32 v10, 1, v2
	s_delay_alu instid0(VALU_DEP_1)
	v_dual_cndmask_b32 v9, v2, v10 :: v_dual_mov_b32 v10, v1
.LBB63_20:                              ;   in Loop: Header=BB63_4 Depth=1
	s_or_b32 exec_lo, exec_lo, s6
	v_or_b32_e32 v2, s9, v8
                                        ; implicit-def: $vgpr11_vgpr12
	s_mov_b32 s6, exec_lo
	s_delay_alu instid0(VALU_DEP_1)
	v_cmpx_ne_u64_e32 0, v[1:2]
	s_xor_b32 s7, exec_lo, s6
	s_cbranch_execnz .LBB63_26
; %bb.21:                               ;   in Loop: Header=BB63_4 Depth=1
	s_and_not1_saveexec_b32 s6, s7
	s_cbranch_execnz .LBB63_27
.LBB63_22:                              ;   in Loop: Header=BB63_4 Depth=1
	s_or_b32 exec_lo, exec_lo, s6
	s_and_saveexec_b32 s20, s5
	s_cbranch_execnz .LBB63_28
.LBB63_23:                              ;   in Loop: Header=BB63_4 Depth=1
	s_or_b32 exec_lo, exec_lo, s20
	s_and_saveexec_b32 s5, s2
	s_cbranch_execnz .LBB63_33
.LBB63_24:                              ;   in Loop: Header=BB63_4 Depth=1
	s_or_b32 exec_lo, exec_lo, s5
	s_and_saveexec_b32 s2, s3
	s_cbranch_execnz .LBB63_34
.LBB63_25:                              ;   in Loop: Header=BB63_4 Depth=1
	s_or_b32 exec_lo, exec_lo, s2
	s_and_saveexec_b32 s2, s4
	s_cbranch_execz .LBB63_3
	s_branch .LBB63_35
.LBB63_26:                              ;   in Loop: Header=BB63_4 Depth=1
	s_add_u32 s20, s8, s18
	s_mov_b32 s19, s18
	s_addc_u32 s21, s9, s18
	s_delay_alu instid0(SALU_CYCLE_1) | instskip(NEXT) | instid1(SALU_CYCLE_1)
	s_xor_b64 s[20:21], s[20:21], s[18:19]
	v_cvt_f32_u32_e32 v2, s20
	v_cvt_f32_u32_e32 v11, s21
	s_sub_u32 s6, 0, s20
	s_subb_u32 s19, 0, s21
	s_delay_alu instid0(VALU_DEP_1) | instskip(NEXT) | instid1(VALU_DEP_1)
	v_fmac_f32_e32 v2, 0x4f800000, v11
	v_rcp_f32_e32 v2, v2
	s_waitcnt_depctr 0xfff
	v_mul_f32_e32 v2, 0x5f7ffffc, v2
	s_delay_alu instid0(VALU_DEP_1) | instskip(NEXT) | instid1(VALU_DEP_1)
	v_mul_f32_e32 v11, 0x2f800000, v2
	v_trunc_f32_e32 v11, v11
	s_delay_alu instid0(VALU_DEP_1) | instskip(SKIP_1) | instid1(VALU_DEP_2)
	v_fmac_f32_e32 v2, 0xcf800000, v11
	v_cvt_u32_f32_e32 v11, v11
	v_cvt_u32_f32_e32 v2, v2
	s_delay_alu instid0(VALU_DEP_2) | instskip(NEXT) | instid1(VALU_DEP_2)
	v_mul_lo_u32 v12, s6, v11
	v_mul_hi_u32 v35, s6, v2
	v_mul_lo_u32 v36, s19, v2
	s_delay_alu instid0(VALU_DEP_2) | instskip(SKIP_1) | instid1(VALU_DEP_2)
	v_add_nc_u32_e32 v12, v35, v12
	v_mul_lo_u32 v35, s6, v2
	v_add_nc_u32_e32 v12, v12, v36
	s_delay_alu instid0(VALU_DEP_2) | instskip(NEXT) | instid1(VALU_DEP_2)
	v_mul_hi_u32 v36, v2, v35
	v_mul_lo_u32 v37, v2, v12
	v_mul_hi_u32 v38, v2, v12
	v_mul_hi_u32 v39, v11, v35
	v_mul_lo_u32 v35, v11, v35
	v_mul_hi_u32 v40, v11, v12
	v_mul_lo_u32 v12, v11, v12
	v_add_co_u32 v36, vcc_lo, v36, v37
	v_add_co_ci_u32_e32 v37, vcc_lo, 0, v38, vcc_lo
	s_delay_alu instid0(VALU_DEP_2) | instskip(NEXT) | instid1(VALU_DEP_2)
	v_add_co_u32 v35, vcc_lo, v36, v35
	v_add_co_ci_u32_e32 v35, vcc_lo, v37, v39, vcc_lo
	v_add_co_ci_u32_e32 v36, vcc_lo, 0, v40, vcc_lo
	v_ashrrev_i32_e32 v39, 31, v8
	s_delay_alu instid0(VALU_DEP_3) | instskip(NEXT) | instid1(VALU_DEP_3)
	v_add_co_u32 v12, vcc_lo, v35, v12
	v_add_co_ci_u32_e32 v35, vcc_lo, 0, v36, vcc_lo
	s_delay_alu instid0(VALU_DEP_2) | instskip(NEXT) | instid1(VALU_DEP_2)
	v_add_co_u32 v2, vcc_lo, v2, v12
	v_add_co_ci_u32_e32 v11, vcc_lo, v11, v35, vcc_lo
	s_delay_alu instid0(VALU_DEP_2) | instskip(SKIP_1) | instid1(VALU_DEP_3)
	v_mul_hi_u32 v12, s6, v2
	v_mul_lo_u32 v36, s19, v2
	v_mul_lo_u32 v35, s6, v11
	s_delay_alu instid0(VALU_DEP_1) | instskip(SKIP_1) | instid1(VALU_DEP_2)
	v_add_nc_u32_e32 v12, v12, v35
	v_mul_lo_u32 v35, s6, v2
	v_add_nc_u32_e32 v12, v12, v36
	s_delay_alu instid0(VALU_DEP_2) | instskip(NEXT) | instid1(VALU_DEP_2)
	v_mul_hi_u32 v36, v2, v35
	v_mul_lo_u32 v37, v2, v12
	v_mul_hi_u32 v38, v2, v12
	v_mul_hi_u32 v40, v11, v35
	v_mul_lo_u32 v35, v11, v35
	v_mul_hi_u32 v41, v11, v12
	v_mul_lo_u32 v12, v11, v12
	v_add_co_u32 v36, vcc_lo, v36, v37
	v_add_co_ci_u32_e32 v37, vcc_lo, 0, v38, vcc_lo
	s_delay_alu instid0(VALU_DEP_2) | instskip(NEXT) | instid1(VALU_DEP_2)
	v_add_co_u32 v35, vcc_lo, v36, v35
	v_add_co_ci_u32_e32 v35, vcc_lo, v37, v40, vcc_lo
	v_add_co_ci_u32_e32 v36, vcc_lo, 0, v41, vcc_lo
	v_add_co_u32 v7, vcc_lo, v7, v39
	v_add_co_ci_u32_e32 v8, vcc_lo, v8, v39, vcc_lo
	s_delay_alu instid0(VALU_DEP_4) | instskip(NEXT) | instid1(VALU_DEP_4)
	v_add_co_u32 v12, vcc_lo, v35, v12
	v_add_co_ci_u32_e32 v35, vcc_lo, 0, v36, vcc_lo
	s_delay_alu instid0(VALU_DEP_4) | instskip(NEXT) | instid1(VALU_DEP_3)
	v_xor_b32_e32 v37, v7, v39
	v_add_co_u32 v2, vcc_lo, v2, v12
	s_delay_alu instid0(VALU_DEP_3) | instskip(SKIP_1) | instid1(VALU_DEP_3)
	v_add_co_ci_u32_e32 v38, vcc_lo, v11, v35, vcc_lo
	v_xor_b32_e32 v40, v8, v39
	v_mul_hi_u32 v41, v37, v2
	s_delay_alu instid0(VALU_DEP_3) | instskip(NEXT) | instid1(VALU_DEP_3)
	v_mad_u64_u32 v[7:8], null, v37, v38, 0
	v_mad_u64_u32 v[11:12], null, v40, v2, 0
	;; [unrolled: 1-line block ×3, first 2 shown]
	s_delay_alu instid0(VALU_DEP_3) | instskip(NEXT) | instid1(VALU_DEP_4)
	v_add_co_u32 v2, vcc_lo, v41, v7
	v_add_co_ci_u32_e32 v7, vcc_lo, 0, v8, vcc_lo
	s_delay_alu instid0(VALU_DEP_2) | instskip(NEXT) | instid1(VALU_DEP_2)
	v_add_co_u32 v2, vcc_lo, v2, v11
	v_add_co_ci_u32_e32 v2, vcc_lo, v7, v12, vcc_lo
	v_add_co_ci_u32_e32 v7, vcc_lo, 0, v36, vcc_lo
	s_delay_alu instid0(VALU_DEP_2) | instskip(NEXT) | instid1(VALU_DEP_2)
	v_add_co_u32 v2, vcc_lo, v2, v35
	v_add_co_ci_u32_e32 v11, vcc_lo, 0, v7, vcc_lo
	s_delay_alu instid0(VALU_DEP_2) | instskip(SKIP_1) | instid1(VALU_DEP_3)
	v_mul_lo_u32 v12, s21, v2
	v_mad_u64_u32 v[7:8], null, s20, v2, 0
	v_mul_lo_u32 v35, s20, v11
	s_delay_alu instid0(VALU_DEP_2) | instskip(NEXT) | instid1(VALU_DEP_2)
	v_sub_co_u32 v7, vcc_lo, v37, v7
	v_add3_u32 v8, v8, v35, v12
	s_delay_alu instid0(VALU_DEP_1) | instskip(NEXT) | instid1(VALU_DEP_1)
	v_sub_nc_u32_e32 v12, v40, v8
	v_subrev_co_ci_u32_e64 v12, s6, s21, v12, vcc_lo
	v_add_co_u32 v35, s6, v2, 2
	s_delay_alu instid0(VALU_DEP_1) | instskip(SKIP_3) | instid1(VALU_DEP_3)
	v_add_co_ci_u32_e64 v36, s6, 0, v11, s6
	v_sub_co_u32 v37, s6, v7, s20
	v_sub_co_ci_u32_e32 v8, vcc_lo, v40, v8, vcc_lo
	v_subrev_co_ci_u32_e64 v12, s6, 0, v12, s6
	v_cmp_le_u32_e32 vcc_lo, s20, v37
	s_delay_alu instid0(VALU_DEP_3) | instskip(SKIP_1) | instid1(VALU_DEP_4)
	v_cmp_eq_u32_e64 s6, s21, v8
	v_cndmask_b32_e64 v37, 0, -1, vcc_lo
	v_cmp_le_u32_e32 vcc_lo, s21, v12
	v_cndmask_b32_e64 v38, 0, -1, vcc_lo
	v_cmp_le_u32_e32 vcc_lo, s20, v7
	;; [unrolled: 2-line block ×3, first 2 shown]
	v_cndmask_b32_e64 v40, 0, -1, vcc_lo
	v_cmp_eq_u32_e32 vcc_lo, s21, v12
	s_delay_alu instid0(VALU_DEP_2) | instskip(SKIP_3) | instid1(VALU_DEP_3)
	v_cndmask_b32_e64 v7, v40, v7, s6
	v_cndmask_b32_e32 v12, v38, v37, vcc_lo
	v_add_co_u32 v37, vcc_lo, v2, 1
	v_add_co_ci_u32_e32 v38, vcc_lo, 0, v11, vcc_lo
	v_cmp_ne_u32_e32 vcc_lo, 0, v12
	s_delay_alu instid0(VALU_DEP_2) | instskip(NEXT) | instid1(VALU_DEP_4)
	v_cndmask_b32_e32 v8, v38, v36, vcc_lo
	v_cndmask_b32_e32 v12, v37, v35, vcc_lo
	v_cmp_ne_u32_e32 vcc_lo, 0, v7
	v_xor_b32_e32 v7, s18, v39
	s_delay_alu instid0(VALU_DEP_3) | instskip(SKIP_1) | instid1(VALU_DEP_2)
	v_cndmask_b32_e32 v2, v2, v12, vcc_lo
	v_cndmask_b32_e32 v8, v11, v8, vcc_lo
	v_xor_b32_e32 v2, v2, v7
	s_delay_alu instid0(VALU_DEP_2) | instskip(NEXT) | instid1(VALU_DEP_2)
	v_xor_b32_e32 v8, v8, v7
	v_sub_co_u32 v11, vcc_lo, v2, v7
	s_delay_alu instid0(VALU_DEP_2)
	v_sub_co_ci_u32_e32 v12, vcc_lo, v8, v7, vcc_lo
                                        ; implicit-def: $vgpr7_vgpr8
	s_and_not1_saveexec_b32 s6, s7
	s_cbranch_execz .LBB63_22
.LBB63_27:                              ;   in Loop: Header=BB63_4 Depth=1
	v_cvt_f32_u32_e32 v2, s8
	v_mov_b32_e32 v12, v1
	s_delay_alu instid0(VALU_DEP_2) | instskip(SKIP_2) | instid1(VALU_DEP_1)
	v_rcp_iflag_f32_e32 v2, v2
	s_waitcnt_depctr 0xfff
	v_mul_f32_e32 v2, 0x4f7ffffe, v2
	v_cvt_u32_f32_e32 v2, v2
	s_delay_alu instid0(VALU_DEP_1) | instskip(NEXT) | instid1(VALU_DEP_1)
	v_mul_lo_u32 v8, s28, v2
	v_mul_hi_u32 v8, v2, v8
	s_delay_alu instid0(VALU_DEP_1) | instskip(NEXT) | instid1(VALU_DEP_1)
	v_add_nc_u32_e32 v2, v2, v8
	v_mul_hi_u32 v2, v7, v2
	s_delay_alu instid0(VALU_DEP_1) | instskip(NEXT) | instid1(VALU_DEP_1)
	v_mul_lo_u32 v8, v2, s8
	v_sub_nc_u32_e32 v7, v7, v8
	v_add_nc_u32_e32 v8, 1, v2
	s_delay_alu instid0(VALU_DEP_2) | instskip(SKIP_1) | instid1(VALU_DEP_2)
	v_subrev_nc_u32_e32 v11, s8, v7
	v_cmp_le_u32_e32 vcc_lo, s8, v7
	v_dual_cndmask_b32 v7, v7, v11 :: v_dual_cndmask_b32 v2, v2, v8
	s_delay_alu instid0(VALU_DEP_1) | instskip(NEXT) | instid1(VALU_DEP_2)
	v_cmp_le_u32_e32 vcc_lo, s8, v7
	v_add_nc_u32_e32 v8, 1, v2
	s_delay_alu instid0(VALU_DEP_1)
	v_cndmask_b32_e32 v11, v2, v8, vcc_lo
	s_or_b32 exec_lo, exec_lo, s6
	s_and_saveexec_b32 s20, s5
	s_cbranch_execz .LBB63_23
.LBB63_28:                              ;   in Loop: Header=BB63_4 Depth=1
	v_or_b32_e32 v2, s9, v4
                                        ; implicit-def: $vgpr7_vgpr8
	s_mov_b32 s5, exec_lo
	s_delay_alu instid0(VALU_DEP_1)
	v_cmpx_ne_u64_e32 0, v[1:2]
	s_xor_b32 s21, exec_lo, s5
	s_cbranch_execz .LBB63_30
; %bb.29:                               ;   in Loop: Header=BB63_4 Depth=1
	s_add_u32 s6, s8, s18
	s_mov_b32 s19, s18
	s_addc_u32 s7, s9, s18
	s_delay_alu instid0(SALU_CYCLE_1) | instskip(NEXT) | instid1(SALU_CYCLE_1)
	s_xor_b64 s[6:7], s[6:7], s[18:19]
	v_cvt_f32_u32_e32 v2, s6
	v_cvt_f32_u32_e32 v7, s7
	s_sub_u32 s5, 0, s6
	s_subb_u32 s19, 0, s7
	s_delay_alu instid0(VALU_DEP_1) | instskip(NEXT) | instid1(VALU_DEP_1)
	v_fmac_f32_e32 v2, 0x4f800000, v7
	v_rcp_f32_e32 v2, v2
	s_waitcnt_depctr 0xfff
	v_mul_f32_e32 v2, 0x5f7ffffc, v2
	s_delay_alu instid0(VALU_DEP_1) | instskip(NEXT) | instid1(VALU_DEP_1)
	v_mul_f32_e32 v7, 0x2f800000, v2
	v_trunc_f32_e32 v7, v7
	s_delay_alu instid0(VALU_DEP_1) | instskip(SKIP_1) | instid1(VALU_DEP_2)
	v_fmac_f32_e32 v2, 0xcf800000, v7
	v_cvt_u32_f32_e32 v7, v7
	v_cvt_u32_f32_e32 v2, v2
	s_delay_alu instid0(VALU_DEP_2) | instskip(NEXT) | instid1(VALU_DEP_2)
	v_mul_lo_u32 v8, s5, v7
	v_mul_hi_u32 v35, s5, v2
	v_mul_lo_u32 v36, s19, v2
	s_delay_alu instid0(VALU_DEP_2) | instskip(SKIP_1) | instid1(VALU_DEP_2)
	v_add_nc_u32_e32 v8, v35, v8
	v_mul_lo_u32 v35, s5, v2
	v_add_nc_u32_e32 v8, v8, v36
	s_delay_alu instid0(VALU_DEP_2) | instskip(NEXT) | instid1(VALU_DEP_2)
	v_mul_hi_u32 v36, v2, v35
	v_mul_lo_u32 v37, v2, v8
	v_mul_hi_u32 v38, v2, v8
	v_mul_hi_u32 v39, v7, v35
	v_mul_lo_u32 v35, v7, v35
	v_mul_hi_u32 v40, v7, v8
	v_mul_lo_u32 v8, v7, v8
	v_add_co_u32 v36, vcc_lo, v36, v37
	v_add_co_ci_u32_e32 v37, vcc_lo, 0, v38, vcc_lo
	s_delay_alu instid0(VALU_DEP_2) | instskip(NEXT) | instid1(VALU_DEP_2)
	v_add_co_u32 v35, vcc_lo, v36, v35
	v_add_co_ci_u32_e32 v35, vcc_lo, v37, v39, vcc_lo
	v_add_co_ci_u32_e32 v36, vcc_lo, 0, v40, vcc_lo
	v_ashrrev_i32_e32 v39, 31, v4
	s_delay_alu instid0(VALU_DEP_3) | instskip(NEXT) | instid1(VALU_DEP_3)
	v_add_co_u32 v8, vcc_lo, v35, v8
	v_add_co_ci_u32_e32 v35, vcc_lo, 0, v36, vcc_lo
	s_delay_alu instid0(VALU_DEP_2) | instskip(NEXT) | instid1(VALU_DEP_2)
	v_add_co_u32 v2, vcc_lo, v2, v8
	v_add_co_ci_u32_e32 v7, vcc_lo, v7, v35, vcc_lo
	s_delay_alu instid0(VALU_DEP_2) | instskip(SKIP_1) | instid1(VALU_DEP_3)
	v_mul_hi_u32 v8, s5, v2
	v_mul_lo_u32 v36, s19, v2
	v_mul_lo_u32 v35, s5, v7
	s_delay_alu instid0(VALU_DEP_1) | instskip(SKIP_1) | instid1(VALU_DEP_2)
	v_add_nc_u32_e32 v8, v8, v35
	v_mul_lo_u32 v35, s5, v2
	v_add_nc_u32_e32 v8, v8, v36
	s_delay_alu instid0(VALU_DEP_2) | instskip(NEXT) | instid1(VALU_DEP_2)
	v_mul_hi_u32 v36, v2, v35
	v_mul_lo_u32 v37, v2, v8
	v_mul_hi_u32 v38, v2, v8
	v_mul_hi_u32 v40, v7, v35
	v_mul_lo_u32 v35, v7, v35
	v_mul_hi_u32 v41, v7, v8
	v_mul_lo_u32 v8, v7, v8
	v_add_co_u32 v36, vcc_lo, v36, v37
	v_add_co_ci_u32_e32 v37, vcc_lo, 0, v38, vcc_lo
	s_delay_alu instid0(VALU_DEP_2) | instskip(NEXT) | instid1(VALU_DEP_2)
	v_add_co_u32 v35, vcc_lo, v36, v35
	v_add_co_ci_u32_e32 v35, vcc_lo, v37, v40, vcc_lo
	v_add_co_ci_u32_e32 v36, vcc_lo, 0, v41, vcc_lo
	v_add_co_u32 v3, vcc_lo, v3, v39
	v_add_co_ci_u32_e32 v4, vcc_lo, v4, v39, vcc_lo
	s_delay_alu instid0(VALU_DEP_4) | instskip(NEXT) | instid1(VALU_DEP_4)
	v_add_co_u32 v8, vcc_lo, v35, v8
	v_add_co_ci_u32_e32 v35, vcc_lo, 0, v36, vcc_lo
	s_delay_alu instid0(VALU_DEP_4) | instskip(NEXT) | instid1(VALU_DEP_3)
	v_xor_b32_e32 v37, v3, v39
	v_add_co_u32 v36, vcc_lo, v2, v8
	s_delay_alu instid0(VALU_DEP_3) | instskip(SKIP_1) | instid1(VALU_DEP_3)
	v_add_co_ci_u32_e32 v38, vcc_lo, v7, v35, vcc_lo
	v_xor_b32_e32 v4, v4, v39
	v_mul_hi_u32 v40, v37, v36
	s_delay_alu instid0(VALU_DEP_3) | instskip(NEXT) | instid1(VALU_DEP_3)
	v_mad_u64_u32 v[2:3], null, v37, v38, 0
	v_mad_u64_u32 v[7:8], null, v4, v36, 0
	v_mad_u64_u32 v[35:36], null, v4, v38, 0
	s_delay_alu instid0(VALU_DEP_3) | instskip(NEXT) | instid1(VALU_DEP_4)
	v_add_co_u32 v2, vcc_lo, v40, v2
	v_add_co_ci_u32_e32 v3, vcc_lo, 0, v3, vcc_lo
	s_delay_alu instid0(VALU_DEP_2) | instskip(NEXT) | instid1(VALU_DEP_2)
	v_add_co_u32 v2, vcc_lo, v2, v7
	v_add_co_ci_u32_e32 v2, vcc_lo, v3, v8, vcc_lo
	v_add_co_ci_u32_e32 v3, vcc_lo, 0, v36, vcc_lo
	s_delay_alu instid0(VALU_DEP_2) | instskip(NEXT) | instid1(VALU_DEP_2)
	v_add_co_u32 v7, vcc_lo, v2, v35
	v_add_co_ci_u32_e32 v8, vcc_lo, 0, v3, vcc_lo
	s_delay_alu instid0(VALU_DEP_2) | instskip(SKIP_1) | instid1(VALU_DEP_3)
	v_mul_lo_u32 v35, s7, v7
	v_mad_u64_u32 v[2:3], null, s6, v7, 0
	v_mul_lo_u32 v36, s6, v8
	s_delay_alu instid0(VALU_DEP_2) | instskip(NEXT) | instid1(VALU_DEP_2)
	v_sub_co_u32 v2, vcc_lo, v37, v2
	v_add3_u32 v3, v3, v36, v35
	s_delay_alu instid0(VALU_DEP_1) | instskip(NEXT) | instid1(VALU_DEP_1)
	v_sub_nc_u32_e32 v35, v4, v3
	v_subrev_co_ci_u32_e64 v35, s5, s7, v35, vcc_lo
	v_add_co_u32 v36, s5, v7, 2
	s_delay_alu instid0(VALU_DEP_1) | instskip(SKIP_3) | instid1(VALU_DEP_3)
	v_add_co_ci_u32_e64 v37, s5, 0, v8, s5
	v_sub_co_u32 v38, s5, v2, s6
	v_sub_co_ci_u32_e32 v3, vcc_lo, v4, v3, vcc_lo
	v_subrev_co_ci_u32_e64 v35, s5, 0, v35, s5
	v_cmp_le_u32_e32 vcc_lo, s6, v38
	s_delay_alu instid0(VALU_DEP_3) | instskip(SKIP_1) | instid1(VALU_DEP_4)
	v_cmp_eq_u32_e64 s5, s7, v3
	v_cndmask_b32_e64 v4, 0, -1, vcc_lo
	v_cmp_le_u32_e32 vcc_lo, s7, v35
	v_cndmask_b32_e64 v38, 0, -1, vcc_lo
	v_cmp_le_u32_e32 vcc_lo, s6, v2
	;; [unrolled: 2-line block ×3, first 2 shown]
	v_cndmask_b32_e64 v40, 0, -1, vcc_lo
	v_cmp_eq_u32_e32 vcc_lo, s7, v35
	s_delay_alu instid0(VALU_DEP_2) | instskip(SKIP_3) | instid1(VALU_DEP_3)
	v_cndmask_b32_e64 v2, v40, v2, s5
	v_cndmask_b32_e32 v4, v38, v4, vcc_lo
	v_add_co_u32 v35, vcc_lo, v7, 1
	v_add_co_ci_u32_e32 v38, vcc_lo, 0, v8, vcc_lo
	v_cmp_ne_u32_e32 vcc_lo, 0, v4
	s_delay_alu instid0(VALU_DEP_2) | instskip(SKIP_2) | instid1(VALU_DEP_3)
	v_dual_cndmask_b32 v3, v38, v37 :: v_dual_cndmask_b32 v4, v35, v36
	v_cmp_ne_u32_e32 vcc_lo, 0, v2
	v_xor_b32_e32 v2, s18, v39
	v_dual_cndmask_b32 v4, v7, v4 :: v_dual_cndmask_b32 v3, v8, v3
	s_delay_alu instid0(VALU_DEP_1) | instskip(NEXT) | instid1(VALU_DEP_2)
	v_xor_b32_e32 v4, v4, v2
	v_xor_b32_e32 v3, v3, v2
	s_delay_alu instid0(VALU_DEP_2) | instskip(NEXT) | instid1(VALU_DEP_2)
	v_sub_co_u32 v7, vcc_lo, v4, v2
	v_sub_co_ci_u32_e32 v8, vcc_lo, v3, v2, vcc_lo
                                        ; implicit-def: $vgpr3_vgpr4
.LBB63_30:                              ;   in Loop: Header=BB63_4 Depth=1
	s_and_not1_saveexec_b32 s5, s21
	s_cbranch_execz .LBB63_32
; %bb.31:                               ;   in Loop: Header=BB63_4 Depth=1
	v_cvt_f32_u32_e32 v2, s8
	v_mov_b32_e32 v8, v1
	s_delay_alu instid0(VALU_DEP_2) | instskip(SKIP_2) | instid1(VALU_DEP_1)
	v_rcp_iflag_f32_e32 v2, v2
	s_waitcnt_depctr 0xfff
	v_mul_f32_e32 v2, 0x4f7ffffe, v2
	v_cvt_u32_f32_e32 v2, v2
	s_delay_alu instid0(VALU_DEP_1) | instskip(NEXT) | instid1(VALU_DEP_1)
	v_mul_lo_u32 v4, s28, v2
	v_mul_hi_u32 v4, v2, v4
	s_delay_alu instid0(VALU_DEP_1) | instskip(NEXT) | instid1(VALU_DEP_1)
	v_add_nc_u32_e32 v2, v2, v4
	v_mul_hi_u32 v2, v3, v2
	s_delay_alu instid0(VALU_DEP_1) | instskip(NEXT) | instid1(VALU_DEP_1)
	v_mul_lo_u32 v4, v2, s8
	v_sub_nc_u32_e32 v3, v3, v4
	v_add_nc_u32_e32 v4, 1, v2
	s_delay_alu instid0(VALU_DEP_2) | instskip(SKIP_1) | instid1(VALU_DEP_2)
	v_subrev_nc_u32_e32 v7, s8, v3
	v_cmp_le_u32_e32 vcc_lo, s8, v3
	v_dual_cndmask_b32 v3, v3, v7 :: v_dual_cndmask_b32 v2, v2, v4
	s_delay_alu instid0(VALU_DEP_1) | instskip(NEXT) | instid1(VALU_DEP_2)
	v_cmp_le_u32_e32 vcc_lo, s8, v3
	v_add_nc_u32_e32 v4, 1, v2
	s_delay_alu instid0(VALU_DEP_1)
	v_cndmask_b32_e32 v7, v2, v4, vcc_lo
.LBB63_32:                              ;   in Loop: Header=BB63_4 Depth=1
	s_or_b32 exec_lo, exec_lo, s5
	v_add_co_u32 v2, vcc_lo, v15, s12
	v_add_co_ci_u32_e32 v3, vcc_lo, s13, v16, vcc_lo
	global_store_b64 v[2:3], v[7:8], off
	s_or_b32 exec_lo, exec_lo, s20
	s_and_saveexec_b32 s5, s2
	s_cbranch_execz .LBB63_24
.LBB63_33:                              ;   in Loop: Header=BB63_4 Depth=1
	v_add_co_u32 v2, vcc_lo, v33, s12
	v_add_co_ci_u32_e32 v3, vcc_lo, s13, v34, vcc_lo
	global_store_b64 v[2:3], v[5:6], off
	s_or_b32 exec_lo, exec_lo, s5
	s_and_saveexec_b32 s2, s3
	s_cbranch_execz .LBB63_25
.LBB63_34:                              ;   in Loop: Header=BB63_4 Depth=1
	v_add_co_u32 v2, vcc_lo, v26, s12
	v_add_co_ci_u32_e32 v3, vcc_lo, s13, v27, vcc_lo
	global_store_b64 v[2:3], v[9:10], off
	s_or_b32 exec_lo, exec_lo, s2
	s_and_saveexec_b32 s2, s4
	s_cbranch_execz .LBB63_3
.LBB63_35:                              ;   in Loop: Header=BB63_4 Depth=1
	v_add_co_u32 v2, vcc_lo, v19, s12
	v_add_co_ci_u32_e32 v3, vcc_lo, s13, v20, vcc_lo
	global_store_b64 v[2:3], v[11:12], off
	s_branch .LBB63_3
.LBB63_36:
	s_mov_b32 s6, 0
.LBB63_37:
	s_delay_alu instid0(SALU_CYCLE_1)
	s_and_not1_b32 vcc_lo, exec_lo, s6
	s_cbranch_vccnz .LBB63_57
; %bb.38:
	v_dual_mov_b32 v12, 0 :: v_dual_lshlrev_b32 v1, 2, v0
	s_mov_b32 s6, 0
	s_mov_b32 s2, exec_lo
	s_delay_alu instid0(VALU_DEP_1) | instskip(NEXT) | instid1(VALU_DEP_1)
	v_mov_b32_e32 v2, v12
	v_cmpx_gt_i64_e64 s[10:11], v[1:2]
	s_cbranch_execz .LBB63_57
; %bb.39:
	v_cvt_f32_u32_e32 v1, s8
	s_load_b32 s0, s[0:1], 0xe54
	s_sub_i32 s1, 0, s8
	v_mov_b32_e32 v15, v12
	s_ashr_i32 s2, s9, 31
	v_rcp_iflag_f32_e32 v1, v1
	s_waitcnt_depctr 0xfff
	v_dual_mul_f32 v1, 0x4f7ffffe, v1 :: v_dual_lshlrev_b32 v16, 5, v0
	s_delay_alu instid0(VALU_DEP_1) | instskip(SKIP_2) | instid1(SALU_CYCLE_1)
	v_cvt_u32_f32_e32 v1, v1
	s_waitcnt lgkmcnt(0)
	s_and_b32 s0, s0, 0xffff
	v_add_lshl_u32 v14, v0, s0, 2
	s_lshl_b32 s7, s0, 5
	v_mul_lo_u32 v2, s1, v1
	s_lshl_b32 s1, s0, 2
	s_delay_alu instid0(VALU_DEP_1) | instskip(NEXT) | instid1(VALU_DEP_1)
	v_mul_hi_u32 v2, v1, v2
	v_add_nc_u32_e32 v17, v1, v2
	s_branch .LBB63_41
.LBB63_40:                              ;   in Loop: Header=BB63_41 Depth=1
	s_or_b32 exec_lo, exec_lo, s0
	v_cmp_le_i64_e32 vcc_lo, s[10:11], v[14:15]
	v_cmp_lt_u64_e64 s0, 0xffff, v[14:15]
	v_add_co_u32 v0, s3, s24, v16
	s_delay_alu instid0(VALU_DEP_1)
	v_add_co_ci_u32_e64 v1, null, s25, 0, s3
	s_clause 0x1
	global_store_b128 v[0:1], v[4:7], off
	global_store_b128 v[0:1], v[8:11], off offset:16
	s_or_b32 s0, vcc_lo, s0
	s_add_u32 s22, s22, s7
	v_add_co_u32 v14, vcc_lo, v14, s1
	s_addc_u32 s23, s23, 0
	s_add_u32 s24, s24, s7
	v_add_co_ci_u32_e32 v15, vcc_lo, 0, v15, vcc_lo
	s_addc_u32 s25, s25, 0
	s_and_b32 s0, exec_lo, s0
	s_delay_alu instid0(SALU_CYCLE_1) | instskip(NEXT) | instid1(SALU_CYCLE_1)
	s_or_b32 s6, s0, s6
	s_and_not1_b32 exec_lo, exec_lo, s6
	s_cbranch_execz .LBB63_57
.LBB63_41:                              ; =>This Inner Loop Header: Depth=1
	v_add_co_u32 v0, s0, s22, v16
	s_delay_alu instid0(VALU_DEP_1)
	v_add_co_ci_u32_e64 v1, null, s23, 0, s0
                                        ; implicit-def: $vgpr4_vgpr5
	s_mov_b32 s0, exec_lo
	s_clause 0x1
	global_load_b128 v[6:9], v[0:1], off
	global_load_b128 v[0:3], v[0:1], off offset:16
	s_waitcnt vmcnt(1)
	v_or_b32_e32 v13, s9, v7
	s_delay_alu instid0(VALU_DEP_1)
	v_cmpx_ne_u64_e32 0, v[12:13]
	s_xor_b32 s12, exec_lo, s0
	s_cbranch_execz .LBB63_43
; %bb.42:                               ;   in Loop: Header=BB63_41 Depth=1
	s_add_u32 s4, s8, s2
	s_mov_b32 s3, s2
	s_addc_u32 s5, s9, s2
	s_delay_alu instid0(SALU_CYCLE_1) | instskip(NEXT) | instid1(SALU_CYCLE_1)
	s_xor_b64 s[4:5], s[4:5], s[2:3]
	v_cvt_f32_u32_e32 v4, s4
	v_cvt_f32_u32_e32 v5, s5
	s_sub_u32 s0, 0, s4
	s_subb_u32 s3, 0, s5
	s_delay_alu instid0(VALU_DEP_1) | instskip(NEXT) | instid1(VALU_DEP_1)
	v_fmac_f32_e32 v4, 0x4f800000, v5
	v_rcp_f32_e32 v4, v4
	s_waitcnt_depctr 0xfff
	v_mul_f32_e32 v4, 0x5f7ffffc, v4
	s_delay_alu instid0(VALU_DEP_1) | instskip(NEXT) | instid1(VALU_DEP_1)
	v_mul_f32_e32 v5, 0x2f800000, v4
	v_trunc_f32_e32 v5, v5
	s_delay_alu instid0(VALU_DEP_1) | instskip(SKIP_1) | instid1(VALU_DEP_2)
	v_fmac_f32_e32 v4, 0xcf800000, v5
	v_cvt_u32_f32_e32 v5, v5
	v_cvt_u32_f32_e32 v4, v4
	s_delay_alu instid0(VALU_DEP_2) | instskip(NEXT) | instid1(VALU_DEP_2)
	v_mul_lo_u32 v10, s0, v5
	v_mul_hi_u32 v11, s0, v4
	v_mul_lo_u32 v13, s3, v4
	s_delay_alu instid0(VALU_DEP_2) | instskip(SKIP_1) | instid1(VALU_DEP_2)
	v_add_nc_u32_e32 v10, v11, v10
	v_mul_lo_u32 v11, s0, v4
	v_add_nc_u32_e32 v10, v10, v13
	s_delay_alu instid0(VALU_DEP_2) | instskip(NEXT) | instid1(VALU_DEP_2)
	v_mul_hi_u32 v13, v4, v11
	v_mul_lo_u32 v18, v4, v10
	v_mul_hi_u32 v19, v4, v10
	v_mul_hi_u32 v20, v5, v11
	v_mul_lo_u32 v11, v5, v11
	v_mul_hi_u32 v21, v5, v10
	v_mul_lo_u32 v10, v5, v10
	v_add_co_u32 v13, vcc_lo, v13, v18
	v_add_co_ci_u32_e32 v18, vcc_lo, 0, v19, vcc_lo
	s_delay_alu instid0(VALU_DEP_2) | instskip(NEXT) | instid1(VALU_DEP_2)
	v_add_co_u32 v11, vcc_lo, v13, v11
	v_add_co_ci_u32_e32 v11, vcc_lo, v18, v20, vcc_lo
	v_add_co_ci_u32_e32 v13, vcc_lo, 0, v21, vcc_lo
	v_ashrrev_i32_e32 v20, 31, v7
	s_delay_alu instid0(VALU_DEP_3) | instskip(NEXT) | instid1(VALU_DEP_3)
	v_add_co_u32 v10, vcc_lo, v11, v10
	v_add_co_ci_u32_e32 v11, vcc_lo, 0, v13, vcc_lo
	s_delay_alu instid0(VALU_DEP_2) | instskip(NEXT) | instid1(VALU_DEP_2)
	v_add_co_u32 v4, vcc_lo, v4, v10
	v_add_co_ci_u32_e32 v5, vcc_lo, v5, v11, vcc_lo
	s_delay_alu instid0(VALU_DEP_2) | instskip(SKIP_1) | instid1(VALU_DEP_3)
	v_mul_hi_u32 v10, s0, v4
	v_mul_lo_u32 v13, s3, v4
	v_mul_lo_u32 v11, s0, v5
	s_delay_alu instid0(VALU_DEP_1) | instskip(SKIP_1) | instid1(VALU_DEP_2)
	v_add_nc_u32_e32 v10, v10, v11
	v_mul_lo_u32 v11, s0, v4
	v_add_nc_u32_e32 v10, v10, v13
	s_delay_alu instid0(VALU_DEP_2) | instskip(NEXT) | instid1(VALU_DEP_2)
	v_mul_hi_u32 v13, v4, v11
	v_mul_lo_u32 v18, v4, v10
	v_mul_hi_u32 v19, v4, v10
	v_mul_hi_u32 v21, v5, v11
	v_mul_lo_u32 v11, v5, v11
	v_mul_hi_u32 v22, v5, v10
	v_mul_lo_u32 v10, v5, v10
	v_add_co_u32 v13, vcc_lo, v13, v18
	v_add_co_ci_u32_e32 v18, vcc_lo, 0, v19, vcc_lo
	s_delay_alu instid0(VALU_DEP_2) | instskip(NEXT) | instid1(VALU_DEP_2)
	v_add_co_u32 v11, vcc_lo, v13, v11
	v_add_co_ci_u32_e32 v11, vcc_lo, v18, v21, vcc_lo
	v_add_co_ci_u32_e32 v13, vcc_lo, 0, v22, vcc_lo
	v_add_co_u32 v6, vcc_lo, v6, v20
	v_add_co_ci_u32_e32 v7, vcc_lo, v7, v20, vcc_lo
	s_delay_alu instid0(VALU_DEP_4) | instskip(NEXT) | instid1(VALU_DEP_4)
	v_add_co_u32 v10, vcc_lo, v11, v10
	v_add_co_ci_u32_e32 v11, vcc_lo, 0, v13, vcc_lo
	s_delay_alu instid0(VALU_DEP_4) | instskip(NEXT) | instid1(VALU_DEP_3)
	v_xor_b32_e32 v13, v6, v20
	v_add_co_u32 v10, vcc_lo, v4, v10
	s_delay_alu instid0(VALU_DEP_3) | instskip(SKIP_1) | instid1(VALU_DEP_3)
	v_add_co_ci_u32_e32 v18, vcc_lo, v5, v11, vcc_lo
	v_xor_b32_e32 v19, v7, v20
	v_mul_hi_u32 v21, v13, v10
	s_delay_alu instid0(VALU_DEP_3) | instskip(NEXT) | instid1(VALU_DEP_3)
	v_mad_u64_u32 v[4:5], null, v13, v18, 0
	v_mad_u64_u32 v[6:7], null, v19, v10, 0
	;; [unrolled: 1-line block ×3, first 2 shown]
	s_delay_alu instid0(VALU_DEP_3) | instskip(NEXT) | instid1(VALU_DEP_4)
	v_add_co_u32 v4, vcc_lo, v21, v4
	v_add_co_ci_u32_e32 v5, vcc_lo, 0, v5, vcc_lo
	s_delay_alu instid0(VALU_DEP_2) | instskip(NEXT) | instid1(VALU_DEP_2)
	v_add_co_u32 v4, vcc_lo, v4, v6
	v_add_co_ci_u32_e32 v4, vcc_lo, v5, v7, vcc_lo
	v_add_co_ci_u32_e32 v5, vcc_lo, 0, v11, vcc_lo
	s_delay_alu instid0(VALU_DEP_2) | instskip(NEXT) | instid1(VALU_DEP_2)
	v_add_co_u32 v6, vcc_lo, v4, v10
	v_add_co_ci_u32_e32 v7, vcc_lo, 0, v5, vcc_lo
	s_delay_alu instid0(VALU_DEP_2) | instskip(SKIP_1) | instid1(VALU_DEP_3)
	v_mul_lo_u32 v10, s5, v6
	v_mad_u64_u32 v[4:5], null, s4, v6, 0
	v_mul_lo_u32 v11, s4, v7
	s_delay_alu instid0(VALU_DEP_2) | instskip(NEXT) | instid1(VALU_DEP_2)
	v_sub_co_u32 v4, vcc_lo, v13, v4
	v_add3_u32 v5, v5, v11, v10
	s_delay_alu instid0(VALU_DEP_1) | instskip(NEXT) | instid1(VALU_DEP_1)
	v_sub_nc_u32_e32 v10, v19, v5
	v_subrev_co_ci_u32_e64 v10, s0, s5, v10, vcc_lo
	v_add_co_u32 v11, s0, v6, 2
	s_delay_alu instid0(VALU_DEP_1) | instskip(SKIP_3) | instid1(VALU_DEP_3)
	v_add_co_ci_u32_e64 v13, s0, 0, v7, s0
	v_sub_co_u32 v18, s0, v4, s4
	v_sub_co_ci_u32_e32 v5, vcc_lo, v19, v5, vcc_lo
	v_subrev_co_ci_u32_e64 v10, s0, 0, v10, s0
	v_cmp_le_u32_e32 vcc_lo, s4, v18
	s_delay_alu instid0(VALU_DEP_3) | instskip(SKIP_1) | instid1(VALU_DEP_4)
	v_cmp_eq_u32_e64 s0, s5, v5
	v_cndmask_b32_e64 v18, 0, -1, vcc_lo
	v_cmp_le_u32_e32 vcc_lo, s5, v10
	v_cndmask_b32_e64 v19, 0, -1, vcc_lo
	v_cmp_le_u32_e32 vcc_lo, s4, v4
	;; [unrolled: 2-line block ×3, first 2 shown]
	v_cndmask_b32_e64 v21, 0, -1, vcc_lo
	v_cmp_eq_u32_e32 vcc_lo, s5, v10
	s_delay_alu instid0(VALU_DEP_2) | instskip(SKIP_3) | instid1(VALU_DEP_3)
	v_cndmask_b32_e64 v4, v21, v4, s0
	v_cndmask_b32_e32 v10, v19, v18, vcc_lo
	v_add_co_u32 v18, vcc_lo, v6, 1
	v_add_co_ci_u32_e32 v19, vcc_lo, 0, v7, vcc_lo
	v_cmp_ne_u32_e32 vcc_lo, 0, v10
	s_delay_alu instid0(VALU_DEP_2) | instskip(SKIP_2) | instid1(VALU_DEP_3)
	v_dual_cndmask_b32 v5, v19, v13 :: v_dual_cndmask_b32 v10, v18, v11
	v_cmp_ne_u32_e32 vcc_lo, 0, v4
	v_xor_b32_e32 v11, s2, v20
	v_dual_cndmask_b32 v4, v7, v5 :: v_dual_cndmask_b32 v5, v6, v10
	s_delay_alu instid0(VALU_DEP_1) | instskip(NEXT) | instid1(VALU_DEP_2)
	v_xor_b32_e32 v6, v4, v11
	v_xor_b32_e32 v5, v5, v11
	s_delay_alu instid0(VALU_DEP_1) | instskip(NEXT) | instid1(VALU_DEP_3)
	v_sub_co_u32 v4, vcc_lo, v5, v11
	v_sub_co_ci_u32_e32 v5, vcc_lo, v6, v11, vcc_lo
.LBB63_43:                              ;   in Loop: Header=BB63_41 Depth=1
	s_and_not1_saveexec_b32 s0, s12
; %bb.44:                               ;   in Loop: Header=BB63_41 Depth=1
	v_mul_hi_u32 v4, v6, v17
	s_delay_alu instid0(VALU_DEP_1) | instskip(NEXT) | instid1(VALU_DEP_1)
	v_mul_lo_u32 v5, v4, s8
	v_sub_nc_u32_e32 v5, v6, v5
	s_delay_alu instid0(VALU_DEP_1) | instskip(SKIP_1) | instid1(VALU_DEP_2)
	v_subrev_nc_u32_e32 v7, s8, v5
	v_cmp_le_u32_e32 vcc_lo, s8, v5
	v_dual_cndmask_b32 v5, v5, v7 :: v_dual_add_nc_u32 v6, 1, v4
	s_delay_alu instid0(VALU_DEP_1) | instskip(NEXT) | instid1(VALU_DEP_2)
	v_cndmask_b32_e32 v4, v4, v6, vcc_lo
	v_cmp_le_u32_e32 vcc_lo, s8, v5
	s_delay_alu instid0(VALU_DEP_2) | instskip(NEXT) | instid1(VALU_DEP_1)
	v_dual_mov_b32 v5, v12 :: v_dual_add_nc_u32 v6, 1, v4
	v_cndmask_b32_e32 v4, v4, v6, vcc_lo
; %bb.45:                               ;   in Loop: Header=BB63_41 Depth=1
	s_or_b32 exec_lo, exec_lo, s0
	v_or_b32_e32 v13, s9, v9
	s_mov_b32 s0, exec_lo
	s_delay_alu instid0(VALU_DEP_1)
	v_cmpx_ne_u64_e32 0, v[12:13]
	s_xor_b32 s12, exec_lo, s0
	s_cbranch_execz .LBB63_47
; %bb.46:                               ;   in Loop: Header=BB63_41 Depth=1
	s_add_u32 s4, s8, s2
	s_mov_b32 s3, s2
	s_addc_u32 s5, s9, s2
	s_delay_alu instid0(SALU_CYCLE_1) | instskip(NEXT) | instid1(SALU_CYCLE_1)
	s_xor_b64 s[4:5], s[4:5], s[2:3]
	v_cvt_f32_u32_e32 v6, s4
	v_cvt_f32_u32_e32 v7, s5
	s_sub_u32 s0, 0, s4
	s_subb_u32 s3, 0, s5
	s_delay_alu instid0(VALU_DEP_1) | instskip(NEXT) | instid1(VALU_DEP_1)
	v_fmac_f32_e32 v6, 0x4f800000, v7
	v_rcp_f32_e32 v6, v6
	s_waitcnt_depctr 0xfff
	v_mul_f32_e32 v6, 0x5f7ffffc, v6
	s_delay_alu instid0(VALU_DEP_1) | instskip(NEXT) | instid1(VALU_DEP_1)
	v_mul_f32_e32 v7, 0x2f800000, v6
	v_trunc_f32_e32 v7, v7
	s_delay_alu instid0(VALU_DEP_1) | instskip(SKIP_1) | instid1(VALU_DEP_2)
	v_fmac_f32_e32 v6, 0xcf800000, v7
	v_cvt_u32_f32_e32 v7, v7
	v_cvt_u32_f32_e32 v6, v6
	s_delay_alu instid0(VALU_DEP_2) | instskip(NEXT) | instid1(VALU_DEP_2)
	v_mul_lo_u32 v10, s0, v7
	v_mul_hi_u32 v11, s0, v6
	v_mul_lo_u32 v13, s3, v6
	s_delay_alu instid0(VALU_DEP_2) | instskip(SKIP_1) | instid1(VALU_DEP_2)
	v_add_nc_u32_e32 v10, v11, v10
	v_mul_lo_u32 v11, s0, v6
	v_add_nc_u32_e32 v10, v10, v13
	s_delay_alu instid0(VALU_DEP_2) | instskip(NEXT) | instid1(VALU_DEP_2)
	v_mul_hi_u32 v13, v6, v11
	v_mul_lo_u32 v18, v6, v10
	v_mul_hi_u32 v19, v6, v10
	v_mul_hi_u32 v20, v7, v11
	v_mul_lo_u32 v11, v7, v11
	v_mul_hi_u32 v21, v7, v10
	v_mul_lo_u32 v10, v7, v10
	v_add_co_u32 v13, vcc_lo, v13, v18
	v_add_co_ci_u32_e32 v18, vcc_lo, 0, v19, vcc_lo
	s_delay_alu instid0(VALU_DEP_2) | instskip(NEXT) | instid1(VALU_DEP_2)
	v_add_co_u32 v11, vcc_lo, v13, v11
	v_add_co_ci_u32_e32 v11, vcc_lo, v18, v20, vcc_lo
	v_add_co_ci_u32_e32 v13, vcc_lo, 0, v21, vcc_lo
	v_ashrrev_i32_e32 v20, 31, v9
	s_delay_alu instid0(VALU_DEP_3) | instskip(NEXT) | instid1(VALU_DEP_3)
	v_add_co_u32 v10, vcc_lo, v11, v10
	v_add_co_ci_u32_e32 v11, vcc_lo, 0, v13, vcc_lo
	s_delay_alu instid0(VALU_DEP_2) | instskip(NEXT) | instid1(VALU_DEP_2)
	v_add_co_u32 v6, vcc_lo, v6, v10
	v_add_co_ci_u32_e32 v7, vcc_lo, v7, v11, vcc_lo
	s_delay_alu instid0(VALU_DEP_2) | instskip(SKIP_1) | instid1(VALU_DEP_3)
	v_mul_hi_u32 v10, s0, v6
	v_mul_lo_u32 v13, s3, v6
	v_mul_lo_u32 v11, s0, v7
	s_delay_alu instid0(VALU_DEP_1) | instskip(SKIP_1) | instid1(VALU_DEP_2)
	v_add_nc_u32_e32 v10, v10, v11
	v_mul_lo_u32 v11, s0, v6
	v_add_nc_u32_e32 v10, v10, v13
	s_delay_alu instid0(VALU_DEP_2) | instskip(NEXT) | instid1(VALU_DEP_2)
	v_mul_hi_u32 v13, v6, v11
	v_mul_lo_u32 v18, v6, v10
	v_mul_hi_u32 v19, v6, v10
	v_mul_hi_u32 v21, v7, v11
	v_mul_lo_u32 v11, v7, v11
	v_mul_hi_u32 v22, v7, v10
	v_mul_lo_u32 v10, v7, v10
	v_add_co_u32 v13, vcc_lo, v13, v18
	v_add_co_ci_u32_e32 v18, vcc_lo, 0, v19, vcc_lo
	s_delay_alu instid0(VALU_DEP_2) | instskip(NEXT) | instid1(VALU_DEP_2)
	v_add_co_u32 v11, vcc_lo, v13, v11
	v_add_co_ci_u32_e32 v11, vcc_lo, v18, v21, vcc_lo
	v_add_co_ci_u32_e32 v13, vcc_lo, 0, v22, vcc_lo
	v_add_co_u32 v8, vcc_lo, v8, v20
	v_add_co_ci_u32_e32 v9, vcc_lo, v9, v20, vcc_lo
	s_delay_alu instid0(VALU_DEP_4) | instskip(NEXT) | instid1(VALU_DEP_4)
	v_add_co_u32 v10, vcc_lo, v11, v10
	v_add_co_ci_u32_e32 v11, vcc_lo, 0, v13, vcc_lo
	s_delay_alu instid0(VALU_DEP_4) | instskip(NEXT) | instid1(VALU_DEP_3)
	v_xor_b32_e32 v13, v8, v20
	v_add_co_u32 v10, vcc_lo, v6, v10
	s_delay_alu instid0(VALU_DEP_3) | instskip(SKIP_1) | instid1(VALU_DEP_3)
	v_add_co_ci_u32_e32 v18, vcc_lo, v7, v11, vcc_lo
	v_xor_b32_e32 v19, v9, v20
	v_mul_hi_u32 v21, v13, v10
	s_delay_alu instid0(VALU_DEP_3) | instskip(NEXT) | instid1(VALU_DEP_3)
	v_mad_u64_u32 v[6:7], null, v13, v18, 0
	v_mad_u64_u32 v[8:9], null, v19, v10, 0
	;; [unrolled: 1-line block ×3, first 2 shown]
	s_delay_alu instid0(VALU_DEP_3) | instskip(NEXT) | instid1(VALU_DEP_4)
	v_add_co_u32 v6, vcc_lo, v21, v6
	v_add_co_ci_u32_e32 v7, vcc_lo, 0, v7, vcc_lo
	s_delay_alu instid0(VALU_DEP_2) | instskip(NEXT) | instid1(VALU_DEP_2)
	v_add_co_u32 v6, vcc_lo, v6, v8
	v_add_co_ci_u32_e32 v6, vcc_lo, v7, v9, vcc_lo
	v_add_co_ci_u32_e32 v7, vcc_lo, 0, v11, vcc_lo
	s_delay_alu instid0(VALU_DEP_2) | instskip(NEXT) | instid1(VALU_DEP_2)
	v_add_co_u32 v8, vcc_lo, v6, v10
	v_add_co_ci_u32_e32 v9, vcc_lo, 0, v7, vcc_lo
	s_delay_alu instid0(VALU_DEP_2) | instskip(SKIP_1) | instid1(VALU_DEP_3)
	v_mul_lo_u32 v10, s5, v8
	v_mad_u64_u32 v[6:7], null, s4, v8, 0
	v_mul_lo_u32 v11, s4, v9
	s_delay_alu instid0(VALU_DEP_2) | instskip(NEXT) | instid1(VALU_DEP_2)
	v_sub_co_u32 v6, vcc_lo, v13, v6
	v_add3_u32 v7, v7, v11, v10
	s_delay_alu instid0(VALU_DEP_1) | instskip(NEXT) | instid1(VALU_DEP_1)
	v_sub_nc_u32_e32 v10, v19, v7
	v_subrev_co_ci_u32_e64 v10, s0, s5, v10, vcc_lo
	v_add_co_u32 v11, s0, v8, 2
	s_delay_alu instid0(VALU_DEP_1) | instskip(SKIP_3) | instid1(VALU_DEP_3)
	v_add_co_ci_u32_e64 v13, s0, 0, v9, s0
	v_sub_co_u32 v18, s0, v6, s4
	v_sub_co_ci_u32_e32 v7, vcc_lo, v19, v7, vcc_lo
	v_subrev_co_ci_u32_e64 v10, s0, 0, v10, s0
	v_cmp_le_u32_e32 vcc_lo, s4, v18
	s_delay_alu instid0(VALU_DEP_3) | instskip(SKIP_1) | instid1(VALU_DEP_4)
	v_cmp_eq_u32_e64 s0, s5, v7
	v_cndmask_b32_e64 v18, 0, -1, vcc_lo
	v_cmp_le_u32_e32 vcc_lo, s5, v10
	v_cndmask_b32_e64 v19, 0, -1, vcc_lo
	v_cmp_le_u32_e32 vcc_lo, s4, v6
	;; [unrolled: 2-line block ×3, first 2 shown]
	v_cndmask_b32_e64 v21, 0, -1, vcc_lo
	v_cmp_eq_u32_e32 vcc_lo, s5, v10
	s_delay_alu instid0(VALU_DEP_2) | instskip(SKIP_3) | instid1(VALU_DEP_3)
	v_cndmask_b32_e64 v6, v21, v6, s0
	v_cndmask_b32_e32 v10, v19, v18, vcc_lo
	v_add_co_u32 v18, vcc_lo, v8, 1
	v_add_co_ci_u32_e32 v19, vcc_lo, 0, v9, vcc_lo
	v_cmp_ne_u32_e32 vcc_lo, 0, v10
	s_delay_alu instid0(VALU_DEP_2) | instskip(SKIP_2) | instid1(VALU_DEP_3)
	v_dual_cndmask_b32 v7, v19, v13 :: v_dual_cndmask_b32 v10, v18, v11
	v_cmp_ne_u32_e32 vcc_lo, 0, v6
	v_xor_b32_e32 v11, s2, v20
	v_dual_cndmask_b32 v6, v9, v7 :: v_dual_cndmask_b32 v7, v8, v10
	s_delay_alu instid0(VALU_DEP_1) | instskip(NEXT) | instid1(VALU_DEP_2)
	v_xor_b32_e32 v8, v6, v11
	v_xor_b32_e32 v7, v7, v11
	s_delay_alu instid0(VALU_DEP_1) | instskip(NEXT) | instid1(VALU_DEP_3)
	v_sub_co_u32 v6, vcc_lo, v7, v11
	v_sub_co_ci_u32_e32 v7, vcc_lo, v8, v11, vcc_lo
                                        ; implicit-def: $vgpr8_vgpr9
.LBB63_47:                              ;   in Loop: Header=BB63_41 Depth=1
	s_and_not1_saveexec_b32 s0, s12
; %bb.48:                               ;   in Loop: Header=BB63_41 Depth=1
	v_mul_hi_u32 v6, v8, v17
	s_delay_alu instid0(VALU_DEP_1) | instskip(NEXT) | instid1(VALU_DEP_1)
	v_mul_lo_u32 v7, v6, s8
	v_sub_nc_u32_e32 v7, v8, v7
	s_delay_alu instid0(VALU_DEP_1) | instskip(SKIP_1) | instid1(VALU_DEP_2)
	v_subrev_nc_u32_e32 v9, s8, v7
	v_cmp_le_u32_e32 vcc_lo, s8, v7
	v_dual_cndmask_b32 v7, v7, v9 :: v_dual_add_nc_u32 v8, 1, v6
	s_delay_alu instid0(VALU_DEP_1) | instskip(NEXT) | instid1(VALU_DEP_2)
	v_cndmask_b32_e32 v6, v6, v8, vcc_lo
	v_cmp_le_u32_e32 vcc_lo, s8, v7
	s_delay_alu instid0(VALU_DEP_2) | instskip(NEXT) | instid1(VALU_DEP_1)
	v_dual_mov_b32 v7, v12 :: v_dual_add_nc_u32 v8, 1, v6
	v_cndmask_b32_e32 v6, v6, v8, vcc_lo
; %bb.49:                               ;   in Loop: Header=BB63_41 Depth=1
	s_or_b32 exec_lo, exec_lo, s0
	s_waitcnt vmcnt(0)
	v_or_b32_e32 v13, s9, v1
                                        ; implicit-def: $vgpr8_vgpr9
	s_mov_b32 s0, exec_lo
	s_delay_alu instid0(VALU_DEP_1)
	v_cmpx_ne_u64_e32 0, v[12:13]
	s_xor_b32 s12, exec_lo, s0
	s_cbranch_execz .LBB63_51
; %bb.50:                               ;   in Loop: Header=BB63_41 Depth=1
	s_add_u32 s4, s8, s2
	s_mov_b32 s3, s2
	s_addc_u32 s5, s9, s2
	s_delay_alu instid0(SALU_CYCLE_1) | instskip(NEXT) | instid1(SALU_CYCLE_1)
	s_xor_b64 s[4:5], s[4:5], s[2:3]
	v_cvt_f32_u32_e32 v8, s4
	v_cvt_f32_u32_e32 v9, s5
	s_sub_u32 s0, 0, s4
	s_subb_u32 s3, 0, s5
	s_delay_alu instid0(VALU_DEP_1) | instskip(NEXT) | instid1(VALU_DEP_1)
	v_fmac_f32_e32 v8, 0x4f800000, v9
	v_rcp_f32_e32 v8, v8
	s_waitcnt_depctr 0xfff
	v_mul_f32_e32 v8, 0x5f7ffffc, v8
	s_delay_alu instid0(VALU_DEP_1) | instskip(NEXT) | instid1(VALU_DEP_1)
	v_mul_f32_e32 v9, 0x2f800000, v8
	v_trunc_f32_e32 v9, v9
	s_delay_alu instid0(VALU_DEP_1) | instskip(SKIP_1) | instid1(VALU_DEP_2)
	v_fmac_f32_e32 v8, 0xcf800000, v9
	v_cvt_u32_f32_e32 v9, v9
	v_cvt_u32_f32_e32 v8, v8
	s_delay_alu instid0(VALU_DEP_2) | instskip(NEXT) | instid1(VALU_DEP_2)
	v_mul_lo_u32 v10, s0, v9
	v_mul_hi_u32 v11, s0, v8
	v_mul_lo_u32 v13, s3, v8
	s_delay_alu instid0(VALU_DEP_2) | instskip(SKIP_1) | instid1(VALU_DEP_2)
	v_add_nc_u32_e32 v10, v11, v10
	v_mul_lo_u32 v11, s0, v8
	v_add_nc_u32_e32 v10, v10, v13
	s_delay_alu instid0(VALU_DEP_2) | instskip(NEXT) | instid1(VALU_DEP_2)
	v_mul_hi_u32 v13, v8, v11
	v_mul_lo_u32 v18, v8, v10
	v_mul_hi_u32 v19, v8, v10
	v_mul_hi_u32 v20, v9, v11
	v_mul_lo_u32 v11, v9, v11
	v_mul_hi_u32 v21, v9, v10
	v_mul_lo_u32 v10, v9, v10
	v_add_co_u32 v13, vcc_lo, v13, v18
	v_add_co_ci_u32_e32 v18, vcc_lo, 0, v19, vcc_lo
	s_delay_alu instid0(VALU_DEP_2) | instskip(NEXT) | instid1(VALU_DEP_2)
	v_add_co_u32 v11, vcc_lo, v13, v11
	v_add_co_ci_u32_e32 v11, vcc_lo, v18, v20, vcc_lo
	v_add_co_ci_u32_e32 v13, vcc_lo, 0, v21, vcc_lo
	v_ashrrev_i32_e32 v20, 31, v1
	s_delay_alu instid0(VALU_DEP_3) | instskip(NEXT) | instid1(VALU_DEP_3)
	v_add_co_u32 v10, vcc_lo, v11, v10
	v_add_co_ci_u32_e32 v11, vcc_lo, 0, v13, vcc_lo
	s_delay_alu instid0(VALU_DEP_2) | instskip(NEXT) | instid1(VALU_DEP_2)
	v_add_co_u32 v8, vcc_lo, v8, v10
	v_add_co_ci_u32_e32 v9, vcc_lo, v9, v11, vcc_lo
	s_delay_alu instid0(VALU_DEP_2) | instskip(SKIP_1) | instid1(VALU_DEP_3)
	v_mul_hi_u32 v10, s0, v8
	v_mul_lo_u32 v13, s3, v8
	v_mul_lo_u32 v11, s0, v9
	s_delay_alu instid0(VALU_DEP_1) | instskip(SKIP_1) | instid1(VALU_DEP_2)
	v_add_nc_u32_e32 v10, v10, v11
	v_mul_lo_u32 v11, s0, v8
	v_add_nc_u32_e32 v10, v10, v13
	s_delay_alu instid0(VALU_DEP_2) | instskip(NEXT) | instid1(VALU_DEP_2)
	v_mul_hi_u32 v13, v8, v11
	v_mul_lo_u32 v18, v8, v10
	v_mul_hi_u32 v19, v8, v10
	v_mul_hi_u32 v21, v9, v11
	v_mul_lo_u32 v11, v9, v11
	v_mul_hi_u32 v22, v9, v10
	v_mul_lo_u32 v10, v9, v10
	v_add_co_u32 v13, vcc_lo, v13, v18
	v_add_co_ci_u32_e32 v18, vcc_lo, 0, v19, vcc_lo
	s_delay_alu instid0(VALU_DEP_2) | instskip(NEXT) | instid1(VALU_DEP_2)
	v_add_co_u32 v11, vcc_lo, v13, v11
	v_add_co_ci_u32_e32 v11, vcc_lo, v18, v21, vcc_lo
	v_add_co_ci_u32_e32 v13, vcc_lo, 0, v22, vcc_lo
	v_add_co_u32 v0, vcc_lo, v0, v20
	v_add_co_ci_u32_e32 v1, vcc_lo, v1, v20, vcc_lo
	s_delay_alu instid0(VALU_DEP_4) | instskip(NEXT) | instid1(VALU_DEP_4)
	v_add_co_u32 v10, vcc_lo, v11, v10
	v_add_co_ci_u32_e32 v11, vcc_lo, 0, v13, vcc_lo
	s_delay_alu instid0(VALU_DEP_4) | instskip(NEXT) | instid1(VALU_DEP_3)
	v_xor_b32_e32 v13, v0, v20
	v_add_co_u32 v10, vcc_lo, v8, v10
	s_delay_alu instid0(VALU_DEP_3) | instskip(SKIP_1) | instid1(VALU_DEP_3)
	v_add_co_ci_u32_e32 v18, vcc_lo, v9, v11, vcc_lo
	v_xor_b32_e32 v19, v1, v20
	v_mul_hi_u32 v21, v13, v10
	s_delay_alu instid0(VALU_DEP_3) | instskip(NEXT) | instid1(VALU_DEP_3)
	v_mad_u64_u32 v[0:1], null, v13, v18, 0
	v_mad_u64_u32 v[8:9], null, v19, v10, 0
	;; [unrolled: 1-line block ×3, first 2 shown]
	s_delay_alu instid0(VALU_DEP_3) | instskip(NEXT) | instid1(VALU_DEP_4)
	v_add_co_u32 v0, vcc_lo, v21, v0
	v_add_co_ci_u32_e32 v1, vcc_lo, 0, v1, vcc_lo
	s_delay_alu instid0(VALU_DEP_2) | instskip(NEXT) | instid1(VALU_DEP_2)
	v_add_co_u32 v0, vcc_lo, v0, v8
	v_add_co_ci_u32_e32 v0, vcc_lo, v1, v9, vcc_lo
	v_add_co_ci_u32_e32 v1, vcc_lo, 0, v11, vcc_lo
	s_delay_alu instid0(VALU_DEP_2) | instskip(NEXT) | instid1(VALU_DEP_2)
	v_add_co_u32 v8, vcc_lo, v0, v10
	v_add_co_ci_u32_e32 v9, vcc_lo, 0, v1, vcc_lo
	s_delay_alu instid0(VALU_DEP_2) | instskip(SKIP_1) | instid1(VALU_DEP_3)
	v_mul_lo_u32 v10, s5, v8
	v_mad_u64_u32 v[0:1], null, s4, v8, 0
	v_mul_lo_u32 v11, s4, v9
	s_delay_alu instid0(VALU_DEP_2) | instskip(NEXT) | instid1(VALU_DEP_2)
	v_sub_co_u32 v0, vcc_lo, v13, v0
	v_add3_u32 v1, v1, v11, v10
	s_delay_alu instid0(VALU_DEP_1) | instskip(NEXT) | instid1(VALU_DEP_1)
	v_sub_nc_u32_e32 v10, v19, v1
	v_subrev_co_ci_u32_e64 v10, s0, s5, v10, vcc_lo
	v_add_co_u32 v11, s0, v8, 2
	s_delay_alu instid0(VALU_DEP_1) | instskip(SKIP_3) | instid1(VALU_DEP_3)
	v_add_co_ci_u32_e64 v13, s0, 0, v9, s0
	v_sub_co_u32 v18, s0, v0, s4
	v_sub_co_ci_u32_e32 v1, vcc_lo, v19, v1, vcc_lo
	v_subrev_co_ci_u32_e64 v10, s0, 0, v10, s0
	v_cmp_le_u32_e32 vcc_lo, s4, v18
	s_delay_alu instid0(VALU_DEP_3) | instskip(SKIP_1) | instid1(VALU_DEP_4)
	v_cmp_eq_u32_e64 s0, s5, v1
	v_cndmask_b32_e64 v18, 0, -1, vcc_lo
	v_cmp_le_u32_e32 vcc_lo, s5, v10
	v_cndmask_b32_e64 v19, 0, -1, vcc_lo
	v_cmp_le_u32_e32 vcc_lo, s4, v0
	;; [unrolled: 2-line block ×3, first 2 shown]
	v_cndmask_b32_e64 v21, 0, -1, vcc_lo
	v_cmp_eq_u32_e32 vcc_lo, s5, v10
	s_delay_alu instid0(VALU_DEP_2) | instskip(SKIP_3) | instid1(VALU_DEP_3)
	v_cndmask_b32_e64 v0, v21, v0, s0
	v_cndmask_b32_e32 v10, v19, v18, vcc_lo
	v_add_co_u32 v18, vcc_lo, v8, 1
	v_add_co_ci_u32_e32 v19, vcc_lo, 0, v9, vcc_lo
	v_cmp_ne_u32_e32 vcc_lo, 0, v10
	s_delay_alu instid0(VALU_DEP_2) | instskip(SKIP_2) | instid1(VALU_DEP_3)
	v_dual_cndmask_b32 v1, v19, v13 :: v_dual_cndmask_b32 v10, v18, v11
	v_cmp_ne_u32_e32 vcc_lo, 0, v0
	v_xor_b32_e32 v0, s2, v20
	v_dual_cndmask_b32 v1, v9, v1 :: v_dual_cndmask_b32 v8, v8, v10
	s_delay_alu instid0(VALU_DEP_1) | instskip(NEXT) | instid1(VALU_DEP_2)
	v_xor_b32_e32 v1, v1, v0
	v_xor_b32_e32 v8, v8, v0
	s_delay_alu instid0(VALU_DEP_1) | instskip(NEXT) | instid1(VALU_DEP_3)
	v_sub_co_u32 v8, vcc_lo, v8, v0
	v_sub_co_ci_u32_e32 v9, vcc_lo, v1, v0, vcc_lo
.LBB63_51:                              ;   in Loop: Header=BB63_41 Depth=1
	s_and_not1_saveexec_b32 s0, s12
	s_cbranch_execz .LBB63_53
; %bb.52:                               ;   in Loop: Header=BB63_41 Depth=1
	v_mul_hi_u32 v1, v0, v17
	s_delay_alu instid0(VALU_DEP_1) | instskip(NEXT) | instid1(VALU_DEP_1)
	v_mul_lo_u32 v8, v1, s8
	v_sub_nc_u32_e32 v0, v0, v8
	v_add_nc_u32_e32 v8, 1, v1
	s_delay_alu instid0(VALU_DEP_2) | instskip(SKIP_1) | instid1(VALU_DEP_2)
	v_subrev_nc_u32_e32 v9, s8, v0
	v_cmp_le_u32_e32 vcc_lo, s8, v0
	v_cndmask_b32_e32 v0, v0, v9, vcc_lo
	v_mov_b32_e32 v9, v12
	v_cndmask_b32_e32 v1, v1, v8, vcc_lo
	s_delay_alu instid0(VALU_DEP_3) | instskip(NEXT) | instid1(VALU_DEP_2)
	v_cmp_le_u32_e32 vcc_lo, s8, v0
	v_add_nc_u32_e32 v8, 1, v1
	s_delay_alu instid0(VALU_DEP_1)
	v_cndmask_b32_e32 v8, v1, v8, vcc_lo
.LBB63_53:                              ;   in Loop: Header=BB63_41 Depth=1
	s_or_b32 exec_lo, exec_lo, s0
	v_or_b32_e32 v13, s9, v3
	s_mov_b32 s0, exec_lo
	s_delay_alu instid0(VALU_DEP_1)
	v_cmpx_ne_u64_e32 0, v[12:13]
	s_xor_b32 s12, exec_lo, s0
	s_cbranch_execz .LBB63_55
; %bb.54:                               ;   in Loop: Header=BB63_41 Depth=1
	s_add_u32 s4, s8, s2
	s_mov_b32 s3, s2
	s_addc_u32 s5, s9, s2
	s_delay_alu instid0(SALU_CYCLE_1) | instskip(NEXT) | instid1(SALU_CYCLE_1)
	s_xor_b64 s[4:5], s[4:5], s[2:3]
	v_cvt_f32_u32_e32 v0, s4
	v_cvt_f32_u32_e32 v1, s5
	s_sub_u32 s0, 0, s4
	s_subb_u32 s3, 0, s5
	s_delay_alu instid0(VALU_DEP_1) | instskip(NEXT) | instid1(VALU_DEP_1)
	v_fmac_f32_e32 v0, 0x4f800000, v1
	v_rcp_f32_e32 v0, v0
	s_waitcnt_depctr 0xfff
	v_mul_f32_e32 v0, 0x5f7ffffc, v0
	s_delay_alu instid0(VALU_DEP_1) | instskip(NEXT) | instid1(VALU_DEP_1)
	v_mul_f32_e32 v1, 0x2f800000, v0
	v_trunc_f32_e32 v1, v1
	s_delay_alu instid0(VALU_DEP_1) | instskip(SKIP_1) | instid1(VALU_DEP_2)
	v_fmac_f32_e32 v0, 0xcf800000, v1
	v_cvt_u32_f32_e32 v1, v1
	v_cvt_u32_f32_e32 v0, v0
	s_delay_alu instid0(VALU_DEP_2) | instskip(NEXT) | instid1(VALU_DEP_2)
	v_mul_lo_u32 v10, s0, v1
	v_mul_hi_u32 v11, s0, v0
	v_mul_lo_u32 v13, s3, v0
	s_delay_alu instid0(VALU_DEP_2) | instskip(SKIP_1) | instid1(VALU_DEP_2)
	v_add_nc_u32_e32 v10, v11, v10
	v_mul_lo_u32 v11, s0, v0
	v_add_nc_u32_e32 v10, v10, v13
	s_delay_alu instid0(VALU_DEP_2) | instskip(NEXT) | instid1(VALU_DEP_2)
	v_mul_hi_u32 v13, v0, v11
	v_mul_lo_u32 v18, v0, v10
	v_mul_hi_u32 v19, v0, v10
	v_mul_hi_u32 v20, v1, v11
	v_mul_lo_u32 v11, v1, v11
	v_mul_hi_u32 v21, v1, v10
	v_mul_lo_u32 v10, v1, v10
	v_add_co_u32 v13, vcc_lo, v13, v18
	v_add_co_ci_u32_e32 v18, vcc_lo, 0, v19, vcc_lo
	s_delay_alu instid0(VALU_DEP_2) | instskip(NEXT) | instid1(VALU_DEP_2)
	v_add_co_u32 v11, vcc_lo, v13, v11
	v_add_co_ci_u32_e32 v11, vcc_lo, v18, v20, vcc_lo
	v_add_co_ci_u32_e32 v13, vcc_lo, 0, v21, vcc_lo
	v_ashrrev_i32_e32 v20, 31, v3
	s_delay_alu instid0(VALU_DEP_3) | instskip(NEXT) | instid1(VALU_DEP_3)
	v_add_co_u32 v10, vcc_lo, v11, v10
	v_add_co_ci_u32_e32 v11, vcc_lo, 0, v13, vcc_lo
	s_delay_alu instid0(VALU_DEP_2) | instskip(NEXT) | instid1(VALU_DEP_2)
	v_add_co_u32 v0, vcc_lo, v0, v10
	v_add_co_ci_u32_e32 v1, vcc_lo, v1, v11, vcc_lo
	s_delay_alu instid0(VALU_DEP_2) | instskip(SKIP_1) | instid1(VALU_DEP_3)
	v_mul_hi_u32 v10, s0, v0
	v_mul_lo_u32 v13, s3, v0
	v_mul_lo_u32 v11, s0, v1
	s_delay_alu instid0(VALU_DEP_1) | instskip(SKIP_1) | instid1(VALU_DEP_2)
	v_add_nc_u32_e32 v10, v10, v11
	v_mul_lo_u32 v11, s0, v0
	v_add_nc_u32_e32 v10, v10, v13
	s_delay_alu instid0(VALU_DEP_2) | instskip(NEXT) | instid1(VALU_DEP_2)
	v_mul_hi_u32 v13, v0, v11
	v_mul_lo_u32 v18, v0, v10
	v_mul_hi_u32 v19, v0, v10
	v_mul_hi_u32 v21, v1, v11
	v_mul_lo_u32 v11, v1, v11
	v_mul_hi_u32 v22, v1, v10
	v_mul_lo_u32 v10, v1, v10
	v_add_co_u32 v13, vcc_lo, v13, v18
	v_add_co_ci_u32_e32 v18, vcc_lo, 0, v19, vcc_lo
	s_delay_alu instid0(VALU_DEP_2) | instskip(NEXT) | instid1(VALU_DEP_2)
	v_add_co_u32 v11, vcc_lo, v13, v11
	v_add_co_ci_u32_e32 v11, vcc_lo, v18, v21, vcc_lo
	v_add_co_ci_u32_e32 v13, vcc_lo, 0, v22, vcc_lo
	v_add_co_u32 v2, vcc_lo, v2, v20
	v_add_co_ci_u32_e32 v3, vcc_lo, v3, v20, vcc_lo
	s_delay_alu instid0(VALU_DEP_4) | instskip(NEXT) | instid1(VALU_DEP_4)
	v_add_co_u32 v10, vcc_lo, v11, v10
	v_add_co_ci_u32_e32 v11, vcc_lo, 0, v13, vcc_lo
	s_delay_alu instid0(VALU_DEP_4) | instskip(NEXT) | instid1(VALU_DEP_3)
	v_xor_b32_e32 v13, v2, v20
	v_add_co_u32 v10, vcc_lo, v0, v10
	s_delay_alu instid0(VALU_DEP_3) | instskip(SKIP_1) | instid1(VALU_DEP_3)
	v_add_co_ci_u32_e32 v18, vcc_lo, v1, v11, vcc_lo
	v_xor_b32_e32 v19, v3, v20
	v_mul_hi_u32 v21, v13, v10
	s_delay_alu instid0(VALU_DEP_3) | instskip(NEXT) | instid1(VALU_DEP_3)
	v_mad_u64_u32 v[0:1], null, v13, v18, 0
	v_mad_u64_u32 v[2:3], null, v19, v10, 0
	;; [unrolled: 1-line block ×3, first 2 shown]
	s_delay_alu instid0(VALU_DEP_3) | instskip(NEXT) | instid1(VALU_DEP_4)
	v_add_co_u32 v0, vcc_lo, v21, v0
	v_add_co_ci_u32_e32 v1, vcc_lo, 0, v1, vcc_lo
	s_delay_alu instid0(VALU_DEP_2) | instskip(NEXT) | instid1(VALU_DEP_2)
	v_add_co_u32 v0, vcc_lo, v0, v2
	v_add_co_ci_u32_e32 v0, vcc_lo, v1, v3, vcc_lo
	v_add_co_ci_u32_e32 v1, vcc_lo, 0, v11, vcc_lo
	s_delay_alu instid0(VALU_DEP_2) | instskip(NEXT) | instid1(VALU_DEP_2)
	v_add_co_u32 v2, vcc_lo, v0, v10
	v_add_co_ci_u32_e32 v3, vcc_lo, 0, v1, vcc_lo
	s_delay_alu instid0(VALU_DEP_2) | instskip(SKIP_1) | instid1(VALU_DEP_3)
	v_mul_lo_u32 v10, s5, v2
	v_mad_u64_u32 v[0:1], null, s4, v2, 0
	v_mul_lo_u32 v11, s4, v3
	s_delay_alu instid0(VALU_DEP_2) | instskip(NEXT) | instid1(VALU_DEP_2)
	v_sub_co_u32 v0, vcc_lo, v13, v0
	v_add3_u32 v1, v1, v11, v10
	s_delay_alu instid0(VALU_DEP_1) | instskip(NEXT) | instid1(VALU_DEP_1)
	v_sub_nc_u32_e32 v10, v19, v1
	v_subrev_co_ci_u32_e64 v10, s0, s5, v10, vcc_lo
	v_add_co_u32 v11, s0, v2, 2
	s_delay_alu instid0(VALU_DEP_1) | instskip(SKIP_3) | instid1(VALU_DEP_3)
	v_add_co_ci_u32_e64 v13, s0, 0, v3, s0
	v_sub_co_u32 v18, s0, v0, s4
	v_sub_co_ci_u32_e32 v1, vcc_lo, v19, v1, vcc_lo
	v_subrev_co_ci_u32_e64 v10, s0, 0, v10, s0
	v_cmp_le_u32_e32 vcc_lo, s4, v18
	s_delay_alu instid0(VALU_DEP_3) | instskip(SKIP_1) | instid1(VALU_DEP_4)
	v_cmp_eq_u32_e64 s0, s5, v1
	v_cndmask_b32_e64 v18, 0, -1, vcc_lo
	v_cmp_le_u32_e32 vcc_lo, s5, v10
	v_cndmask_b32_e64 v19, 0, -1, vcc_lo
	v_cmp_le_u32_e32 vcc_lo, s4, v0
	;; [unrolled: 2-line block ×3, first 2 shown]
	v_cndmask_b32_e64 v21, 0, -1, vcc_lo
	v_cmp_eq_u32_e32 vcc_lo, s5, v10
	s_delay_alu instid0(VALU_DEP_2) | instskip(SKIP_3) | instid1(VALU_DEP_3)
	v_cndmask_b32_e64 v0, v21, v0, s0
	v_cndmask_b32_e32 v10, v19, v18, vcc_lo
	v_add_co_u32 v18, vcc_lo, v2, 1
	v_add_co_ci_u32_e32 v19, vcc_lo, 0, v3, vcc_lo
	v_cmp_ne_u32_e32 vcc_lo, 0, v10
	s_delay_alu instid0(VALU_DEP_2) | instskip(SKIP_2) | instid1(VALU_DEP_3)
	v_dual_cndmask_b32 v1, v19, v13 :: v_dual_cndmask_b32 v10, v18, v11
	v_cmp_ne_u32_e32 vcc_lo, 0, v0
	v_xor_b32_e32 v0, s2, v20
	v_dual_cndmask_b32 v1, v3, v1 :: v_dual_cndmask_b32 v2, v2, v10
	s_delay_alu instid0(VALU_DEP_1) | instskip(NEXT) | instid1(VALU_DEP_2)
	v_xor_b32_e32 v1, v1, v0
	v_xor_b32_e32 v2, v2, v0
	s_delay_alu instid0(VALU_DEP_1) | instskip(NEXT) | instid1(VALU_DEP_3)
	v_sub_co_u32 v10, vcc_lo, v2, v0
	v_sub_co_ci_u32_e32 v11, vcc_lo, v1, v0, vcc_lo
                                        ; implicit-def: $vgpr2_vgpr3
.LBB63_55:                              ;   in Loop: Header=BB63_41 Depth=1
	s_and_not1_saveexec_b32 s0, s12
	s_cbranch_execz .LBB63_40
; %bb.56:                               ;   in Loop: Header=BB63_41 Depth=1
	v_mul_hi_u32 v0, v2, v17
	v_mov_b32_e32 v11, v12
	s_delay_alu instid0(VALU_DEP_2) | instskip(NEXT) | instid1(VALU_DEP_1)
	v_mul_lo_u32 v1, v0, s8
	v_sub_nc_u32_e32 v1, v2, v1
	s_delay_alu instid0(VALU_DEP_1) | instskip(SKIP_1) | instid1(VALU_DEP_2)
	v_subrev_nc_u32_e32 v3, s8, v1
	v_cmp_le_u32_e32 vcc_lo, s8, v1
	v_dual_cndmask_b32 v1, v1, v3 :: v_dual_add_nc_u32 v2, 1, v0
	s_delay_alu instid0(VALU_DEP_1) | instskip(NEXT) | instid1(VALU_DEP_2)
	v_cndmask_b32_e32 v0, v0, v2, vcc_lo
	v_cmp_le_u32_e32 vcc_lo, s8, v1
	s_delay_alu instid0(VALU_DEP_2) | instskip(NEXT) | instid1(VALU_DEP_1)
	v_add_nc_u32_e32 v2, 1, v0
	v_cndmask_b32_e32 v10, v0, v2, vcc_lo
	s_branch .LBB63_40
.LBB63_57:
	s_nop 0
	s_sendmsg sendmsg(MSG_DEALLOC_VGPRS)
	s_endpgm
	.section	.rodata,"a",@progbits
	.p2align	6, 0x0
	.amdhsa_kernel _ZN2at6native12_GLOBAL__N_125multi_tensor_apply_kernelINS1_28TensorListScalarListMetadataIlLi2EEENS1_25BinaryOpScalarListFunctorIlLi2ELi1ELi1EEEJSt7dividesIlEEEEvT_T0_DpT1_
		.amdhsa_group_segment_fixed_size 0
		.amdhsa_private_segment_fixed_size 0
		.amdhsa_kernarg_size 3912
		.amdhsa_user_sgpr_count 15
		.amdhsa_user_sgpr_dispatch_ptr 0
		.amdhsa_user_sgpr_queue_ptr 0
		.amdhsa_user_sgpr_kernarg_segment_ptr 1
		.amdhsa_user_sgpr_dispatch_id 0
		.amdhsa_user_sgpr_private_segment_size 0
		.amdhsa_wavefront_size32 1
		.amdhsa_uses_dynamic_stack 0
		.amdhsa_enable_private_segment 0
		.amdhsa_system_sgpr_workgroup_id_x 1
		.amdhsa_system_sgpr_workgroup_id_y 0
		.amdhsa_system_sgpr_workgroup_id_z 0
		.amdhsa_system_sgpr_workgroup_info 0
		.amdhsa_system_vgpr_workitem_id 0
		.amdhsa_next_free_vgpr 42
		.amdhsa_next_free_sgpr 29
		.amdhsa_reserve_vcc 1
		.amdhsa_float_round_mode_32 0
		.amdhsa_float_round_mode_16_64 0
		.amdhsa_float_denorm_mode_32 3
		.amdhsa_float_denorm_mode_16_64 3
		.amdhsa_dx10_clamp 1
		.amdhsa_ieee_mode 1
		.amdhsa_fp16_overflow 0
		.amdhsa_workgroup_processor_mode 1
		.amdhsa_memory_ordered 1
		.amdhsa_forward_progress 0
		.amdhsa_shared_vgpr_count 0
		.amdhsa_exception_fp_ieee_invalid_op 0
		.amdhsa_exception_fp_denorm_src 0
		.amdhsa_exception_fp_ieee_div_zero 0
		.amdhsa_exception_fp_ieee_overflow 0
		.amdhsa_exception_fp_ieee_underflow 0
		.amdhsa_exception_fp_ieee_inexact 0
		.amdhsa_exception_int_div_zero 0
	.end_amdhsa_kernel
	.section	.text._ZN2at6native12_GLOBAL__N_125multi_tensor_apply_kernelINS1_28TensorListScalarListMetadataIlLi2EEENS1_25BinaryOpScalarListFunctorIlLi2ELi1ELi1EEEJSt7dividesIlEEEEvT_T0_DpT1_,"axG",@progbits,_ZN2at6native12_GLOBAL__N_125multi_tensor_apply_kernelINS1_28TensorListScalarListMetadataIlLi2EEENS1_25BinaryOpScalarListFunctorIlLi2ELi1ELi1EEEJSt7dividesIlEEEEvT_T0_DpT1_,comdat
.Lfunc_end63:
	.size	_ZN2at6native12_GLOBAL__N_125multi_tensor_apply_kernelINS1_28TensorListScalarListMetadataIlLi2EEENS1_25BinaryOpScalarListFunctorIlLi2ELi1ELi1EEEJSt7dividesIlEEEEvT_T0_DpT1_, .Lfunc_end63-_ZN2at6native12_GLOBAL__N_125multi_tensor_apply_kernelINS1_28TensorListScalarListMetadataIlLi2EEENS1_25BinaryOpScalarListFunctorIlLi2ELi1ELi1EEEJSt7dividesIlEEEEvT_T0_DpT1_
                                        ; -- End function
	.section	.AMDGPU.csdata,"",@progbits
; Kernel info:
; codeLenInByte = 9060
; NumSgprs: 31
; NumVgprs: 42
; ScratchSize: 0
; MemoryBound: 1
; FloatMode: 240
; IeeeMode: 1
; LDSByteSize: 0 bytes/workgroup (compile time only)
; SGPRBlocks: 3
; VGPRBlocks: 5
; NumSGPRsForWavesPerEU: 31
; NumVGPRsForWavesPerEU: 42
; Occupancy: 16
; WaveLimiterHint : 1
; COMPUTE_PGM_RSRC2:SCRATCH_EN: 0
; COMPUTE_PGM_RSRC2:USER_SGPR: 15
; COMPUTE_PGM_RSRC2:TRAP_HANDLER: 0
; COMPUTE_PGM_RSRC2:TGID_X_EN: 1
; COMPUTE_PGM_RSRC2:TGID_Y_EN: 0
; COMPUTE_PGM_RSRC2:TGID_Z_EN: 0
; COMPUTE_PGM_RSRC2:TIDIG_COMP_CNT: 0
	.section	.text._ZN2at6native12_GLOBAL__N_125multi_tensor_apply_kernelINS1_28TensorListScalarListMetadataIsLi2EEENS1_25BinaryOpScalarListFunctorIsLi2ELi1ELi1EEEJSt7dividesIsEEEEvT_T0_DpT1_,"axG",@progbits,_ZN2at6native12_GLOBAL__N_125multi_tensor_apply_kernelINS1_28TensorListScalarListMetadataIsLi2EEENS1_25BinaryOpScalarListFunctorIsLi2ELi1ELi1EEEJSt7dividesIsEEEEvT_T0_DpT1_,comdat
	.globl	_ZN2at6native12_GLOBAL__N_125multi_tensor_apply_kernelINS1_28TensorListScalarListMetadataIsLi2EEENS1_25BinaryOpScalarListFunctorIsLi2ELi1ELi1EEEJSt7dividesIsEEEEvT_T0_DpT1_ ; -- Begin function _ZN2at6native12_GLOBAL__N_125multi_tensor_apply_kernelINS1_28TensorListScalarListMetadataIsLi2EEENS1_25BinaryOpScalarListFunctorIsLi2ELi1ELi1EEEJSt7dividesIsEEEEvT_T0_DpT1_
	.p2align	8
	.type	_ZN2at6native12_GLOBAL__N_125multi_tensor_apply_kernelINS1_28TensorListScalarListMetadataIsLi2EEENS1_25BinaryOpScalarListFunctorIsLi2ELi1ELi1EEEJSt7dividesIsEEEEvT_T0_DpT1_,@function
_ZN2at6native12_GLOBAL__N_125multi_tensor_apply_kernelINS1_28TensorListScalarListMetadataIsLi2EEENS1_25BinaryOpScalarListFunctorIsLi2ELi1ELi1EEEJSt7dividesIsEEEEvT_T0_DpT1_: ; @_ZN2at6native12_GLOBAL__N_125multi_tensor_apply_kernelINS1_28TensorListScalarListMetadataIsLi2EEENS1_25BinaryOpScalarListFunctorIsLi2ELi1ELi1EEEJSt7dividesIsEEEEvT_T0_DpT1_
; %bb.0:
	v_mov_b32_e32 v1, s15
	s_add_u32 s2, s0, s15
	s_mul_hi_u32 s3, s15, 3
	s_mul_i32 s15, s15, 3
	s_addc_u32 s4, s1, 0
	global_load_u8 v1, v1, s[0:1] offset:1664
	s_add_u32 s2, s2, s15
	s_addc_u32 s3, s4, s3
	s_mov_b32 s15, 0
	s_load_b32 s2, s[2:3], 0x7c0
	s_waitcnt vmcnt(0)
	v_readfirstlane_b32 s3, v1
	v_mul_lo_u32 v2, v1, -6
	v_mul_hi_i32 v3, v1, -6
	s_delay_alu instid0(VALU_DEP_3) | instskip(SKIP_4) | instid1(VALU_DEP_2)
	s_lshl_b32 s8, s3, 3
	s_waitcnt lgkmcnt(0)
	s_ashr_i32 s3, s2, 31
	s_add_u32 s6, s0, s8
	s_addc_u32 s7, s1, 0
	v_add_co_u32 v1, vcc_lo, s6, v2
	s_delay_alu instid0(VALU_DEP_2)
	v_add_co_ci_u32_e32 v2, vcc_lo, s7, v3, vcc_lo
	s_load_b64 s[4:5], s[0:1], s8 offset:0x400
	s_lshl_b64 s[12:13], s[2:3], 17
	s_lshl_b64 s[2:3], s[2:3], 16
	global_load_i16 v3, v[1:2], off offset:1536
	s_clause 0x1
	s_load_b64 s[6:7], s[0:1], s8 offset:0x0
	s_load_b64 s[8:9], s[0:1], s8 offset:0x200
	s_waitcnt lgkmcnt(0)
	s_and_b32 s11, s4, 3
	s_and_b32 s10, s6, 7
	;; [unrolled: 1-line block ×3, first 2 shown]
	s_or_b32 s10, s10, s11
	s_delay_alu instid0(SALU_CYCLE_1)
	s_or_b32 s14, s14, s10
	s_sub_u32 s10, s4, s2
	s_subb_u32 s11, s5, s3
	s_cmp_eq_u64 s[14:15], 0
	s_mov_b32 s2, -1
	s_cbranch_scc1 .LBB64_21
; %bb.1:
	v_cmp_lt_i64_e64 s2, s[10:11], 1
	s_delay_alu instid0(VALU_DEP_1)
	s_and_b32 vcc_lo, exec_lo, s2
	s_cbranch_vccnz .LBB64_20
; %bb.2:
	s_load_b32 s2, s[0:1], 0xcd4
	v_dual_mov_b32 v13, 0 :: v_dual_lshlrev_b32 v12, 1, v0
	v_cmp_gt_u64_e64 s3, 0x10000, s[10:11]
	s_waitcnt vmcnt(0)
	v_cvt_f32_i32_e32 v1, v3
	s_mov_b64 s[16:17], 0
	v_add_co_u32 v4, s4, s6, v12
	s_delay_alu instid0(VALU_DEP_1) | instskip(SKIP_1) | instid1(VALU_DEP_1)
	v_add_co_ci_u32_e64 v5, null, s7, 0, s4
	v_add_co_u32 v6, s4, s8, v12
	v_add_co_ci_u32_e64 v7, null, s9, 0, s4
	v_rcp_iflag_f32_e32 v2, v1
	s_waitcnt lgkmcnt(0)
	s_and_b32 s2, s2, 0xffff
	s_and_b32 s3, s3, exec_lo
	v_mad_u64_u32 v[10:11], null, s2, 6, v[12:13]
	s_cselect_b32 s15, s11, 0
	s_cselect_b32 s14, s10, 0x10000
	s_mul_i32 s4, s2, 3
	s_lshl_b32 s18, s2, 2
	s_lshl_b32 s3, s2, 1
	v_add_co_u32 v17, s5, s18, v12
	v_add_co_u32 v12, s4, s4, v0
	s_delay_alu instid0(VALU_DEP_1) | instskip(SKIP_3) | instid1(VALU_DEP_3)
	v_add_co_ci_u32_e64 v13, null, 0, 0, s4
	v_add_co_u32 v16, s4, v0, s2
	v_add_co_u32 v8, vcc_lo, s6, v10
	v_add_co_ci_u32_e32 v9, vcc_lo, s7, v11, vcc_lo
	v_lshlrev_b32_e32 v24, 1, v16
	v_add_co_u32 v10, vcc_lo, s8, v10
	v_add_co_ci_u32_e64 v18, null, 0, 0, s5
	v_add_co_ci_u32_e32 v11, vcc_lo, s9, v11, vcc_lo
	v_add_co_u32 v20, s3, s3, v0
	v_add_co_u32 v14, vcc_lo, s6, v17
	v_add_co_ci_u32_e64 v21, null, 0, 0, s3
	v_add_co_u32 v22, s3, s6, v24
	v_add_co_ci_u32_e32 v15, vcc_lo, s7, v18, vcc_lo
	v_add_co_u32 v17, vcc_lo, s8, v17
	v_add_co_ci_u32_e64 v23, null, s7, 0, s3
	v_add_co_u32 v24, s3, s8, v24
	v_add_co_ci_u32_e32 v18, vcc_lo, s9, v18, vcc_lo
	v_add_co_ci_u32_e64 v19, null, 0, 0, s4
	v_add_co_ci_u32_e64 v25, null, s9, 0, s3
	s_lshl_b32 s19, s2, 3
	s_branch .LBB64_4
.LBB64_3:                               ;   in Loop: Header=BB64_4 Depth=1
	s_or_b32 exec_lo, exec_lo, s2
	v_add_co_u32 v4, vcc_lo, v4, s19
	v_add_co_ci_u32_e32 v5, vcc_lo, 0, v5, vcc_lo
	v_add_co_u32 v6, vcc_lo, v6, s19
	v_add_co_ci_u32_e32 v7, vcc_lo, 0, v7, vcc_lo
	;; [unrolled: 2-line block ×5, first 2 shown]
	s_add_u32 s16, s16, s18
	v_add_co_u32 v17, vcc_lo, v17, s19
	s_addc_u32 s17, s17, 0
	v_add_co_ci_u32_e32 v18, vcc_lo, 0, v18, vcc_lo
	v_cmp_lt_i64_e64 s2, s[16:17], s[10:11]
	v_cmp_gt_u64_e64 s3, 0x10000, s[16:17]
	v_add_co_u32 v22, vcc_lo, v22, s19
	v_add_co_ci_u32_e32 v23, vcc_lo, 0, v23, vcc_lo
	v_add_co_u32 v24, vcc_lo, v24, s19
	v_add_co_ci_u32_e32 v25, vcc_lo, 0, v25, vcc_lo
	s_and_b32 s2, s2, s3
	s_delay_alu instid0(SALU_CYCLE_1)
	s_and_b32 vcc_lo, exec_lo, s2
	s_cbranch_vccz .LBB64_20
.LBB64_4:                               ; =>This Inner Loop Header: Depth=1
	s_waitcnt vmcnt(0)
	v_add_co_u32 v26, s2, v0, s16
	s_delay_alu instid0(VALU_DEP_1) | instskip(SKIP_1) | instid1(VALU_DEP_2)
	v_add_co_ci_u32_e64 v27, null, 0, s17, s2
	v_mov_b32_e32 v29, 0
	v_cmp_gt_u64_e64 s4, s[14:15], v[26:27]
	s_delay_alu instid0(VALU_DEP_1)
	s_and_saveexec_b32 s2, s4
	s_cbranch_execz .LBB64_6
; %bb.5:                                ;   in Loop: Header=BB64_4 Depth=1
	v_add_co_u32 v26, vcc_lo, v4, s12
	v_add_co_ci_u32_e32 v27, vcc_lo, s13, v5, vcc_lo
	global_load_u16 v29, v[26:27], off
.LBB64_6:                               ;   in Loop: Header=BB64_4 Depth=1
	s_or_b32 exec_lo, exec_lo, s2
	v_add_co_u32 v26, vcc_lo, v16, s16
	v_add_co_ci_u32_e32 v27, vcc_lo, s17, v19, vcc_lo
	v_mov_b32_e32 v28, 0
	s_delay_alu instid0(VALU_DEP_2) | instskip(NEXT) | instid1(VALU_DEP_1)
	v_cmp_gt_u64_e64 s3, s[14:15], v[26:27]
	s_and_saveexec_b32 s2, s3
	s_cbranch_execz .LBB64_8
; %bb.7:                                ;   in Loop: Header=BB64_4 Depth=1
	v_add_co_u32 v26, vcc_lo, v22, s12
	v_add_co_ci_u32_e32 v27, vcc_lo, s13, v23, vcc_lo
	global_load_u16 v28, v[26:27], off
.LBB64_8:                               ;   in Loop: Header=BB64_4 Depth=1
	s_or_b32 exec_lo, exec_lo, s2
	v_add_co_u32 v26, vcc_lo, v20, s16
	v_add_co_ci_u32_e32 v27, vcc_lo, s17, v21, vcc_lo
	s_delay_alu instid0(VALU_DEP_1) | instskip(SKIP_1) | instid1(VALU_DEP_2)
	v_cmp_gt_u64_e64 s2, s[14:15], v[26:27]
	v_dual_mov_b32 v26, 0 :: v_dual_mov_b32 v27, 0
	s_and_saveexec_b32 s5, s2
	s_cbranch_execz .LBB64_10
; %bb.9:                                ;   in Loop: Header=BB64_4 Depth=1
	v_add_co_u32 v30, vcc_lo, v14, s12
	v_add_co_ci_u32_e32 v31, vcc_lo, s13, v15, vcc_lo
	global_load_u16 v27, v[30:31], off
.LBB64_10:                              ;   in Loop: Header=BB64_4 Depth=1
	s_or_b32 exec_lo, exec_lo, s5
	v_add_co_u32 v30, vcc_lo, v12, s16
	v_add_co_ci_u32_e32 v31, vcc_lo, s17, v13, vcc_lo
	s_delay_alu instid0(VALU_DEP_1)
	v_cmp_gt_u64_e32 vcc_lo, s[14:15], v[30:31]
	s_and_saveexec_b32 s20, vcc_lo
	s_cbranch_execnz .LBB64_15
; %bb.11:                               ;   in Loop: Header=BB64_4 Depth=1
	s_or_b32 exec_lo, exec_lo, s20
	s_and_saveexec_b32 s5, s4
	s_cbranch_execnz .LBB64_16
.LBB64_12:                              ;   in Loop: Header=BB64_4 Depth=1
	s_or_b32 exec_lo, exec_lo, s5
	s_and_saveexec_b32 s4, s3
	s_cbranch_execnz .LBB64_17
.LBB64_13:                              ;   in Loop: Header=BB64_4 Depth=1
	s_or_b32 exec_lo, exec_lo, s4
	s_and_saveexec_b32 s3, s2
	s_cbranch_execnz .LBB64_18
.LBB64_14:                              ;   in Loop: Header=BB64_4 Depth=1
	s_or_b32 exec_lo, exec_lo, s3
	s_and_saveexec_b32 s2, vcc_lo
	s_cbranch_execz .LBB64_3
	s_branch .LBB64_19
.LBB64_15:                              ;   in Loop: Header=BB64_4 Depth=1
	v_add_co_u32 v30, s5, v8, s12
	s_delay_alu instid0(VALU_DEP_1)
	v_add_co_ci_u32_e64 v31, s5, s13, v9, s5
	global_load_u16 v26, v[30:31], off
	s_or_b32 exec_lo, exec_lo, s20
	s_and_saveexec_b32 s5, s4
	s_cbranch_execz .LBB64_12
.LBB64_16:                              ;   in Loop: Header=BB64_4 Depth=1
	s_waitcnt vmcnt(0)
	v_bfe_i32 v29, v29, 0, 16
	s_delay_alu instid0(VALU_DEP_1) | instskip(SKIP_1) | instid1(VALU_DEP_2)
	v_cvt_f32_i32_e32 v30, v29
	v_xor_b32_e32 v29, v29, v3
	v_mul_f32_e32 v31, v30, v2
	s_delay_alu instid0(VALU_DEP_2) | instskip(NEXT) | instid1(VALU_DEP_2)
	v_ashrrev_i32_e32 v29, 30, v29
	v_trunc_f32_e32 v31, v31
	s_delay_alu instid0(VALU_DEP_2) | instskip(NEXT) | instid1(VALU_DEP_2)
	v_or_b32_e32 v29, 1, v29
	v_fma_f32 v30, -v31, v1, v30
	v_cvt_i32_f32_e32 v31, v31
	s_delay_alu instid0(VALU_DEP_2) | instskip(NEXT) | instid1(VALU_DEP_1)
	v_cmp_ge_f32_e64 s4, |v30|, |v1|
	v_cndmask_b32_e64 v32, 0, v29, s4
	v_add_co_u32 v29, s4, v6, s12
	s_delay_alu instid0(VALU_DEP_1) | instskip(NEXT) | instid1(VALU_DEP_3)
	v_add_co_ci_u32_e64 v30, s4, s13, v7, s4
	v_add_nc_u32_e32 v31, v31, v32
	global_store_b16 v[29:30], v31, off
	s_or_b32 exec_lo, exec_lo, s5
	s_and_saveexec_b32 s4, s3
	s_cbranch_execz .LBB64_13
.LBB64_17:                              ;   in Loop: Header=BB64_4 Depth=1
	s_waitcnt vmcnt(0)
	v_bfe_i32 v28, v28, 0, 16
	s_delay_alu instid0(VALU_DEP_1) | instskip(SKIP_1) | instid1(VALU_DEP_2)
	v_cvt_f32_i32_e32 v29, v28
	v_xor_b32_e32 v28, v28, v3
	v_mul_f32_e32 v30, v29, v2
	s_delay_alu instid0(VALU_DEP_2) | instskip(NEXT) | instid1(VALU_DEP_2)
	v_ashrrev_i32_e32 v28, 30, v28
	v_trunc_f32_e32 v30, v30
	s_delay_alu instid0(VALU_DEP_2) | instskip(NEXT) | instid1(VALU_DEP_2)
	v_or_b32_e32 v28, 1, v28
	v_fma_f32 v29, -v30, v1, v29
	v_cvt_i32_f32_e32 v30, v30
	s_delay_alu instid0(VALU_DEP_2) | instskip(NEXT) | instid1(VALU_DEP_1)
	v_cmp_ge_f32_e64 s3, |v29|, |v1|
	v_cndmask_b32_e64 v28, 0, v28, s3
	s_delay_alu instid0(VALU_DEP_1) | instskip(SKIP_1) | instid1(VALU_DEP_1)
	v_add_nc_u32_e32 v30, v30, v28
	v_add_co_u32 v28, s3, v24, s12
	v_add_co_ci_u32_e64 v29, s3, s13, v25, s3
	global_store_b16 v[28:29], v30, off
	s_or_b32 exec_lo, exec_lo, s4
	s_and_saveexec_b32 s3, s2
	s_cbranch_execz .LBB64_14
.LBB64_18:                              ;   in Loop: Header=BB64_4 Depth=1
	s_waitcnt vmcnt(0)
	v_bfe_i32 v27, v27, 0, 16
	s_delay_alu instid0(VALU_DEP_1) | instskip(SKIP_1) | instid1(VALU_DEP_2)
	v_cvt_f32_i32_e32 v28, v27
	v_xor_b32_e32 v27, v27, v3
	v_mul_f32_e32 v29, v28, v2
	s_delay_alu instid0(VALU_DEP_2) | instskip(NEXT) | instid1(VALU_DEP_2)
	v_ashrrev_i32_e32 v27, 30, v27
	v_trunc_f32_e32 v29, v29
	s_delay_alu instid0(VALU_DEP_2) | instskip(NEXT) | instid1(VALU_DEP_2)
	v_or_b32_e32 v27, 1, v27
	v_fma_f32 v28, -v29, v1, v28
	v_cvt_i32_f32_e32 v29, v29
	s_delay_alu instid0(VALU_DEP_2) | instskip(NEXT) | instid1(VALU_DEP_1)
	v_cmp_ge_f32_e64 s2, |v28|, |v1|
	v_cndmask_b32_e64 v27, 0, v27, s2
	s_delay_alu instid0(VALU_DEP_1) | instskip(SKIP_1) | instid1(VALU_DEP_1)
	v_add_nc_u32_e32 v29, v29, v27
	v_add_co_u32 v27, s2, v17, s12
	v_add_co_ci_u32_e64 v28, s2, s13, v18, s2
	global_store_b16 v[27:28], v29, off
	s_or_b32 exec_lo, exec_lo, s3
	s_and_saveexec_b32 s2, vcc_lo
	s_cbranch_execz .LBB64_3
.LBB64_19:                              ;   in Loop: Header=BB64_4 Depth=1
	s_waitcnt vmcnt(0)
	v_bfe_i32 v26, v26, 0, 16
	s_delay_alu instid0(VALU_DEP_1) | instskip(SKIP_1) | instid1(VALU_DEP_2)
	v_cvt_f32_i32_e32 v27, v26
	v_xor_b32_e32 v26, v26, v3
	v_mul_f32_e32 v28, v27, v2
	s_delay_alu instid0(VALU_DEP_2) | instskip(NEXT) | instid1(VALU_DEP_2)
	v_ashrrev_i32_e32 v26, 30, v26
	v_trunc_f32_e32 v28, v28
	s_delay_alu instid0(VALU_DEP_2) | instskip(NEXT) | instid1(VALU_DEP_2)
	v_or_b32_e32 v26, 1, v26
	v_fma_f32 v27, -v28, v1, v27
	v_cvt_i32_f32_e32 v28, v28
	s_delay_alu instid0(VALU_DEP_2) | instskip(NEXT) | instid1(VALU_DEP_4)
	v_cmp_ge_f32_e64 vcc_lo, |v27|, |v1|
	v_cndmask_b32_e32 v26, 0, v26, vcc_lo
	s_delay_alu instid0(VALU_DEP_1)
	v_add_nc_u32_e32 v28, v28, v26
	v_add_co_u32 v26, vcc_lo, v10, s12
	v_add_co_ci_u32_e32 v27, vcc_lo, s13, v11, vcc_lo
	global_store_b16 v[26:27], v28, off
	s_branch .LBB64_3
.LBB64_20:
	s_mov_b32 s2, 0
.LBB64_21:
	s_delay_alu instid0(SALU_CYCLE_1)
	s_and_not1_b32 vcc_lo, exec_lo, s2
	s_cbranch_vccnz .LBB64_25
; %bb.22:
	v_dual_mov_b32 v2, 0 :: v_dual_lshlrev_b32 v1, 2, v0
	s_mov_b32 s2, 0
	s_mov_b32 s3, exec_lo
	s_delay_alu instid0(VALU_DEP_1)
	v_cmpx_gt_i64_e64 s[10:11], v[1:2]
	s_cbranch_execz .LBB64_25
; %bb.23:
	s_load_b32 s0, s[0:1], 0xcd4
	s_waitcnt vmcnt(0)
	v_cvt_f32_i32_e32 v4, v3
	v_lshlrev_b32_e32 v1, 3, v0
	s_delay_alu instid0(VALU_DEP_2) | instskip(NEXT) | instid1(VALU_DEP_1)
	v_rcp_iflag_f32_e32 v5, v4
	v_add_co_u32 v6, s1, s12, v1
	s_delay_alu instid0(VALU_DEP_1) | instskip(SKIP_2) | instid1(SALU_CYCLE_1)
	v_add_co_ci_u32_e64 v7, null, s13, 0, s1
	s_waitcnt lgkmcnt(0)
	s_and_b32 s0, s0, 0xffff
	v_add_lshl_u32 v1, v0, s0, 2
	s_lshl_b32 s3, s0, 3
	s_lshl_b32 s4, s0, 2
.LBB64_24:                              ; =>This Inner Loop Header: Depth=1
	v_add_co_u32 v8, vcc_lo, s6, v6
	v_add_co_ci_u32_e32 v9, vcc_lo, s7, v7, vcc_lo
	v_add_co_u32 v10, vcc_lo, s8, v6
	v_add_co_u32 v6, s1, v6, s3
	global_load_b64 v[8:9], v[8:9], off
	v_add_co_ci_u32_e32 v11, vcc_lo, s9, v7, vcc_lo
	v_add_co_ci_u32_e64 v7, s1, 0, v7, s1
	v_cmp_le_i64_e32 vcc_lo, s[10:11], v[1:2]
	v_cmp_lt_u64_e64 s0, 0xffff, v[1:2]
	s_delay_alu instid0(VALU_DEP_1) | instskip(NEXT) | instid1(SALU_CYCLE_1)
	s_or_b32 s0, vcc_lo, s0
	s_and_b32 s0, exec_lo, s0
	s_delay_alu instid0(SALU_CYCLE_1)
	s_or_b32 s2, s0, s2
	s_waitcnt vmcnt(0)
	v_bfe_i32 v0, v8, 0, 16
	v_ashrrev_i32_e32 v12, 16, v8
	v_alignbit_b32 v13, v9, v8, 16
	v_ashrrev_i64 v[8:9], 48, v[8:9]
	s_delay_alu instid0(VALU_DEP_4)
	v_xor_b32_e32 v9, v0, v3
	v_cvt_f32_i32_e32 v0, v0
	v_xor_b32_e32 v14, v12, v3
	v_cvt_f32_i32_e32 v12, v12
	v_ashrrev_i32_e32 v13, 16, v13
	v_ashrrev_i32_e32 v9, 30, v9
	v_mul_f32_e32 v16, v0, v5
	v_ashrrev_i32_e32 v14, 30, v14
	v_xor_b32_e32 v15, v8, v3
	v_xor_b32_e32 v18, v13, v3
	v_or_b32_e32 v9, 1, v9
	v_trunc_f32_e32 v16, v16
	v_cvt_f32_i32_e32 v13, v13
	v_or_b32_e32 v14, 1, v14
	v_ashrrev_i32_e32 v18, 30, v18
	v_cvt_f32_i32_e32 v8, v8
	v_fma_f32 v0, -v16, v4, v0
	v_cvt_i32_f32_e32 v16, v16
	v_mul_f32_e32 v20, v13, v5
	v_or_b32_e32 v18, 1, v18
	v_ashrrev_i32_e32 v15, 30, v15
	v_cmp_ge_f32_e64 s1, |v0|, |v4|
	s_delay_alu instid0(VALU_DEP_4) | instskip(NEXT) | instid1(VALU_DEP_3)
	v_trunc_f32_e32 v20, v20
	v_or_b32_e32 v15, 1, v15
	s_delay_alu instid0(VALU_DEP_3) | instskip(NEXT) | instid1(VALU_DEP_3)
	v_cndmask_b32_e64 v0, 0, v9, s1
	v_fma_f32 v13, -v20, v4, v13
	s_delay_alu instid0(VALU_DEP_2) | instskip(NEXT) | instid1(VALU_DEP_1)
	v_add_nc_u32_e32 v0, v16, v0
	v_dual_mul_f32 v17, v12, v5 :: v_dual_and_b32 v0, 0xffff, v0
	s_delay_alu instid0(VALU_DEP_1) | instskip(NEXT) | instid1(VALU_DEP_1)
	v_trunc_f32_e32 v17, v17
	v_fma_f32 v12, -v17, v4, v12
	v_cvt_i32_f32_e32 v17, v17
	s_delay_alu instid0(VALU_DEP_2) | instskip(SKIP_1) | instid1(VALU_DEP_2)
	v_cmp_ge_f32_e64 s1, |v12|, |v4|
	v_cvt_i32_f32_e32 v12, v20
	v_cndmask_b32_e64 v9, 0, v14, s1
	v_cmp_ge_f32_e64 s1, |v13|, |v4|
	s_delay_alu instid0(VALU_DEP_2) | instskip(NEXT) | instid1(VALU_DEP_2)
	v_add_nc_u32_e32 v9, v17, v9
	v_cndmask_b32_e64 v13, 0, v18, s1
	s_delay_alu instid0(VALU_DEP_1) | instskip(NEXT) | instid1(VALU_DEP_1)
	v_add_nc_u32_e32 v12, v12, v13
	v_dual_mul_f32 v19, v8, v5 :: v_dual_and_b32 v12, 0xffff, v12
	s_delay_alu instid0(VALU_DEP_1) | instskip(NEXT) | instid1(VALU_DEP_1)
	v_trunc_f32_e32 v19, v19
	v_fma_f32 v8, -v19, v4, v8
	v_cvt_i32_f32_e32 v19, v19
	s_delay_alu instid0(VALU_DEP_2) | instskip(NEXT) | instid1(VALU_DEP_1)
	v_cmp_ge_f32_e64 s1, |v8|, |v4|
	v_cndmask_b32_e64 v8, 0, v15, s1
	v_add_co_u32 v1, s1, v1, s4
	s_delay_alu instid0(VALU_DEP_1) | instskip(NEXT) | instid1(VALU_DEP_3)
	v_add_co_ci_u32_e64 v2, s1, 0, v2, s1
	v_add_lshl_u32 v13, v19, v8, 16
	v_lshl_or_b32 v8, v9, 16, v0
	s_delay_alu instid0(VALU_DEP_2)
	v_or_b32_e32 v9, v13, v12
	global_store_b64 v[10:11], v[8:9], off
	s_and_not1_b32 exec_lo, exec_lo, s2
	s_cbranch_execnz .LBB64_24
.LBB64_25:
	s_nop 0
	s_sendmsg sendmsg(MSG_DEALLOC_VGPRS)
	s_endpgm
	.section	.rodata,"a",@progbits
	.p2align	6, 0x0
	.amdhsa_kernel _ZN2at6native12_GLOBAL__N_125multi_tensor_apply_kernelINS1_28TensorListScalarListMetadataIsLi2EEENS1_25BinaryOpScalarListFunctorIsLi2ELi1ELi1EEEJSt7dividesIsEEEEvT_T0_DpT1_
		.amdhsa_group_segment_fixed_size 0
		.amdhsa_private_segment_fixed_size 0
		.amdhsa_kernarg_size 3528
		.amdhsa_user_sgpr_count 15
		.amdhsa_user_sgpr_dispatch_ptr 0
		.amdhsa_user_sgpr_queue_ptr 0
		.amdhsa_user_sgpr_kernarg_segment_ptr 1
		.amdhsa_user_sgpr_dispatch_id 0
		.amdhsa_user_sgpr_private_segment_size 0
		.amdhsa_wavefront_size32 1
		.amdhsa_uses_dynamic_stack 0
		.amdhsa_enable_private_segment 0
		.amdhsa_system_sgpr_workgroup_id_x 1
		.amdhsa_system_sgpr_workgroup_id_y 0
		.amdhsa_system_sgpr_workgroup_id_z 0
		.amdhsa_system_sgpr_workgroup_info 0
		.amdhsa_system_vgpr_workitem_id 0
		.amdhsa_next_free_vgpr 33
		.amdhsa_next_free_sgpr 21
		.amdhsa_reserve_vcc 1
		.amdhsa_float_round_mode_32 0
		.amdhsa_float_round_mode_16_64 0
		.amdhsa_float_denorm_mode_32 3
		.amdhsa_float_denorm_mode_16_64 3
		.amdhsa_dx10_clamp 1
		.amdhsa_ieee_mode 1
		.amdhsa_fp16_overflow 0
		.amdhsa_workgroup_processor_mode 1
		.amdhsa_memory_ordered 1
		.amdhsa_forward_progress 0
		.amdhsa_shared_vgpr_count 0
		.amdhsa_exception_fp_ieee_invalid_op 0
		.amdhsa_exception_fp_denorm_src 0
		.amdhsa_exception_fp_ieee_div_zero 0
		.amdhsa_exception_fp_ieee_overflow 0
		.amdhsa_exception_fp_ieee_underflow 0
		.amdhsa_exception_fp_ieee_inexact 0
		.amdhsa_exception_int_div_zero 0
	.end_amdhsa_kernel
	.section	.text._ZN2at6native12_GLOBAL__N_125multi_tensor_apply_kernelINS1_28TensorListScalarListMetadataIsLi2EEENS1_25BinaryOpScalarListFunctorIsLi2ELi1ELi1EEEJSt7dividesIsEEEEvT_T0_DpT1_,"axG",@progbits,_ZN2at6native12_GLOBAL__N_125multi_tensor_apply_kernelINS1_28TensorListScalarListMetadataIsLi2EEENS1_25BinaryOpScalarListFunctorIsLi2ELi1ELi1EEEJSt7dividesIsEEEEvT_T0_DpT1_,comdat
.Lfunc_end64:
	.size	_ZN2at6native12_GLOBAL__N_125multi_tensor_apply_kernelINS1_28TensorListScalarListMetadataIsLi2EEENS1_25BinaryOpScalarListFunctorIsLi2ELi1ELi1EEEJSt7dividesIsEEEEvT_T0_DpT1_, .Lfunc_end64-_ZN2at6native12_GLOBAL__N_125multi_tensor_apply_kernelINS1_28TensorListScalarListMetadataIsLi2EEENS1_25BinaryOpScalarListFunctorIsLi2ELi1ELi1EEEJSt7dividesIsEEEEvT_T0_DpT1_
                                        ; -- End function
	.section	.AMDGPU.csdata,"",@progbits
; Kernel info:
; codeLenInByte = 2044
; NumSgprs: 23
; NumVgprs: 33
; ScratchSize: 0
; MemoryBound: 0
; FloatMode: 240
; IeeeMode: 1
; LDSByteSize: 0 bytes/workgroup (compile time only)
; SGPRBlocks: 2
; VGPRBlocks: 4
; NumSGPRsForWavesPerEU: 23
; NumVGPRsForWavesPerEU: 33
; Occupancy: 16
; WaveLimiterHint : 0
; COMPUTE_PGM_RSRC2:SCRATCH_EN: 0
; COMPUTE_PGM_RSRC2:USER_SGPR: 15
; COMPUTE_PGM_RSRC2:TRAP_HANDLER: 0
; COMPUTE_PGM_RSRC2:TGID_X_EN: 1
; COMPUTE_PGM_RSRC2:TGID_Y_EN: 0
; COMPUTE_PGM_RSRC2:TGID_Z_EN: 0
; COMPUTE_PGM_RSRC2:TIDIG_COMP_CNT: 0
	.section	.text._ZN2at6native12_GLOBAL__N_125multi_tensor_apply_kernelINS1_28TensorListScalarListMetadataIdLi2EEENS1_25BinaryOpScalarListFunctorIdLi2ELi1ELi1EEEJSt7dividesIdEEEEvT_T0_DpT1_,"axG",@progbits,_ZN2at6native12_GLOBAL__N_125multi_tensor_apply_kernelINS1_28TensorListScalarListMetadataIdLi2EEENS1_25BinaryOpScalarListFunctorIdLi2ELi1ELi1EEEJSt7dividesIdEEEEvT_T0_DpT1_,comdat
	.globl	_ZN2at6native12_GLOBAL__N_125multi_tensor_apply_kernelINS1_28TensorListScalarListMetadataIdLi2EEENS1_25BinaryOpScalarListFunctorIdLi2ELi1ELi1EEEJSt7dividesIdEEEEvT_T0_DpT1_ ; -- Begin function _ZN2at6native12_GLOBAL__N_125multi_tensor_apply_kernelINS1_28TensorListScalarListMetadataIdLi2EEENS1_25BinaryOpScalarListFunctorIdLi2ELi1ELi1EEEJSt7dividesIdEEEEvT_T0_DpT1_
	.p2align	8
	.type	_ZN2at6native12_GLOBAL__N_125multi_tensor_apply_kernelINS1_28TensorListScalarListMetadataIdLi2EEENS1_25BinaryOpScalarListFunctorIdLi2ELi1ELi1EEEJSt7dividesIdEEEEvT_T0_DpT1_,@function
_ZN2at6native12_GLOBAL__N_125multi_tensor_apply_kernelINS1_28TensorListScalarListMetadataIdLi2EEENS1_25BinaryOpScalarListFunctorIdLi2ELi1ELi1EEEJSt7dividesIdEEEEvT_T0_DpT1_: ; @_ZN2at6native12_GLOBAL__N_125multi_tensor_apply_kernelINS1_28TensorListScalarListMetadataIdLi2EEENS1_25BinaryOpScalarListFunctorIdLi2ELi1ELi1EEEJSt7dividesIdEEEEvT_T0_DpT1_
; %bb.0:
	v_mov_b32_e32 v1, s15
	s_add_u32 s2, s0, s15
	s_mul_hi_u32 s3, s15, 3
	s_mul_i32 s15, s15, 3
	s_addc_u32 s4, s1, 0
	global_load_u8 v1, v1, s[0:1] offset:2048
	s_add_u32 s2, s2, s15
	s_addc_u32 s3, s4, s3
	s_mov_b32 s15, 0
	s_load_b32 s8, s[2:3], 0x940
	s_mov_b32 s21, s15
	s_mov_b32 s23, s15
	s_waitcnt vmcnt(0)
	v_readfirstlane_b32 s2, v1
	s_delay_alu instid0(VALU_DEP_1)
	s_lshl_b32 s9, s2, 3
	s_clause 0x3
	s_load_b64 s[2:3], s[0:1], s9 offset:0x0
	s_load_b64 s[6:7], s[0:1], s9 offset:0x600
	;; [unrolled: 1-line block ×4, first 2 shown]
	s_waitcnt lgkmcnt(0)
	s_ashr_i32 s9, s8, 31
	s_delay_alu instid0(SALU_CYCLE_1) | instskip(NEXT) | instid1(SALU_CYCLE_1)
	s_lshl_b64 s[10:11], s[8:9], 19
	s_add_u32 s16, s2, s10
	s_addc_u32 s17, s3, s11
	s_and_b32 s14, s16, 31
	s_add_u32 s18, s4, s10
	s_addc_u32 s19, s5, s11
	s_and_b32 s20, s12, 3
	s_and_b32 s22, s18, 31
	s_or_b64 s[14:15], s[14:15], s[20:21]
	s_lshl_b64 s[8:9], s[8:9], 16
	s_or_b64 s[14:15], s[22:23], s[14:15]
	s_sub_u32 s8, s12, s8
	s_subb_u32 s9, s13, s9
	s_cmp_eq_u64 s[14:15], 0
	s_mov_b32 s12, -1
	s_cbranch_scc1 .LBB65_21
; %bb.1:
	v_cmp_lt_i64_e64 s12, s[8:9], 1
	s_delay_alu instid0(VALU_DEP_1)
	s_and_b32 vcc_lo, exec_lo, s12
	s_cbranch_vccnz .LBB65_20
; %bb.2:
	s_load_b32 s12, s[0:1], 0xe54
	v_dual_mov_b32 v2, 0 :: v_dual_lshlrev_b32 v1, 3, v0
	v_cmp_gt_u64_e64 s13, 0x10000, s[8:9]
	s_delay_alu instid0(VALU_DEP_2) | instskip(NEXT) | instid1(VALU_DEP_1)
	v_add_co_u32 v9, s14, s2, v1
	v_add_co_ci_u32_e64 v10, null, s3, 0, s14
	v_add_co_u32 v11, s14, s4, v1
	s_delay_alu instid0(VALU_DEP_1)
	v_add_co_ci_u32_e64 v12, null, s5, 0, s14
	s_waitcnt lgkmcnt(0)
	s_and_b32 s14, s12, 0xffff
	s_and_b32 s12, s13, exec_lo
	v_mad_u64_u32 v[3:4], null, s14, 24, v[1:2]
	s_cselect_b32 s13, s9, 0
	s_cselect_b32 s12, s8, 0x10000
	s_lshl_b32 s21, s14, 4
	s_mul_i32 s20, s14, 3
	v_add_co_u32 v1, s21, s21, v1
	s_delay_alu instid0(VALU_DEP_2) | instskip(NEXT) | instid1(VALU_DEP_3)
	v_add_co_u32 v13, vcc_lo, s2, v3
	v_add_co_ci_u32_e32 v14, vcc_lo, s3, v4, vcc_lo
	v_add_co_u32 v17, s20, s20, v0
	v_add_co_u32 v15, vcc_lo, s4, v3
	v_add_co_ci_u32_e64 v2, null, 0, 0, s21
	v_add_co_ci_u32_e64 v18, null, 0, 0, s20
	v_add_co_u32 v21, s20, v0, s14
	v_add_co_ci_u32_e32 v16, vcc_lo, s5, v4, vcc_lo
	v_add_co_u32 v19, vcc_lo, s2, v1
	v_add_co_ci_u32_e32 v20, vcc_lo, s3, v2, vcc_lo
	v_add_co_u32 v22, vcc_lo, s4, v1
	v_lshlrev_b32_e32 v1, 3, v21
	s_lshl_b32 s15, s14, 1
	v_add_co_ci_u32_e32 v23, vcc_lo, s5, v2, vcc_lo
	v_add_co_u32 v25, s15, s15, v0
	s_delay_alu instid0(VALU_DEP_3) | instskip(NEXT) | instid1(VALU_DEP_1)
	v_add_co_u32 v27, s2, s2, v1
	v_add_co_ci_u32_e64 v28, null, s3, 0, s2
	v_add_co_u32 v29, s2, s4, v1
	v_add_co_ci_u32_e64 v24, null, 0, 0, s20
	v_add_co_ci_u32_e64 v26, null, 0, 0, s15
	;; [unrolled: 1-line block ×3, first 2 shown]
	s_lshl_b32 s20, s14, 2
	s_lshl_b32 s21, s14, 5
	s_mov_b64 s[14:15], 0
	s_branch .LBB65_4
.LBB65_3:                               ;   in Loop: Header=BB65_4 Depth=1
	s_or_b32 exec_lo, exec_lo, s3
	v_add_co_u32 v9, vcc_lo, v9, s21
	v_add_co_ci_u32_e32 v10, vcc_lo, 0, v10, vcc_lo
	v_add_co_u32 v11, vcc_lo, v11, s21
	v_add_co_ci_u32_e32 v12, vcc_lo, 0, v12, vcc_lo
	;; [unrolled: 2-line block ×5, first 2 shown]
	s_add_u32 s14, s14, s20
	v_add_co_u32 v22, vcc_lo, v22, s21
	s_addc_u32 s15, s15, 0
	v_add_co_ci_u32_e32 v23, vcc_lo, 0, v23, vcc_lo
	v_cmp_lt_i64_e64 s2, s[14:15], s[8:9]
	v_cmp_gt_u64_e64 s3, 0x10000, s[14:15]
	v_add_co_u32 v27, vcc_lo, v27, s21
	v_add_co_ci_u32_e32 v28, vcc_lo, 0, v28, vcc_lo
	v_add_co_u32 v29, vcc_lo, v29, s21
	v_add_co_ci_u32_e32 v30, vcc_lo, 0, v30, vcc_lo
	s_and_b32 s2, s2, s3
	s_delay_alu instid0(SALU_CYCLE_1)
	s_and_b32 vcc_lo, exec_lo, s2
	s_cbranch_vccz .LBB65_20
.LBB65_4:                               ; =>This Inner Loop Header: Depth=1
	s_waitcnt vmcnt(0)
	v_add_co_u32 v1, s2, v0, s14
	s_delay_alu instid0(VALU_DEP_1) | instskip(SKIP_2) | instid1(VALU_DEP_3)
	v_add_co_ci_u32_e64 v2, null, 0, s15, s2
	v_mov_b32_e32 v3, 0
	v_mov_b32_e32 v4, 0
	v_cmp_gt_u64_e32 vcc_lo, s[12:13], v[1:2]
	s_delay_alu instid0(VALU_DEP_2)
	v_dual_mov_b32 v8, v4 :: v_dual_mov_b32 v7, v3
	s_and_saveexec_b32 s3, vcc_lo
	s_cbranch_execz .LBB65_6
; %bb.5:                                ;   in Loop: Header=BB65_4 Depth=1
	v_add_co_u32 v1, s2, v9, s10
	s_delay_alu instid0(VALU_DEP_1)
	v_add_co_ci_u32_e64 v2, s2, s11, v10, s2
	global_load_b64 v[7:8], v[1:2], off
.LBB65_6:                               ;   in Loop: Header=BB65_4 Depth=1
	s_or_b32 exec_lo, exec_lo, s3
	v_add_co_u32 v1, s2, v21, s14
	s_delay_alu instid0(VALU_DEP_1) | instskip(NEXT) | instid1(VALU_DEP_1)
	v_add_co_ci_u32_e64 v2, s2, s15, v24, s2
	v_cmp_gt_u64_e64 s4, s[12:13], v[1:2]
	s_delay_alu instid0(VALU_DEP_1)
	s_and_saveexec_b32 s3, s4
	s_cbranch_execz .LBB65_8
; %bb.7:                                ;   in Loop: Header=BB65_4 Depth=1
	v_add_co_u32 v1, s2, v27, s10
	s_delay_alu instid0(VALU_DEP_1)
	v_add_co_ci_u32_e64 v2, s2, s11, v28, s2
	global_load_b64 v[3:4], v[1:2], off
.LBB65_8:                               ;   in Loop: Header=BB65_4 Depth=1
	s_or_b32 exec_lo, exec_lo, s3
	v_add_co_u32 v5, s2, v25, s14
	s_delay_alu instid0(VALU_DEP_1) | instskip(SKIP_2) | instid1(VALU_DEP_3)
	v_add_co_ci_u32_e64 v6, s2, s15, v26, s2
	v_mov_b32_e32 v1, 0
	v_mov_b32_e32 v2, 0
	v_cmp_gt_u64_e64 s3, s[12:13], v[5:6]
	s_delay_alu instid0(VALU_DEP_2) | instskip(NEXT) | instid1(VALU_DEP_2)
	v_dual_mov_b32 v6, v2 :: v_dual_mov_b32 v5, v1
	s_and_saveexec_b32 s5, s3
	s_cbranch_execz .LBB65_10
; %bb.9:                                ;   in Loop: Header=BB65_4 Depth=1
	v_add_co_u32 v5, s2, v19, s10
	s_delay_alu instid0(VALU_DEP_1)
	v_add_co_ci_u32_e64 v6, s2, s11, v20, s2
	global_load_b64 v[5:6], v[5:6], off
.LBB65_10:                              ;   in Loop: Header=BB65_4 Depth=1
	s_or_b32 exec_lo, exec_lo, s5
	v_add_co_u32 v31, s2, v17, s14
	s_delay_alu instid0(VALU_DEP_1) | instskip(NEXT) | instid1(VALU_DEP_1)
	v_add_co_ci_u32_e64 v32, s2, s15, v18, s2
	v_cmp_gt_u64_e64 s2, s[12:13], v[31:32]
	s_delay_alu instid0(VALU_DEP_1)
	s_and_saveexec_b32 s22, s2
	s_cbranch_execnz .LBB65_15
; %bb.11:                               ;   in Loop: Header=BB65_4 Depth=1
	s_or_b32 exec_lo, exec_lo, s22
	s_and_saveexec_b32 s5, vcc_lo
	s_cbranch_execnz .LBB65_16
.LBB65_12:                              ;   in Loop: Header=BB65_4 Depth=1
	s_or_b32 exec_lo, exec_lo, s5
	s_and_saveexec_b32 s5, s4
	s_cbranch_execnz .LBB65_17
.LBB65_13:                              ;   in Loop: Header=BB65_4 Depth=1
	s_or_b32 exec_lo, exec_lo, s5
	s_and_saveexec_b32 s4, s3
	s_cbranch_execnz .LBB65_18
.LBB65_14:                              ;   in Loop: Header=BB65_4 Depth=1
	s_or_b32 exec_lo, exec_lo, s4
	s_and_saveexec_b32 s3, s2
	s_cbranch_execz .LBB65_3
	s_branch .LBB65_19
.LBB65_15:                              ;   in Loop: Header=BB65_4 Depth=1
	v_add_co_u32 v1, s5, v13, s10
	s_delay_alu instid0(VALU_DEP_1)
	v_add_co_ci_u32_e64 v2, s5, s11, v14, s5
	global_load_b64 v[1:2], v[1:2], off
	s_or_b32 exec_lo, exec_lo, s22
	s_and_saveexec_b32 s5, vcc_lo
	s_cbranch_execz .LBB65_12
.LBB65_16:                              ;   in Loop: Header=BB65_4 Depth=1
	s_waitcnt vmcnt(0)
	v_div_scale_f64 v[31:32], null, s[6:7], s[6:7], v[7:8]
	s_delay_alu instid0(VALU_DEP_1) | instskip(SKIP_2) | instid1(VALU_DEP_1)
	v_rcp_f64_e32 v[33:34], v[31:32]
	s_waitcnt_depctr 0xfff
	v_fma_f64 v[35:36], -v[31:32], v[33:34], 1.0
	v_fma_f64 v[33:34], v[33:34], v[35:36], v[33:34]
	s_delay_alu instid0(VALU_DEP_1) | instskip(NEXT) | instid1(VALU_DEP_1)
	v_fma_f64 v[35:36], -v[31:32], v[33:34], 1.0
	v_fma_f64 v[33:34], v[33:34], v[35:36], v[33:34]
	v_div_scale_f64 v[35:36], vcc_lo, v[7:8], s[6:7], v[7:8]
	s_delay_alu instid0(VALU_DEP_1) | instskip(NEXT) | instid1(VALU_DEP_1)
	v_mul_f64 v[37:38], v[35:36], v[33:34]
	v_fma_f64 v[31:32], -v[31:32], v[37:38], v[35:36]
	s_delay_alu instid0(VALU_DEP_1) | instskip(NEXT) | instid1(VALU_DEP_1)
	v_div_fmas_f64 v[31:32], v[31:32], v[33:34], v[37:38]
	v_div_fixup_f64 v[7:8], v[31:32], s[6:7], v[7:8]
	v_add_co_u32 v31, vcc_lo, v11, s10
	v_add_co_ci_u32_e32 v32, vcc_lo, s11, v12, vcc_lo
	global_store_b64 v[31:32], v[7:8], off
	s_or_b32 exec_lo, exec_lo, s5
	s_and_saveexec_b32 s5, s4
	s_cbranch_execz .LBB65_13
.LBB65_17:                              ;   in Loop: Header=BB65_4 Depth=1
	s_waitcnt vmcnt(0)
	v_div_scale_f64 v[7:8], null, s[6:7], s[6:7], v[3:4]
	s_delay_alu instid0(VALU_DEP_1) | instskip(SKIP_2) | instid1(VALU_DEP_1)
	v_rcp_f64_e32 v[31:32], v[7:8]
	s_waitcnt_depctr 0xfff
	v_fma_f64 v[33:34], -v[7:8], v[31:32], 1.0
	v_fma_f64 v[31:32], v[31:32], v[33:34], v[31:32]
	s_delay_alu instid0(VALU_DEP_1) | instskip(NEXT) | instid1(VALU_DEP_1)
	v_fma_f64 v[33:34], -v[7:8], v[31:32], 1.0
	v_fma_f64 v[31:32], v[31:32], v[33:34], v[31:32]
	v_div_scale_f64 v[33:34], vcc_lo, v[3:4], s[6:7], v[3:4]
	s_delay_alu instid0(VALU_DEP_1) | instskip(NEXT) | instid1(VALU_DEP_1)
	v_mul_f64 v[35:36], v[33:34], v[31:32]
	v_fma_f64 v[7:8], -v[7:8], v[35:36], v[33:34]
	s_delay_alu instid0(VALU_DEP_1) | instskip(NEXT) | instid1(VALU_DEP_1)
	v_div_fmas_f64 v[7:8], v[7:8], v[31:32], v[35:36]
	v_div_fixup_f64 v[3:4], v[7:8], s[6:7], v[3:4]
	v_add_co_u32 v7, vcc_lo, v29, s10
	v_add_co_ci_u32_e32 v8, vcc_lo, s11, v30, vcc_lo
	global_store_b64 v[7:8], v[3:4], off
	s_or_b32 exec_lo, exec_lo, s5
	s_and_saveexec_b32 s4, s3
	s_cbranch_execz .LBB65_14
.LBB65_18:                              ;   in Loop: Header=BB65_4 Depth=1
	s_waitcnt vmcnt(0)
	v_div_scale_f64 v[3:4], null, s[6:7], s[6:7], v[5:6]
	s_delay_alu instid0(VALU_DEP_1) | instskip(SKIP_2) | instid1(VALU_DEP_1)
	v_rcp_f64_e32 v[7:8], v[3:4]
	s_waitcnt_depctr 0xfff
	v_fma_f64 v[31:32], -v[3:4], v[7:8], 1.0
	v_fma_f64 v[7:8], v[7:8], v[31:32], v[7:8]
	s_delay_alu instid0(VALU_DEP_1) | instskip(NEXT) | instid1(VALU_DEP_1)
	v_fma_f64 v[31:32], -v[3:4], v[7:8], 1.0
	v_fma_f64 v[7:8], v[7:8], v[31:32], v[7:8]
	v_div_scale_f64 v[31:32], vcc_lo, v[5:6], s[6:7], v[5:6]
	s_delay_alu instid0(VALU_DEP_1) | instskip(NEXT) | instid1(VALU_DEP_1)
	v_mul_f64 v[33:34], v[31:32], v[7:8]
	v_fma_f64 v[3:4], -v[3:4], v[33:34], v[31:32]
	s_delay_alu instid0(VALU_DEP_1) | instskip(NEXT) | instid1(VALU_DEP_1)
	v_div_fmas_f64 v[3:4], v[3:4], v[7:8], v[33:34]
	v_div_fixup_f64 v[3:4], v[3:4], s[6:7], v[5:6]
	v_add_co_u32 v5, vcc_lo, v22, s10
	v_add_co_ci_u32_e32 v6, vcc_lo, s11, v23, vcc_lo
	global_store_b64 v[5:6], v[3:4], off
	s_or_b32 exec_lo, exec_lo, s4
	s_and_saveexec_b32 s3, s2
	s_cbranch_execz .LBB65_3
.LBB65_19:                              ;   in Loop: Header=BB65_4 Depth=1
	s_waitcnt vmcnt(0)
	v_div_scale_f64 v[3:4], null, s[6:7], s[6:7], v[1:2]
	s_delay_alu instid0(VALU_DEP_1) | instskip(SKIP_2) | instid1(VALU_DEP_1)
	v_rcp_f64_e32 v[5:6], v[3:4]
	s_waitcnt_depctr 0xfff
	v_fma_f64 v[7:8], -v[3:4], v[5:6], 1.0
	v_fma_f64 v[5:6], v[5:6], v[7:8], v[5:6]
	s_delay_alu instid0(VALU_DEP_1) | instskip(NEXT) | instid1(VALU_DEP_1)
	v_fma_f64 v[7:8], -v[3:4], v[5:6], 1.0
	v_fma_f64 v[5:6], v[5:6], v[7:8], v[5:6]
	v_div_scale_f64 v[7:8], vcc_lo, v[1:2], s[6:7], v[1:2]
	s_delay_alu instid0(VALU_DEP_1) | instskip(NEXT) | instid1(VALU_DEP_1)
	v_mul_f64 v[31:32], v[7:8], v[5:6]
	v_fma_f64 v[3:4], -v[3:4], v[31:32], v[7:8]
	s_delay_alu instid0(VALU_DEP_1) | instskip(NEXT) | instid1(VALU_DEP_1)
	v_div_fmas_f64 v[3:4], v[3:4], v[5:6], v[31:32]
	v_div_fixup_f64 v[1:2], v[3:4], s[6:7], v[1:2]
	v_add_co_u32 v3, vcc_lo, v15, s10
	v_add_co_ci_u32_e32 v4, vcc_lo, s11, v16, vcc_lo
	global_store_b64 v[3:4], v[1:2], off
	s_branch .LBB65_3
.LBB65_20:
	s_mov_b32 s12, 0
.LBB65_21:
	s_delay_alu instid0(SALU_CYCLE_1)
	s_and_not1_b32 vcc_lo, exec_lo, s12
	s_cbranch_vccnz .LBB65_25
; %bb.22:
	s_waitcnt vmcnt(0)
	v_dual_mov_b32 v2, 0 :: v_dual_lshlrev_b32 v1, 2, v0
	s_mov_b32 s3, 0
	s_mov_b32 s2, exec_lo
	s_delay_alu instid0(VALU_DEP_1)
	v_cmpx_gt_i64_e64 s[8:9], v[1:2]
	s_cbranch_execz .LBB65_25
; %bb.23:
	s_load_b32 s0, s[0:1], 0xe54
	s_waitcnt lgkmcnt(0)
	s_and_b32 s0, s0, 0xffff
	s_delay_alu instid0(SALU_CYCLE_1)
	v_add_lshl_u32 v1, v0, s0, 2
	v_lshlrev_b32_e32 v0, 5, v0
	s_lshl_b32 s4, s0, 2
	s_lshl_b32 s5, s0, 5
.LBB65_24:                              ; =>This Inner Loop Header: Depth=1
	s_delay_alu instid0(VALU_DEP_1) | instskip(NEXT) | instid1(VALU_DEP_1)
	v_add_co_u32 v7, s0, s16, v0
	v_add_co_ci_u32_e64 v8, null, s17, 0, s0
	s_clause 0x1
	global_load_b128 v[3:6], v[7:8], off
	global_load_b128 v[7:10], v[7:8], off offset:16
	s_waitcnt vmcnt(1)
	v_div_scale_f64 v[11:12], null, s[6:7], s[6:7], v[3:4]
	v_div_scale_f64 v[13:14], null, s[6:7], s[6:7], v[5:6]
	s_waitcnt vmcnt(0)
	v_div_scale_f64 v[15:16], null, s[6:7], s[6:7], v[7:8]
	v_div_scale_f64 v[17:18], null, s[6:7], s[6:7], v[9:10]
	v_div_scale_f64 v[35:36], vcc_lo, v[3:4], s[6:7], v[3:4]
	v_div_scale_f64 v[37:38], s0, v[5:6], s[6:7], v[5:6]
	v_div_scale_f64 v[39:40], s1, v[7:8], s[6:7], v[7:8]
	v_rcp_f64_e32 v[19:20], v[11:12]
	v_rcp_f64_e32 v[21:22], v[13:14]
	;; [unrolled: 1-line block ×3, first 2 shown]
	s_delay_alu instid0(VALU_DEP_4) | instskip(SKIP_1) | instid1(TRANS32_DEP_3)
	v_rcp_f64_e32 v[25:26], v[17:18]
	v_fma_f64 v[27:28], -v[11:12], v[19:20], 1.0
	v_fma_f64 v[29:30], -v[13:14], v[21:22], 1.0
	s_waitcnt_depctr 0xfff
	v_fma_f64 v[31:32], -v[15:16], v[23:24], 1.0
	v_fma_f64 v[33:34], -v[17:18], v[25:26], 1.0
	v_fma_f64 v[19:20], v[19:20], v[27:28], v[19:20]
	v_fma_f64 v[21:22], v[21:22], v[29:30], v[21:22]
	s_delay_alu instid0(VALU_DEP_4) | instskip(NEXT) | instid1(VALU_DEP_4)
	v_fma_f64 v[23:24], v[23:24], v[31:32], v[23:24]
	v_fma_f64 v[25:26], v[25:26], v[33:34], v[25:26]
	s_delay_alu instid0(VALU_DEP_4) | instskip(NEXT) | instid1(VALU_DEP_4)
	v_fma_f64 v[27:28], -v[11:12], v[19:20], 1.0
	v_fma_f64 v[29:30], -v[13:14], v[21:22], 1.0
	s_delay_alu instid0(VALU_DEP_4) | instskip(NEXT) | instid1(VALU_DEP_4)
	v_fma_f64 v[31:32], -v[15:16], v[23:24], 1.0
	v_fma_f64 v[33:34], -v[17:18], v[25:26], 1.0
	s_delay_alu instid0(VALU_DEP_4)
	v_fma_f64 v[19:20], v[19:20], v[27:28], v[19:20]
	v_div_scale_f64 v[27:28], s2, v[9:10], s[6:7], v[9:10]
	v_fma_f64 v[21:22], v[21:22], v[29:30], v[21:22]
	v_fma_f64 v[23:24], v[23:24], v[31:32], v[23:24]
	;; [unrolled: 1-line block ×3, first 2 shown]
	v_mul_f64 v[29:30], v[35:36], v[19:20]
	s_delay_alu instid0(VALU_DEP_4) | instskip(NEXT) | instid1(VALU_DEP_4)
	v_mul_f64 v[31:32], v[37:38], v[21:22]
	v_mul_f64 v[33:34], v[39:40], v[23:24]
	s_delay_alu instid0(VALU_DEP_4) | instskip(NEXT) | instid1(VALU_DEP_4)
	v_mul_f64 v[41:42], v[27:28], v[25:26]
	v_fma_f64 v[11:12], -v[11:12], v[29:30], v[35:36]
	s_delay_alu instid0(VALU_DEP_4) | instskip(NEXT) | instid1(VALU_DEP_4)
	v_fma_f64 v[13:14], -v[13:14], v[31:32], v[37:38]
	v_fma_f64 v[15:16], -v[15:16], v[33:34], v[39:40]
	s_delay_alu instid0(VALU_DEP_4) | instskip(NEXT) | instid1(VALU_DEP_4)
	v_fma_f64 v[17:18], -v[17:18], v[41:42], v[27:28]
	v_div_fmas_f64 v[11:12], v[11:12], v[19:20], v[29:30]
	s_mov_b32 vcc_lo, s0
	v_cmp_lt_u64_e64 s0, 0xffff, v[1:2]
	v_div_fmas_f64 v[13:14], v[13:14], v[21:22], v[31:32]
	s_mov_b32 vcc_lo, s1
	v_div_fmas_f64 v[15:16], v[15:16], v[23:24], v[33:34]
	s_mov_b32 vcc_lo, s2
	v_div_fmas_f64 v[17:18], v[17:18], v[25:26], v[41:42]
	v_cmp_le_i64_e32 vcc_lo, s[8:9], v[1:2]
	s_or_b32 s0, vcc_lo, s0
	s_add_u32 s16, s16, s5
	s_addc_u32 s17, s17, 0
	v_div_fixup_f64 v[3:4], v[11:12], s[6:7], v[3:4]
	v_add_co_u32 v11, s1, s18, v0
	v_div_fixup_f64 v[5:6], v[13:14], s[6:7], v[5:6]
	v_add_co_ci_u32_e64 v12, null, s19, 0, s1
	v_div_fixup_f64 v[7:8], v[15:16], s[6:7], v[7:8]
	v_add_co_u32 v1, s1, v1, s4
	v_div_fixup_f64 v[9:10], v[17:18], s[6:7], v[9:10]
	s_add_u32 s18, s18, s5
	v_add_co_ci_u32_e64 v2, s1, 0, v2, s1
	s_addc_u32 s19, s19, 0
	s_and_b32 s0, exec_lo, s0
	s_clause 0x1
	global_store_b128 v[11:12], v[3:6], off
	global_store_b128 v[11:12], v[7:10], off offset:16
	s_or_b32 s3, s0, s3
	s_delay_alu instid0(SALU_CYCLE_1)
	s_and_not1_b32 exec_lo, exec_lo, s3
	s_cbranch_execnz .LBB65_24
.LBB65_25:
	s_nop 0
	s_sendmsg sendmsg(MSG_DEALLOC_VGPRS)
	s_endpgm
	.section	.rodata,"a",@progbits
	.p2align	6, 0x0
	.amdhsa_kernel _ZN2at6native12_GLOBAL__N_125multi_tensor_apply_kernelINS1_28TensorListScalarListMetadataIdLi2EEENS1_25BinaryOpScalarListFunctorIdLi2ELi1ELi1EEEJSt7dividesIdEEEEvT_T0_DpT1_
		.amdhsa_group_segment_fixed_size 0
		.amdhsa_private_segment_fixed_size 0
		.amdhsa_kernarg_size 3912
		.amdhsa_user_sgpr_count 15
		.amdhsa_user_sgpr_dispatch_ptr 0
		.amdhsa_user_sgpr_queue_ptr 0
		.amdhsa_user_sgpr_kernarg_segment_ptr 1
		.amdhsa_user_sgpr_dispatch_id 0
		.amdhsa_user_sgpr_private_segment_size 0
		.amdhsa_wavefront_size32 1
		.amdhsa_uses_dynamic_stack 0
		.amdhsa_enable_private_segment 0
		.amdhsa_system_sgpr_workgroup_id_x 1
		.amdhsa_system_sgpr_workgroup_id_y 0
		.amdhsa_system_sgpr_workgroup_id_z 0
		.amdhsa_system_sgpr_workgroup_info 0
		.amdhsa_system_vgpr_workitem_id 0
		.amdhsa_next_free_vgpr 43
		.amdhsa_next_free_sgpr 24
		.amdhsa_reserve_vcc 1
		.amdhsa_float_round_mode_32 0
		.amdhsa_float_round_mode_16_64 0
		.amdhsa_float_denorm_mode_32 3
		.amdhsa_float_denorm_mode_16_64 3
		.amdhsa_dx10_clamp 1
		.amdhsa_ieee_mode 1
		.amdhsa_fp16_overflow 0
		.amdhsa_workgroup_processor_mode 1
		.amdhsa_memory_ordered 1
		.amdhsa_forward_progress 0
		.amdhsa_shared_vgpr_count 0
		.amdhsa_exception_fp_ieee_invalid_op 0
		.amdhsa_exception_fp_denorm_src 0
		.amdhsa_exception_fp_ieee_div_zero 0
		.amdhsa_exception_fp_ieee_overflow 0
		.amdhsa_exception_fp_ieee_underflow 0
		.amdhsa_exception_fp_ieee_inexact 0
		.amdhsa_exception_int_div_zero 0
	.end_amdhsa_kernel
	.section	.text._ZN2at6native12_GLOBAL__N_125multi_tensor_apply_kernelINS1_28TensorListScalarListMetadataIdLi2EEENS1_25BinaryOpScalarListFunctorIdLi2ELi1ELi1EEEJSt7dividesIdEEEEvT_T0_DpT1_,"axG",@progbits,_ZN2at6native12_GLOBAL__N_125multi_tensor_apply_kernelINS1_28TensorListScalarListMetadataIdLi2EEENS1_25BinaryOpScalarListFunctorIdLi2ELi1ELi1EEEJSt7dividesIdEEEEvT_T0_DpT1_,comdat
.Lfunc_end65:
	.size	_ZN2at6native12_GLOBAL__N_125multi_tensor_apply_kernelINS1_28TensorListScalarListMetadataIdLi2EEENS1_25BinaryOpScalarListFunctorIdLi2ELi1ELi1EEEJSt7dividesIdEEEEvT_T0_DpT1_, .Lfunc_end65-_ZN2at6native12_GLOBAL__N_125multi_tensor_apply_kernelINS1_28TensorListScalarListMetadataIdLi2EEENS1_25BinaryOpScalarListFunctorIdLi2ELi1ELi1EEEJSt7dividesIdEEEEvT_T0_DpT1_
                                        ; -- End function
	.section	.AMDGPU.csdata,"",@progbits
; Kernel info:
; codeLenInByte = 2220
; NumSgprs: 26
; NumVgprs: 43
; ScratchSize: 0
; MemoryBound: 0
; FloatMode: 240
; IeeeMode: 1
; LDSByteSize: 0 bytes/workgroup (compile time only)
; SGPRBlocks: 3
; VGPRBlocks: 5
; NumSGPRsForWavesPerEU: 26
; NumVGPRsForWavesPerEU: 43
; Occupancy: 16
; WaveLimiterHint : 1
; COMPUTE_PGM_RSRC2:SCRATCH_EN: 0
; COMPUTE_PGM_RSRC2:USER_SGPR: 15
; COMPUTE_PGM_RSRC2:TRAP_HANDLER: 0
; COMPUTE_PGM_RSRC2:TGID_X_EN: 1
; COMPUTE_PGM_RSRC2:TGID_Y_EN: 0
; COMPUTE_PGM_RSRC2:TGID_Z_EN: 0
; COMPUTE_PGM_RSRC2:TIDIG_COMP_CNT: 0
	.section	.text._ZN2at6native12_GLOBAL__N_125multi_tensor_apply_kernelINS1_28TensorListScalarListMetadataIfLi2EEENS1_25BinaryOpScalarListFunctorIfLi2ELi1ELi1EEEJSt7dividesIfEEEEvT_T0_DpT1_,"axG",@progbits,_ZN2at6native12_GLOBAL__N_125multi_tensor_apply_kernelINS1_28TensorListScalarListMetadataIfLi2EEENS1_25BinaryOpScalarListFunctorIfLi2ELi1ELi1EEEJSt7dividesIfEEEEvT_T0_DpT1_,comdat
	.globl	_ZN2at6native12_GLOBAL__N_125multi_tensor_apply_kernelINS1_28TensorListScalarListMetadataIfLi2EEENS1_25BinaryOpScalarListFunctorIfLi2ELi1ELi1EEEJSt7dividesIfEEEEvT_T0_DpT1_ ; -- Begin function _ZN2at6native12_GLOBAL__N_125multi_tensor_apply_kernelINS1_28TensorListScalarListMetadataIfLi2EEENS1_25BinaryOpScalarListFunctorIfLi2ELi1ELi1EEEJSt7dividesIfEEEEvT_T0_DpT1_
	.p2align	8
	.type	_ZN2at6native12_GLOBAL__N_125multi_tensor_apply_kernelINS1_28TensorListScalarListMetadataIfLi2EEENS1_25BinaryOpScalarListFunctorIfLi2ELi1ELi1EEEJSt7dividesIfEEEEvT_T0_DpT1_,@function
_ZN2at6native12_GLOBAL__N_125multi_tensor_apply_kernelINS1_28TensorListScalarListMetadataIfLi2EEENS1_25BinaryOpScalarListFunctorIfLi2ELi1ELi1EEEJSt7dividesIfEEEEvT_T0_DpT1_: ; @_ZN2at6native12_GLOBAL__N_125multi_tensor_apply_kernelINS1_28TensorListScalarListMetadataIfLi2EEENS1_25BinaryOpScalarListFunctorIfLi2ELi1ELi1EEEJSt7dividesIfEEEEvT_T0_DpT1_
; %bb.0:
	v_mov_b32_e32 v1, s15
	s_add_u32 s2, s0, s15
	s_mul_hi_u32 s3, s15, 3
	s_mul_i32 s15, s15, 3
	s_addc_u32 s4, s1, 0
	global_load_u8 v1, v1, s[0:1] offset:1792
	s_add_u32 s2, s2, s15
	s_addc_u32 s3, s4, s3
	s_mov_b32 s13, 0
	s_load_b32 s6, s[2:3], 0x840
	s_waitcnt lgkmcnt(0)
	s_ashr_i32 s7, s6, 31
	s_waitcnt vmcnt(0)
	v_readfirstlane_b32 s2, v1
	v_lshlrev_b32_e32 v1, 2, v1
	s_delay_alu instid0(VALU_DEP_2)
	s_lshl_b32 s8, s2, 3
	s_clause 0x2
	s_load_b64 s[10:11], s[0:1], s8 offset:0x400
	s_load_b64 s[4:5], s[0:1], s8 offset:0x0
	;; [unrolled: 1-line block ×3, first 2 shown]
	s_add_u32 s8, s0, s8
	s_addc_u32 s9, s1, 0
	v_sub_co_u32 v1, s8, s8, v1
	s_delay_alu instid0(VALU_DEP_1) | instskip(NEXT) | instid1(VALU_DEP_2)
	v_sub_co_ci_u32_e64 v2, null, s9, 0, s8
	v_readfirstlane_b32 s8, v1
	s_delay_alu instid0(VALU_DEP_2)
	v_readfirstlane_b32 s9, v2
	s_load_b32 s14, s[8:9], 0x600
	s_lshl_b64 s[8:9], s[6:7], 18
	s_waitcnt lgkmcnt(0)
	s_add_u32 s15, s4, s8
	s_addc_u32 s16, s5, s9
	s_and_b32 s12, s15, 15
	s_add_u32 s17, s2, s8
	s_addc_u32 s18, s3, s9
	s_and_b32 s19, s10, 3
	s_and_b32 s20, s17, 15
	s_or_b32 s12, s12, s19
	s_lshl_b64 s[6:7], s[6:7], 16
	s_or_b32 s12, s20, s12
	s_sub_u32 s6, s10, s6
	s_subb_u32 s7, s11, s7
	s_cmp_eq_u64 s[12:13], 0
	s_mov_b32 s10, -1
	s_cbranch_scc1 .LBB66_21
; %bb.1:
	v_cmp_lt_i64_e64 s10, s[6:7], 1
	s_delay_alu instid0(VALU_DEP_1)
	s_and_b32 vcc_lo, exec_lo, s10
	s_cbranch_vccnz .LBB66_20
; %bb.2:
	s_load_b32 s10, s[0:1], 0xd54
	v_dual_mov_b32 v10, 0 :: v_dual_lshlrev_b32 v9, 2, v0
	v_cmp_gt_u64_e64 s11, 0x10000, s[6:7]
	s_delay_alu instid0(VALU_DEP_2) | instskip(NEXT) | instid1(VALU_DEP_1)
	v_add_co_u32 v1, s12, s4, v9
	v_add_co_ci_u32_e64 v2, null, s5, 0, s12
	v_add_co_u32 v3, s12, s2, v9
	s_delay_alu instid0(VALU_DEP_1)
	v_add_co_ci_u32_e64 v4, null, s3, 0, s12
	s_waitcnt lgkmcnt(0)
	s_and_b32 s12, s10, 0xffff
	s_and_b32 s10, s11, exec_lo
	v_mad_u64_u32 v[7:8], null, s12, 12, v[9:10]
	s_cselect_b32 s11, s7, 0
	s_cselect_b32 s10, s6, 0x10000
	s_mul_i32 s19, s12, 3
	s_lshl_b32 s20, s12, 3
	s_lshl_b32 s13, s12, 1
	v_add_co_u32 v14, s20, s20, v9
	v_add_co_u32 v9, s19, s19, v0
	s_delay_alu instid0(VALU_DEP_1)
	v_add_co_ci_u32_e64 v10, null, 0, 0, s19
	v_add_co_u32 v13, s19, v0, s12
	v_add_co_u32 v5, vcc_lo, s4, v7
	v_add_co_ci_u32_e32 v6, vcc_lo, s5, v8, vcc_lo
	v_add_co_u32 v7, vcc_lo, s2, v7
	v_add_co_ci_u32_e64 v15, null, 0, 0, s20
	v_lshlrev_b32_e32 v21, 2, v13
	v_add_co_ci_u32_e32 v8, vcc_lo, s3, v8, vcc_lo
	v_add_co_u32 v11, vcc_lo, s4, v14
	s_delay_alu instid0(VALU_DEP_4)
	v_add_co_ci_u32_e32 v12, vcc_lo, s5, v15, vcc_lo
	v_add_co_u32 v14, vcc_lo, s2, v14
	v_add_co_u32 v17, s13, s13, v0
	v_add_co_u32 v19, s4, s4, v21
	;; [unrolled: 1-line block ×3, first 2 shown]
	v_add_co_ci_u32_e32 v15, vcc_lo, s3, v15, vcc_lo
	v_add_co_ci_u32_e64 v16, null, 0, 0, s19
	v_add_co_ci_u32_e64 v18, null, 0, 0, s13
	v_add_co_ci_u32_e64 v20, null, s5, 0, s4
	v_add_co_ci_u32_e64 v22, null, s3, 0, s2
	s_lshl_b32 s19, s12, 2
	s_lshl_b32 s20, s12, 4
	s_mov_b64 s[12:13], 0
	s_branch .LBB66_4
.LBB66_3:                               ;   in Loop: Header=BB66_4 Depth=1
	s_or_b32 exec_lo, exec_lo, s3
	v_add_co_u32 v1, vcc_lo, v1, s20
	v_add_co_ci_u32_e32 v2, vcc_lo, 0, v2, vcc_lo
	v_add_co_u32 v3, vcc_lo, v3, s20
	v_add_co_ci_u32_e32 v4, vcc_lo, 0, v4, vcc_lo
	;; [unrolled: 2-line block ×5, first 2 shown]
	s_add_u32 s12, s12, s19
	v_add_co_u32 v14, vcc_lo, v14, s20
	s_addc_u32 s13, s13, 0
	v_add_co_ci_u32_e32 v15, vcc_lo, 0, v15, vcc_lo
	v_cmp_lt_i64_e64 s2, s[12:13], s[6:7]
	v_cmp_gt_u64_e64 s3, 0x10000, s[12:13]
	v_add_co_u32 v19, vcc_lo, v19, s20
	v_add_co_ci_u32_e32 v20, vcc_lo, 0, v20, vcc_lo
	v_add_co_u32 v21, vcc_lo, v21, s20
	v_add_co_ci_u32_e32 v22, vcc_lo, 0, v22, vcc_lo
	s_and_b32 s2, s2, s3
	s_delay_alu instid0(SALU_CYCLE_1)
	s_and_b32 vcc_lo, exec_lo, s2
	s_cbranch_vccz .LBB66_20
.LBB66_4:                               ; =>This Inner Loop Header: Depth=1
	s_waitcnt vmcnt(0)
	v_add_co_u32 v23, s2, v0, s12
	s_delay_alu instid0(VALU_DEP_1) | instskip(SKIP_1) | instid1(VALU_DEP_2)
	v_add_co_ci_u32_e64 v24, null, 0, s13, s2
	v_mov_b32_e32 v26, 0
	v_cmp_gt_u64_e32 vcc_lo, s[10:11], v[23:24]
	s_and_saveexec_b32 s3, vcc_lo
	s_cbranch_execz .LBB66_6
; %bb.5:                                ;   in Loop: Header=BB66_4 Depth=1
	v_add_co_u32 v23, s2, v1, s8
	s_delay_alu instid0(VALU_DEP_1)
	v_add_co_ci_u32_e64 v24, s2, s9, v2, s2
	global_load_b32 v26, v[23:24], off
.LBB66_6:                               ;   in Loop: Header=BB66_4 Depth=1
	s_or_b32 exec_lo, exec_lo, s3
	v_add_co_u32 v23, s2, v13, s12
	s_delay_alu instid0(VALU_DEP_1) | instskip(SKIP_1) | instid1(VALU_DEP_2)
	v_add_co_ci_u32_e64 v24, s2, s13, v16, s2
	v_mov_b32_e32 v25, 0
	v_cmp_gt_u64_e64 s4, s[10:11], v[23:24]
	s_delay_alu instid0(VALU_DEP_1)
	s_and_saveexec_b32 s3, s4
	s_cbranch_execz .LBB66_8
; %bb.7:                                ;   in Loop: Header=BB66_4 Depth=1
	v_add_co_u32 v23, s2, v19, s8
	s_delay_alu instid0(VALU_DEP_1)
	v_add_co_ci_u32_e64 v24, s2, s9, v20, s2
	global_load_b32 v25, v[23:24], off
.LBB66_8:                               ;   in Loop: Header=BB66_4 Depth=1
	s_or_b32 exec_lo, exec_lo, s3
	v_add_co_u32 v23, s2, v17, s12
	s_delay_alu instid0(VALU_DEP_1) | instskip(NEXT) | instid1(VALU_DEP_1)
	v_add_co_ci_u32_e64 v24, s2, s13, v18, s2
	v_cmp_gt_u64_e64 s3, s[10:11], v[23:24]
	v_dual_mov_b32 v23, 0 :: v_dual_mov_b32 v24, 0
	s_delay_alu instid0(VALU_DEP_2)
	s_and_saveexec_b32 s5, s3
	s_cbranch_execz .LBB66_10
; %bb.9:                                ;   in Loop: Header=BB66_4 Depth=1
	v_add_co_u32 v27, s2, v11, s8
	s_delay_alu instid0(VALU_DEP_1)
	v_add_co_ci_u32_e64 v28, s2, s9, v12, s2
	global_load_b32 v24, v[27:28], off
.LBB66_10:                              ;   in Loop: Header=BB66_4 Depth=1
	s_or_b32 exec_lo, exec_lo, s5
	v_add_co_u32 v27, s2, v9, s12
	s_delay_alu instid0(VALU_DEP_1) | instskip(NEXT) | instid1(VALU_DEP_1)
	v_add_co_ci_u32_e64 v28, s2, s13, v10, s2
	v_cmp_gt_u64_e64 s2, s[10:11], v[27:28]
	s_delay_alu instid0(VALU_DEP_1)
	s_and_saveexec_b32 s21, s2
	s_cbranch_execnz .LBB66_15
; %bb.11:                               ;   in Loop: Header=BB66_4 Depth=1
	s_or_b32 exec_lo, exec_lo, s21
	s_and_saveexec_b32 s5, vcc_lo
	s_cbranch_execnz .LBB66_16
.LBB66_12:                              ;   in Loop: Header=BB66_4 Depth=1
	s_or_b32 exec_lo, exec_lo, s5
	s_and_saveexec_b32 s5, s4
	s_cbranch_execnz .LBB66_17
.LBB66_13:                              ;   in Loop: Header=BB66_4 Depth=1
	s_or_b32 exec_lo, exec_lo, s5
	s_and_saveexec_b32 s4, s3
	s_cbranch_execnz .LBB66_18
.LBB66_14:                              ;   in Loop: Header=BB66_4 Depth=1
	s_or_b32 exec_lo, exec_lo, s4
	s_and_saveexec_b32 s3, s2
	s_cbranch_execz .LBB66_3
	s_branch .LBB66_19
.LBB66_15:                              ;   in Loop: Header=BB66_4 Depth=1
	v_add_co_u32 v27, s5, v5, s8
	s_delay_alu instid0(VALU_DEP_1)
	v_add_co_ci_u32_e64 v28, s5, s9, v6, s5
	global_load_b32 v23, v[27:28], off
	s_or_b32 exec_lo, exec_lo, s21
	s_and_saveexec_b32 s5, vcc_lo
	s_cbranch_execz .LBB66_12
.LBB66_16:                              ;   in Loop: Header=BB66_4 Depth=1
	s_waitcnt vmcnt(0)
	v_div_scale_f32 v27, null, s14, s14, v26
	s_delay_alu instid0(VALU_DEP_1) | instskip(SKIP_2) | instid1(VALU_DEP_1)
	v_rcp_f32_e32 v28, v27
	s_waitcnt_depctr 0xfff
	v_fma_f32 v29, -v27, v28, 1.0
	v_fmac_f32_e32 v28, v29, v28
	v_div_scale_f32 v29, vcc_lo, v26, s14, v26
	s_delay_alu instid0(VALU_DEP_1) | instskip(NEXT) | instid1(VALU_DEP_1)
	v_mul_f32_e32 v30, v29, v28
	v_fma_f32 v31, -v27, v30, v29
	s_delay_alu instid0(VALU_DEP_1) | instskip(NEXT) | instid1(VALU_DEP_1)
	v_fmac_f32_e32 v30, v31, v28
	v_fma_f32 v27, -v27, v30, v29
	s_delay_alu instid0(VALU_DEP_1) | instskip(SKIP_2) | instid1(VALU_DEP_3)
	v_div_fmas_f32 v29, v27, v28, v30
	v_add_co_u32 v27, vcc_lo, v3, s8
	v_add_co_ci_u32_e32 v28, vcc_lo, s9, v4, vcc_lo
	v_div_fixup_f32 v26, v29, s14, v26
	global_store_b32 v[27:28], v26, off
	s_or_b32 exec_lo, exec_lo, s5
	s_and_saveexec_b32 s5, s4
	s_cbranch_execz .LBB66_13
.LBB66_17:                              ;   in Loop: Header=BB66_4 Depth=1
	s_waitcnt vmcnt(0)
	v_div_scale_f32 v26, null, s14, s14, v25
	v_div_scale_f32 v29, vcc_lo, v25, s14, v25
	s_delay_alu instid0(VALU_DEP_2) | instskip(SKIP_2) | instid1(VALU_DEP_1)
	v_rcp_f32_e32 v27, v26
	s_waitcnt_depctr 0xfff
	v_fma_f32 v28, -v26, v27, 1.0
	v_fmac_f32_e32 v27, v28, v27
	s_delay_alu instid0(VALU_DEP_1) | instskip(NEXT) | instid1(VALU_DEP_1)
	v_mul_f32_e32 v28, v29, v27
	v_fma_f32 v30, -v26, v28, v29
	s_delay_alu instid0(VALU_DEP_1) | instskip(NEXT) | instid1(VALU_DEP_1)
	v_fmac_f32_e32 v28, v30, v27
	v_fma_f32 v26, -v26, v28, v29
	s_delay_alu instid0(VALU_DEP_1) | instskip(NEXT) | instid1(VALU_DEP_1)
	v_div_fmas_f32 v26, v26, v27, v28
	v_div_fixup_f32 v27, v26, s14, v25
	v_add_co_u32 v25, vcc_lo, v21, s8
	v_add_co_ci_u32_e32 v26, vcc_lo, s9, v22, vcc_lo
	global_store_b32 v[25:26], v27, off
	s_or_b32 exec_lo, exec_lo, s5
	s_and_saveexec_b32 s4, s3
	s_cbranch_execz .LBB66_14
.LBB66_18:                              ;   in Loop: Header=BB66_4 Depth=1
	s_waitcnt vmcnt(0)
	v_div_scale_f32 v25, null, s14, s14, v24
	v_div_scale_f32 v28, vcc_lo, v24, s14, v24
	s_delay_alu instid0(VALU_DEP_2) | instskip(SKIP_2) | instid1(VALU_DEP_1)
	v_rcp_f32_e32 v26, v25
	s_waitcnt_depctr 0xfff
	v_fma_f32 v27, -v25, v26, 1.0
	v_fmac_f32_e32 v26, v27, v26
	s_delay_alu instid0(VALU_DEP_1) | instskip(NEXT) | instid1(VALU_DEP_1)
	v_mul_f32_e32 v27, v28, v26
	v_fma_f32 v29, -v25, v27, v28
	s_delay_alu instid0(VALU_DEP_1) | instskip(NEXT) | instid1(VALU_DEP_1)
	v_fmac_f32_e32 v27, v29, v26
	v_fma_f32 v25, -v25, v27, v28
	s_delay_alu instid0(VALU_DEP_1) | instskip(NEXT) | instid1(VALU_DEP_1)
	v_div_fmas_f32 v25, v25, v26, v27
	v_div_fixup_f32 v26, v25, s14, v24
	v_add_co_u32 v24, vcc_lo, v14, s8
	v_add_co_ci_u32_e32 v25, vcc_lo, s9, v15, vcc_lo
	global_store_b32 v[24:25], v26, off
	s_or_b32 exec_lo, exec_lo, s4
	s_and_saveexec_b32 s3, s2
	s_cbranch_execz .LBB66_3
.LBB66_19:                              ;   in Loop: Header=BB66_4 Depth=1
	s_waitcnt vmcnt(0)
	v_div_scale_f32 v24, null, s14, s14, v23
	v_div_scale_f32 v27, vcc_lo, v23, s14, v23
	s_delay_alu instid0(VALU_DEP_2) | instskip(SKIP_2) | instid1(VALU_DEP_1)
	v_rcp_f32_e32 v25, v24
	s_waitcnt_depctr 0xfff
	v_fma_f32 v26, -v24, v25, 1.0
	v_fmac_f32_e32 v25, v26, v25
	s_delay_alu instid0(VALU_DEP_1) | instskip(NEXT) | instid1(VALU_DEP_1)
	v_mul_f32_e32 v26, v27, v25
	v_fma_f32 v28, -v24, v26, v27
	s_delay_alu instid0(VALU_DEP_1) | instskip(NEXT) | instid1(VALU_DEP_1)
	v_fmac_f32_e32 v26, v28, v25
	v_fma_f32 v24, -v24, v26, v27
	s_delay_alu instid0(VALU_DEP_1) | instskip(NEXT) | instid1(VALU_DEP_1)
	v_div_fmas_f32 v24, v24, v25, v26
	v_div_fixup_f32 v25, v24, s14, v23
	v_add_co_u32 v23, vcc_lo, v7, s8
	v_add_co_ci_u32_e32 v24, vcc_lo, s9, v8, vcc_lo
	global_store_b32 v[23:24], v25, off
	s_branch .LBB66_3
.LBB66_20:
	s_mov_b32 s10, 0
.LBB66_21:
	s_delay_alu instid0(SALU_CYCLE_1)
	s_and_not1_b32 vcc_lo, exec_lo, s10
	s_cbranch_vccnz .LBB66_25
; %bb.22:
	v_dual_mov_b32 v2, 0 :: v_dual_lshlrev_b32 v1, 2, v0
	s_mov_b32 s3, 0
	s_mov_b32 s2, exec_lo
	s_delay_alu instid0(VALU_DEP_1)
	v_cmpx_gt_i64_e64 s[6:7], v[1:2]
	s_cbranch_execz .LBB66_25
; %bb.23:
	s_load_b32 s0, s[0:1], 0xd54
	s_waitcnt lgkmcnt(0)
	s_and_b32 s0, s0, 0xffff
	s_delay_alu instid0(SALU_CYCLE_1)
	v_add_lshl_u32 v1, v0, s0, 2
	v_lshlrev_b32_e32 v0, 4, v0
	s_lshl_b32 s4, s0, 2
	s_lshl_b32 s5, s0, 4
.LBB66_24:                              ; =>This Inner Loop Header: Depth=1
	s_delay_alu instid0(VALU_DEP_1) | instskip(NEXT) | instid1(VALU_DEP_1)
	v_add_co_u32 v3, s0, s15, v0
	v_add_co_ci_u32_e64 v4, null, s16, 0, s0
	v_cmp_le_i64_e32 vcc_lo, s[6:7], v[1:2]
	v_cmp_lt_u64_e64 s0, 0xffff, v[1:2]
	v_add_co_u32 v7, s1, s17, v0
	global_load_b128 v[3:6], v[3:4], off
	v_add_co_ci_u32_e64 v8, null, s18, 0, s1
	s_or_b32 s8, vcc_lo, s0
	v_add_co_u32 v1, s1, v1, s4
	s_delay_alu instid0(VALU_DEP_1)
	v_add_co_ci_u32_e64 v2, s1, 0, v2, s1
	s_add_u32 s15, s15, s5
	s_addc_u32 s16, s16, 0
	s_add_u32 s17, s17, s5
	s_addc_u32 s18, s18, 0
	s_waitcnt vmcnt(0)
	v_div_scale_f32 v9, null, s14, s14, v3
	v_div_scale_f32 v11, null, s14, s14, v4
	;; [unrolled: 1-line block ×3, first 2 shown]
	s_delay_alu instid0(VALU_DEP_3) | instskip(SKIP_1) | instid1(VALU_DEP_3)
	v_rcp_f32_e32 v17, v9
	v_div_scale_f32 v15, null, s14, s14, v6
	v_rcp_f32_e32 v18, v11
	s_delay_alu instid0(VALU_DEP_2) | instskip(SKIP_1) | instid1(VALU_DEP_2)
	v_rcp_f32_e32 v19, v13
	v_div_scale_f32 v10, vcc_lo, v3, s14, v3
	v_rcp_f32_e32 v20, v15
	v_div_scale_f32 v12, s0, v4, s14, v4
	v_fma_f32 v21, -v9, v17, 1.0
	v_div_scale_f32 v14, s1, v5, s14, v5
	s_delay_alu instid0(TRANS32_DEP_3) | instskip(NEXT) | instid1(TRANS32_DEP_2)
	v_fma_f32 v22, -v11, v18, 1.0
	v_fma_f32 v23, -v13, v19, 1.0
	s_delay_alu instid0(VALU_DEP_4) | instskip(SKIP_1) | instid1(VALU_DEP_4)
	v_fmac_f32_e32 v17, v21, v17
	v_div_scale_f32 v16, s2, v6, s14, v6
	v_fmac_f32_e32 v18, v22, v18
	s_delay_alu instid0(TRANS32_DEP_1) | instskip(SKIP_1) | instid1(VALU_DEP_3)
	v_fma_f32 v24, -v15, v20, 1.0
	v_fmac_f32_e32 v19, v23, v19
	v_dual_mul_f32 v21, v10, v17 :: v_dual_mul_f32 v22, v12, v18
	s_delay_alu instid0(VALU_DEP_2) | instskip(NEXT) | instid1(VALU_DEP_2)
	v_dual_fmac_f32 v20, v24, v20 :: v_dual_mul_f32 v23, v14, v19
	v_fma_f32 v25, -v9, v21, v10
	s_delay_alu instid0(VALU_DEP_3) | instskip(NEXT) | instid1(VALU_DEP_3)
	v_fma_f32 v26, -v11, v22, v12
	v_mul_f32_e32 v24, v16, v20
	s_delay_alu instid0(VALU_DEP_4) | instskip(NEXT) | instid1(VALU_DEP_3)
	v_fma_f32 v27, -v13, v23, v14
	v_dual_fmac_f32 v21, v25, v17 :: v_dual_fmac_f32 v22, v26, v18
	s_delay_alu instid0(VALU_DEP_3) | instskip(NEXT) | instid1(VALU_DEP_3)
	v_fma_f32 v28, -v15, v24, v16
	v_fmac_f32_e32 v23, v27, v19
	s_delay_alu instid0(VALU_DEP_3) | instskip(NEXT) | instid1(VALU_DEP_4)
	v_fma_f32 v9, -v9, v21, v10
	v_fma_f32 v10, -v11, v22, v12
	s_delay_alu instid0(VALU_DEP_4) | instskip(NEXT) | instid1(VALU_DEP_4)
	v_fmac_f32_e32 v24, v28, v20
	v_fma_f32 v11, -v13, v23, v14
	s_delay_alu instid0(VALU_DEP_4)
	v_div_fmas_f32 v9, v9, v17, v21
	s_mov_b32 vcc_lo, s0
	s_and_b32 s0, exec_lo, s8
	v_fma_f32 v12, -v15, v24, v16
	v_div_fmas_f32 v10, v10, v18, v22
	s_mov_b32 vcc_lo, s1
	v_div_fixup_f32 v3, v9, s14, v3
	v_div_fmas_f32 v11, v11, v19, v23
	s_mov_b32 vcc_lo, s2
	v_div_fixup_f32 v4, v10, s14, v4
	v_div_fmas_f32 v12, v12, v20, v24
	s_or_b32 s3, s0, s3
	v_div_fixup_f32 v5, v11, s14, v5
	s_delay_alu instid0(VALU_DEP_2)
	v_div_fixup_f32 v6, v12, s14, v6
	global_store_b128 v[7:8], v[3:6], off
	s_and_not1_b32 exec_lo, exec_lo, s3
	s_cbranch_execnz .LBB66_24
.LBB66_25:
	s_nop 0
	s_sendmsg sendmsg(MSG_DEALLOC_VGPRS)
	s_endpgm
	.section	.rodata,"a",@progbits
	.p2align	6, 0x0
	.amdhsa_kernel _ZN2at6native12_GLOBAL__N_125multi_tensor_apply_kernelINS1_28TensorListScalarListMetadataIfLi2EEENS1_25BinaryOpScalarListFunctorIfLi2ELi1ELi1EEEJSt7dividesIfEEEEvT_T0_DpT1_
		.amdhsa_group_segment_fixed_size 0
		.amdhsa_private_segment_fixed_size 0
		.amdhsa_kernarg_size 3656
		.amdhsa_user_sgpr_count 15
		.amdhsa_user_sgpr_dispatch_ptr 0
		.amdhsa_user_sgpr_queue_ptr 0
		.amdhsa_user_sgpr_kernarg_segment_ptr 1
		.amdhsa_user_sgpr_dispatch_id 0
		.amdhsa_user_sgpr_private_segment_size 0
		.amdhsa_wavefront_size32 1
		.amdhsa_uses_dynamic_stack 0
		.amdhsa_enable_private_segment 0
		.amdhsa_system_sgpr_workgroup_id_x 1
		.amdhsa_system_sgpr_workgroup_id_y 0
		.amdhsa_system_sgpr_workgroup_id_z 0
		.amdhsa_system_sgpr_workgroup_info 0
		.amdhsa_system_vgpr_workitem_id 0
		.amdhsa_next_free_vgpr 32
		.amdhsa_next_free_sgpr 22
		.amdhsa_reserve_vcc 1
		.amdhsa_float_round_mode_32 0
		.amdhsa_float_round_mode_16_64 0
		.amdhsa_float_denorm_mode_32 3
		.amdhsa_float_denorm_mode_16_64 3
		.amdhsa_dx10_clamp 1
		.amdhsa_ieee_mode 1
		.amdhsa_fp16_overflow 0
		.amdhsa_workgroup_processor_mode 1
		.amdhsa_memory_ordered 1
		.amdhsa_forward_progress 0
		.amdhsa_shared_vgpr_count 0
		.amdhsa_exception_fp_ieee_invalid_op 0
		.amdhsa_exception_fp_denorm_src 0
		.amdhsa_exception_fp_ieee_div_zero 0
		.amdhsa_exception_fp_ieee_overflow 0
		.amdhsa_exception_fp_ieee_underflow 0
		.amdhsa_exception_fp_ieee_inexact 0
		.amdhsa_exception_int_div_zero 0
	.end_amdhsa_kernel
	.section	.text._ZN2at6native12_GLOBAL__N_125multi_tensor_apply_kernelINS1_28TensorListScalarListMetadataIfLi2EEENS1_25BinaryOpScalarListFunctorIfLi2ELi1ELi1EEEJSt7dividesIfEEEEvT_T0_DpT1_,"axG",@progbits,_ZN2at6native12_GLOBAL__N_125multi_tensor_apply_kernelINS1_28TensorListScalarListMetadataIfLi2EEENS1_25BinaryOpScalarListFunctorIfLi2ELi1ELi1EEEJSt7dividesIfEEEEvT_T0_DpT1_,comdat
.Lfunc_end66:
	.size	_ZN2at6native12_GLOBAL__N_125multi_tensor_apply_kernelINS1_28TensorListScalarListMetadataIfLi2EEENS1_25BinaryOpScalarListFunctorIfLi2ELi1ELi1EEEJSt7dividesIfEEEEvT_T0_DpT1_, .Lfunc_end66-_ZN2at6native12_GLOBAL__N_125multi_tensor_apply_kernelINS1_28TensorListScalarListMetadataIfLi2EEENS1_25BinaryOpScalarListFunctorIfLi2ELi1ELi1EEEJSt7dividesIfEEEEvT_T0_DpT1_
                                        ; -- End function
	.section	.AMDGPU.csdata,"",@progbits
; Kernel info:
; codeLenInByte = 2120
; NumSgprs: 24
; NumVgprs: 32
; ScratchSize: 0
; MemoryBound: 0
; FloatMode: 240
; IeeeMode: 1
; LDSByteSize: 0 bytes/workgroup (compile time only)
; SGPRBlocks: 2
; VGPRBlocks: 3
; NumSGPRsForWavesPerEU: 24
; NumVGPRsForWavesPerEU: 32
; Occupancy: 16
; WaveLimiterHint : 0
; COMPUTE_PGM_RSRC2:SCRATCH_EN: 0
; COMPUTE_PGM_RSRC2:USER_SGPR: 15
; COMPUTE_PGM_RSRC2:TRAP_HANDLER: 0
; COMPUTE_PGM_RSRC2:TGID_X_EN: 1
; COMPUTE_PGM_RSRC2:TGID_Y_EN: 0
; COMPUTE_PGM_RSRC2:TGID_Z_EN: 0
; COMPUTE_PGM_RSRC2:TIDIG_COMP_CNT: 0
	.section	.text._ZN2at6native12_GLOBAL__N_125multi_tensor_apply_kernelINS1_28TensorListScalarListMetadataIN3c107complexIdEELi2EEENS1_25BinaryOpScalarListFunctorIS6_Li2ELi1ELi1EEEJSt7dividesIS6_EEEEvT_T0_DpT1_,"axG",@progbits,_ZN2at6native12_GLOBAL__N_125multi_tensor_apply_kernelINS1_28TensorListScalarListMetadataIN3c107complexIdEELi2EEENS1_25BinaryOpScalarListFunctorIS6_Li2ELi1ELi1EEEJSt7dividesIS6_EEEEvT_T0_DpT1_,comdat
	.globl	_ZN2at6native12_GLOBAL__N_125multi_tensor_apply_kernelINS1_28TensorListScalarListMetadataIN3c107complexIdEELi2EEENS1_25BinaryOpScalarListFunctorIS6_Li2ELi1ELi1EEEJSt7dividesIS6_EEEEvT_T0_DpT1_ ; -- Begin function _ZN2at6native12_GLOBAL__N_125multi_tensor_apply_kernelINS1_28TensorListScalarListMetadataIN3c107complexIdEELi2EEENS1_25BinaryOpScalarListFunctorIS6_Li2ELi1ELi1EEEJSt7dividesIS6_EEEEvT_T0_DpT1_
	.p2align	8
	.type	_ZN2at6native12_GLOBAL__N_125multi_tensor_apply_kernelINS1_28TensorListScalarListMetadataIN3c107complexIdEELi2EEENS1_25BinaryOpScalarListFunctorIS6_Li2ELi1ELi1EEEJSt7dividesIS6_EEEEvT_T0_DpT1_,@function
_ZN2at6native12_GLOBAL__N_125multi_tensor_apply_kernelINS1_28TensorListScalarListMetadataIN3c107complexIdEELi2EEENS1_25BinaryOpScalarListFunctorIS6_Li2ELi1ELi1EEEJSt7dividesIS6_EEEEvT_T0_DpT1_: ; @_ZN2at6native12_GLOBAL__N_125multi_tensor_apply_kernelINS1_28TensorListScalarListMetadataIN3c107complexIdEELi2EEENS1_25BinaryOpScalarListFunctorIS6_Li2ELi1ELi1EEEJSt7dividesIS6_EEEEvT_T0_DpT1_
; %bb.0:
	v_mov_b32_e32 v1, s15
	s_add_u32 s2, s0, s15
	s_mul_hi_u32 s3, s15, 3
	s_mul_i32 s15, s15, 3
	s_addc_u32 s4, s1, 0
	global_load_u8 v1, v1, s[0:1] offset:2400
	s_add_u32 s2, s2, s15
	s_addc_u32 s3, s4, s3
	s_mov_b32 s17, 0
	s_load_b32 s2, s[2:3], 0xaa0
	s_waitcnt vmcnt(0)
	v_readfirstlane_b32 s3, v1
	s_delay_alu instid0(VALU_DEP_1)
	s_lshl_b32 s10, s3, 3
	s_waitcnt lgkmcnt(0)
	s_ashr_i32 s3, s2, 31
	s_clause 0x2
	s_load_b64 s[4:5], s[0:1], s10 offset:0x0
	s_load_b64 s[6:7], s[0:1], s10 offset:0x1e0
	;; [unrolled: 1-line block ×3, first 2 shown]
	s_add_u32 s8, s0, s10
	s_addc_u32 s9, s1, 0
	s_lshl_b64 s[14:15], s[2:3], 20
	s_load_b128 s[8:11], s[8:9], s10 offset:0x5a0
	s_waitcnt lgkmcnt(0)
	s_add_u32 s26, s4, s14
	s_addc_u32 s27, s5, s15
	s_add_u32 s28, s6, s14
	s_addc_u32 s29, s7, s15
	s_and_b32 s16, s26, 63
	s_and_b32 s18, s12, 3
	;; [unrolled: 1-line block ×3, first 2 shown]
	s_or_b32 s16, s16, s18
	s_lshl_b64 s[2:3], s[2:3], 16
	s_or_b32 s16, s19, s16
	s_sub_u32 s12, s12, s2
	s_subb_u32 s13, s13, s3
	s_cmp_eq_u64 s[16:17], 0
	s_mov_b32 s2, -1
	s_cbranch_scc1 .LBB67_53
; %bb.1:
	v_cmp_lt_i64_e64 s2, s[12:13], 1
	s_delay_alu instid0(VALU_DEP_1)
	s_and_b32 vcc_lo, exec_lo, s2
	s_cbranch_vccnz .LBB67_52
; %bb.2:
	v_div_scale_f64 v[1:2], null, s[8:9], s[8:9], s[10:11]
	v_div_scale_f64 v[7:8], vcc_lo, s[10:11], s[8:9], s[10:11]
	v_cmp_lt_f64_e64 s3, s[10:11], 0
	s_load_b32 s16, s[0:1], 0xfb4
	v_cmp_gt_u64_e64 s18, 0x10000, s[12:13]
	v_cmp_neq_f64_e64 s24, s[8:9], 0
	v_cmp_neq_f64_e64 s25, s[10:11], 0
	s_waitcnt lgkmcnt(0)
	s_and_b32 s30, s16, 0xffff
	s_delay_alu instid0(VALU_DEP_3)
	s_and_b32 s16, s18, exec_lo
	s_cselect_b32 s18, s12, 0x10000
	s_mul_i32 s33, s30, 3
	v_rcp_f64_e32 v[3:4], v[1:2]
	s_waitcnt_depctr 0xfff
	v_fma_f64 v[5:6], -v[1:2], v[3:4], 1.0
	s_delay_alu instid0(VALU_DEP_1) | instskip(NEXT) | instid1(VALU_DEP_1)
	v_fma_f64 v[3:4], v[3:4], v[5:6], v[3:4]
	v_fma_f64 v[5:6], -v[1:2], v[3:4], 1.0
	s_delay_alu instid0(VALU_DEP_1) | instskip(NEXT) | instid1(VALU_DEP_1)
	v_fma_f64 v[3:4], v[3:4], v[5:6], v[3:4]
	v_mul_f64 v[5:6], v[7:8], v[3:4]
	s_delay_alu instid0(VALU_DEP_1) | instskip(NEXT) | instid1(VALU_DEP_1)
	v_fma_f64 v[1:2], -v[1:2], v[5:6], v[7:8]
	v_div_fmas_f64 v[1:2], v[1:2], v[3:4], v[5:6]
	v_div_scale_f64 v[6:7], null, s[10:11], s[10:11], s[8:9]
	s_delay_alu instid0(VALU_DEP_2) | instskip(NEXT) | instid1(VALU_DEP_2)
	v_div_fixup_f64 v[21:22], v[1:2], s[8:9], s[10:11]
	v_rcp_f64_e32 v[10:11], v[6:7]
	v_mov_b32_e32 v1, 0
	s_delay_alu instid0(VALU_DEP_1) | instskip(NEXT) | instid1(VALU_DEP_3)
	v_dual_mov_b32 v30, v1 :: v_dual_mov_b32 v29, v0
	v_fma_f64 v[2:3], s[10:11], v[21:22], s[8:9]
	s_waitcnt_depctr 0xfff
	v_fma_f64 v[14:15], -v[6:7], v[10:11], 1.0
	v_div_scale_f64 v[4:5], null, v[2:3], v[2:3], 1.0
	v_div_scale_f64 v[16:17], vcc_lo, 1.0, v[2:3], 1.0
	s_delay_alu instid0(VALU_DEP_3) | instskip(NEXT) | instid1(VALU_DEP_3)
	v_fma_f64 v[10:11], v[10:11], v[14:15], v[10:11]
	v_rcp_f64_e32 v[8:9], v[4:5]
	s_delay_alu instid0(VALU_DEP_1) | instskip(SKIP_3) | instid1(VALU_DEP_2)
	v_fma_f64 v[14:15], -v[6:7], v[10:11], 1.0
	s_waitcnt_depctr 0xfff
	v_fma_f64 v[12:13], -v[4:5], v[8:9], 1.0
	v_fma_f64 v[10:11], v[10:11], v[14:15], v[10:11]
	v_fma_f64 v[8:9], v[8:9], v[12:13], v[8:9]
	s_delay_alu instid0(VALU_DEP_1) | instskip(NEXT) | instid1(VALU_DEP_1)
	v_fma_f64 v[12:13], -v[4:5], v[8:9], 1.0
	v_fma_f64 v[8:9], v[8:9], v[12:13], v[8:9]
	v_div_scale_f64 v[12:13], s2, s[8:9], s[10:11], s[8:9]
	s_delay_alu instid0(VALU_DEP_2) | instskip(NEXT) | instid1(VALU_DEP_2)
	v_mul_f64 v[14:15], v[16:17], v[8:9]
	v_mul_f64 v[18:19], v[12:13], v[10:11]
	s_delay_alu instid0(VALU_DEP_2) | instskip(NEXT) | instid1(VALU_DEP_2)
	v_fma_f64 v[4:5], -v[4:5], v[14:15], v[16:17]
	v_fma_f64 v[6:7], -v[6:7], v[18:19], v[12:13]
	s_delay_alu instid0(VALU_DEP_2) | instskip(SKIP_2) | instid1(VALU_DEP_3)
	v_div_fmas_f64 v[4:5], v[4:5], v[8:9], v[14:15]
	s_mov_b32 vcc_lo, s2
	v_cmp_lt_f64_e64 s2, s[8:9], 0
	v_div_fmas_f64 v[6:7], v[6:7], v[10:11], v[18:19]
	s_delay_alu instid0(VALU_DEP_3) | instskip(NEXT) | instid1(VALU_DEP_2)
	v_div_fixup_f64 v[25:26], v[4:5], v[2:3], 1.0
	v_div_fixup_f64 v[23:24], v[6:7], s[10:11], s[8:9]
	s_delay_alu instid0(VALU_DEP_1) | instskip(NEXT) | instid1(VALU_DEP_1)
	v_fma_f64 v[6:7], s[8:9], v[23:24], s[10:11]
	v_div_scale_f64 v[8:9], null, v[6:7], v[6:7], 1.0
	v_div_scale_f64 v[14:15], vcc_lo, 1.0, v[6:7], 1.0
	s_delay_alu instid0(VALU_DEP_2) | instskip(SKIP_2) | instid1(VALU_DEP_1)
	v_rcp_f64_e32 v[10:11], v[8:9]
	s_waitcnt_depctr 0xfff
	v_fma_f64 v[12:13], -v[8:9], v[10:11], 1.0
	v_fma_f64 v[10:11], v[10:11], v[12:13], v[10:11]
	s_delay_alu instid0(VALU_DEP_1) | instskip(NEXT) | instid1(VALU_DEP_1)
	v_fma_f64 v[12:13], -v[8:9], v[10:11], 1.0
	v_fma_f64 v[10:11], v[10:11], v[12:13], v[10:11]
	s_delay_alu instid0(VALU_DEP_1) | instskip(NEXT) | instid1(VALU_DEP_1)
	v_mul_f64 v[12:13], v[14:15], v[10:11]
	v_fma_f64 v[8:9], -v[8:9], v[12:13], v[14:15]
	v_add_lshl_u32 v14, v0, s30, 4
	s_delay_alu instid0(VALU_DEP_2) | instskip(SKIP_2) | instid1(VALU_DEP_2)
	v_div_fmas_f64 v[8:9], v[8:9], v[10:11], v[12:13]
	v_lshl_or_b32 v10, v0, 4, 8
	v_mov_b32_e32 v11, v1
	v_add_co_u32 v31, s19, s4, v10
	s_delay_alu instid0(VALU_DEP_1)
	v_add_co_ci_u32_e64 v32, null, s5, 0, s19
	s_cselect_b32 s19, s13, 0
	s_lshl_b32 s31, s30, 1
	s_xor_b32 s16, s9, 0x80000000
	s_and_b32 s2, s2, exec_lo
	s_cselect_b32 s21, s16, s9
	s_cselect_b32 s20, s8, s8
	s_xor_b32 s2, s11, 0x80000000
	s_and_b32 s3, s3, exec_lo
	s_cselect_b32 s23, s2, s11
	s_cselect_b32 s22, s10, s10
	v_mad_u64_u32 v[12:13], null, s30, 48, v[10:11]
	v_cmp_ge_f64_e64 s35, s[20:21], s[22:23]
	v_add_co_u32 v33, s2, s6, v10
	s_delay_alu instid0(VALU_DEP_1) | instskip(SKIP_1) | instid1(VALU_DEP_1)
	v_add_co_ci_u32_e64 v34, null, s7, 0, s2
	v_add_co_u32 v35, s2, s6, v14
	v_add_co_ci_u32_e64 v36, null, s7, 0, s2
	v_add_co_u32 v39, s2, s4, v14
	s_delay_alu instid0(VALU_DEP_1)
	v_add_co_ci_u32_e64 v40, null, s5, 0, s2
	s_lshl_b32 s2, s30, 5
	v_add_co_u32 v37, vcc_lo, s4, v12
	v_div_fixup_f64 v[27:28], v[8:9], v[6:7], 1.0
	v_add_co_u32 v2, s2, v10, s2
	v_add_co_ci_u32_e32 v38, vcc_lo, s5, v13, vcc_lo
	v_add_co_ci_u32_e64 v3, null, 0, 0, s2
	v_add_co_u32 v41, vcc_lo, s6, v12
	v_add_co_ci_u32_e32 v42, vcc_lo, s7, v13, vcc_lo
	v_add_co_u32 v43, vcc_lo, s4, v2
	s_delay_alu instid0(VALU_DEP_4)
	v_add_co_ci_u32_e32 v44, vcc_lo, s5, v3, vcc_lo
	v_add_co_u32 v45, vcc_lo, s6, v2
	v_add_co_ci_u32_e32 v46, vcc_lo, s7, v3, vcc_lo
	s_lshl_b32 s16, s30, 2
	s_or_b32 s34, s24, s25
	s_lshl_b32 s7, s30, 6
	s_mov_b64 s[24:25], s[16:17]
	s_branch .LBB67_4
.LBB67_3:                               ;   in Loop: Header=BB67_4 Depth=1
	s_or_b32 exec_lo, exec_lo, s2
	v_add_co_u32 v29, vcc_lo, v29, s16
	v_add_co_ci_u32_e32 v30, vcc_lo, 0, v30, vcc_lo
	v_add_co_u32 v31, vcc_lo, v31, s7
	v_add_co_ci_u32_e32 v32, vcc_lo, 0, v32, vcc_lo
	;; [unrolled: 2-line block ×7, first 2 shown]
	v_cmp_ge_i64_e64 s2, s[24:25], s[12:13]
	v_cmp_lt_u64_e64 s3, 0xffff, s[24:25]
	v_add_co_u32 v43, vcc_lo, v43, s7
	v_add_co_ci_u32_e32 v44, vcc_lo, 0, v44, vcc_lo
	v_add_co_u32 v45, vcc_lo, v45, s7
	v_add_co_ci_u32_e32 v46, vcc_lo, 0, v46, vcc_lo
	s_or_b32 s2, s2, s3
	s_add_u32 s24, s24, s16
	s_addc_u32 s25, s25, 0
	s_and_b32 vcc_lo, exec_lo, s2
	s_cbranch_vccnz .LBB67_52
.LBB67_4:                               ; =>This Inner Loop Header: Depth=1
	s_waitcnt vmcnt(0)
	v_mov_b32_e32 v15, 0
	v_mov_b32_e32 v16, 0
	v_cmp_gt_u64_e64 s2, s[18:19], v[29:30]
	s_delay_alu instid0(VALU_DEP_2) | instskip(SKIP_1) | instid1(VALU_DEP_3)
	v_dual_mov_b32 v20, v16 :: v_dual_mov_b32 v19, v15
	v_dual_mov_b32 v18, v16 :: v_dual_mov_b32 v17, v15
	s_and_saveexec_b32 s3, s2
	s_cbranch_execz .LBB67_6
; %bb.5:                                ;   in Loop: Header=BB67_4 Depth=1
	v_add_co_u32 v1, vcc_lo, v31, s14
	v_add_co_ci_u32_e32 v2, vcc_lo, s15, v32, vcc_lo
	global_load_b128 v[17:20], v[1:2], off offset:-8
.LBB67_6:                               ;   in Loop: Header=BB67_4 Depth=1
	s_or_b32 exec_lo, exec_lo, s3
	v_add_co_u32 v1, vcc_lo, s30, v29
	v_add_co_ci_u32_e32 v2, vcc_lo, 0, v30, vcc_lo
	v_dual_mov_b32 v13, v15 :: v_dual_mov_b32 v14, v16
	s_delay_alu instid0(VALU_DEP_2) | instskip(NEXT) | instid1(VALU_DEP_1)
	v_cmp_gt_u64_e64 s3, s[18:19], v[1:2]
	s_and_saveexec_b32 s4, s3
	s_cbranch_execz .LBB67_8
; %bb.7:                                ;   in Loop: Header=BB67_4 Depth=1
	v_add_co_u32 v1, vcc_lo, v39, s14
	v_add_co_ci_u32_e32 v2, vcc_lo, s15, v40, vcc_lo
	global_load_b128 v[13:16], v[1:2], off
.LBB67_8:                               ;   in Loop: Header=BB67_4 Depth=1
	s_or_b32 exec_lo, exec_lo, s4
	v_add_co_u32 v1, vcc_lo, s31, v29
	v_add_co_ci_u32_e32 v2, vcc_lo, 0, v30, vcc_lo
	v_mov_b32_e32 v3, 0
	v_mov_b32_e32 v4, 0
	s_delay_alu instid0(VALU_DEP_3) | instskip(NEXT) | instid1(VALU_DEP_2)
	v_cmp_gt_u64_e64 s4, s[18:19], v[1:2]
	v_dual_mov_b32 v12, v4 :: v_dual_mov_b32 v11, v3
	v_dual_mov_b32 v10, v4 :: v_dual_mov_b32 v9, v3
	s_delay_alu instid0(VALU_DEP_3)
	s_and_saveexec_b32 s5, s4
	s_cbranch_execz .LBB67_10
; %bb.9:                                ;   in Loop: Header=BB67_4 Depth=1
	v_add_co_u32 v1, vcc_lo, v43, s14
	v_add_co_ci_u32_e32 v2, vcc_lo, s15, v44, vcc_lo
	global_load_b128 v[9:12], v[1:2], off offset:-8
.LBB67_10:                              ;   in Loop: Header=BB67_4 Depth=1
	s_or_b32 exec_lo, exec_lo, s5
	v_add_co_u32 v1, vcc_lo, s33, v29
	v_add_co_ci_u32_e32 v2, vcc_lo, 0, v30, vcc_lo
	s_delay_alu instid0(VALU_DEP_1) | instskip(SKIP_1) | instid1(VALU_DEP_2)
	v_cmp_gt_u64_e64 s5, s[18:19], v[1:2]
	v_dual_mov_b32 v1, v3 :: v_dual_mov_b32 v2, v4
	s_and_saveexec_b32 s6, s5
	s_cbranch_execz .LBB67_12
; %bb.11:                               ;   in Loop: Header=BB67_4 Depth=1
	v_add_co_u32 v1, vcc_lo, v37, s14
	v_add_co_ci_u32_e32 v2, vcc_lo, s15, v38, vcc_lo
	global_load_b128 v[1:4], v[1:2], off offset:-8
.LBB67_12:                              ;   in Loop: Header=BB67_4 Depth=1
	s_or_b32 exec_lo, exec_lo, s6
	s_delay_alu instid0(SALU_CYCLE_1)
	s_and_b32 vcc_lo, exec_lo, s35
	s_cbranch_vccz .LBB67_15
; %bb.13:                               ;   in Loop: Header=BB67_4 Depth=1
	s_and_b32 vcc_lo, exec_lo, s34
	s_cbranch_vccz .LBB67_16
; %bb.14:                               ;   in Loop: Header=BB67_4 Depth=1
	s_waitcnt vmcnt(0)
	v_fma_f64 v[5:6], v[21:22], v[19:20], v[17:18]
	v_fma_f64 v[7:8], -v[21:22], v[17:18], v[19:20]
	s_delay_alu instid0(VALU_DEP_2) | instskip(NEXT) | instid1(VALU_DEP_2)
	v_mul_f64 v[5:6], v[25:26], v[5:6]
	v_mul_f64 v[7:8], v[25:26], v[7:8]
	s_cbranch_execz .LBB67_17
	s_branch .LBB67_18
.LBB67_15:                              ;   in Loop: Header=BB67_4 Depth=1
                                        ; implicit-def: $vgpr7_vgpr8
	s_branch .LBB67_19
.LBB67_16:                              ;   in Loop: Header=BB67_4 Depth=1
                                        ; implicit-def: $vgpr7_vgpr8
.LBB67_17:                              ;   in Loop: Header=BB67_4 Depth=1
	s_waitcnt vmcnt(0)
	v_div_scale_f64 v[5:6], null, s[20:21], s[20:21], v[17:18]
	v_div_scale_f64 v[7:8], null, s[22:23], s[22:23], v[19:20]
	v_div_scale_f64 v[55:56], vcc_lo, v[17:18], s[20:21], v[17:18]
	s_delay_alu instid0(VALU_DEP_3) | instskip(NEXT) | instid1(VALU_DEP_2)
	v_rcp_f64_e32 v[47:48], v[5:6]
	v_rcp_f64_e32 v[49:50], v[7:8]
	s_waitcnt_depctr 0xfff
	v_fma_f64 v[51:52], -v[5:6], v[47:48], 1.0
	v_fma_f64 v[53:54], -v[7:8], v[49:50], 1.0
	s_delay_alu instid0(VALU_DEP_2) | instskip(NEXT) | instid1(VALU_DEP_2)
	v_fma_f64 v[47:48], v[47:48], v[51:52], v[47:48]
	v_fma_f64 v[49:50], v[49:50], v[53:54], v[49:50]
	s_delay_alu instid0(VALU_DEP_2) | instskip(NEXT) | instid1(VALU_DEP_2)
	v_fma_f64 v[51:52], -v[5:6], v[47:48], 1.0
	v_fma_f64 v[53:54], -v[7:8], v[49:50], 1.0
	s_delay_alu instid0(VALU_DEP_2) | instskip(SKIP_1) | instid1(VALU_DEP_3)
	v_fma_f64 v[47:48], v[47:48], v[51:52], v[47:48]
	v_div_scale_f64 v[51:52], s6, v[19:20], s[22:23], v[19:20]
	v_fma_f64 v[49:50], v[49:50], v[53:54], v[49:50]
	s_delay_alu instid0(VALU_DEP_3) | instskip(NEXT) | instid1(VALU_DEP_2)
	v_mul_f64 v[53:54], v[55:56], v[47:48]
	v_mul_f64 v[57:58], v[51:52], v[49:50]
	s_delay_alu instid0(VALU_DEP_2) | instskip(NEXT) | instid1(VALU_DEP_2)
	v_fma_f64 v[5:6], -v[5:6], v[53:54], v[55:56]
	v_fma_f64 v[7:8], -v[7:8], v[57:58], v[51:52]
	s_delay_alu instid0(VALU_DEP_2) | instskip(SKIP_1) | instid1(VALU_DEP_2)
	v_div_fmas_f64 v[5:6], v[5:6], v[47:48], v[53:54]
	s_mov_b32 vcc_lo, s6
	v_div_fmas_f64 v[7:8], v[7:8], v[49:50], v[57:58]
	s_delay_alu instid0(VALU_DEP_2) | instskip(NEXT) | instid1(VALU_DEP_2)
	v_div_fixup_f64 v[5:6], v[5:6], s[20:21], v[17:18]
	v_div_fixup_f64 v[7:8], v[7:8], s[22:23], v[19:20]
.LBB67_18:                              ;   in Loop: Header=BB67_4 Depth=1
	s_cbranch_execnz .LBB67_20
.LBB67_19:                              ;   in Loop: Header=BB67_4 Depth=1
	s_waitcnt vmcnt(0)
	v_fma_f64 v[5:6], v[23:24], v[17:18], v[19:20]
	v_fma_f64 v[7:8], v[23:24], v[19:20], -v[17:18]
	s_delay_alu instid0(VALU_DEP_2) | instskip(NEXT) | instid1(VALU_DEP_2)
	v_mul_f64 v[5:6], v[27:28], v[5:6]
	v_mul_f64 v[7:8], v[27:28], v[7:8]
.LBB67_20:                              ;   in Loop: Header=BB67_4 Depth=1
	s_and_not1_b32 vcc_lo, exec_lo, s35
	s_cbranch_vccnz .LBB67_23
; %bb.21:                               ;   in Loop: Header=BB67_4 Depth=1
	s_and_not1_b32 vcc_lo, exec_lo, s34
	s_cbranch_vccnz .LBB67_24
; %bb.22:                               ;   in Loop: Header=BB67_4 Depth=1
	s_waitcnt vmcnt(0)
	v_fma_f64 v[17:18], v[21:22], v[15:16], v[13:14]
	v_fma_f64 v[19:20], -v[21:22], v[13:14], v[15:16]
	s_delay_alu instid0(VALU_DEP_2) | instskip(NEXT) | instid1(VALU_DEP_2)
	v_mul_f64 v[17:18], v[25:26], v[17:18]
	v_mul_f64 v[19:20], v[25:26], v[19:20]
	s_cbranch_execz .LBB67_25
	s_branch .LBB67_26
.LBB67_23:                              ;   in Loop: Header=BB67_4 Depth=1
                                        ; implicit-def: $vgpr19_vgpr20
	s_branch .LBB67_27
.LBB67_24:                              ;   in Loop: Header=BB67_4 Depth=1
                                        ; implicit-def: $vgpr19_vgpr20
.LBB67_25:                              ;   in Loop: Header=BB67_4 Depth=1
	s_waitcnt vmcnt(0)
	v_div_scale_f64 v[17:18], null, s[20:21], s[20:21], v[13:14]
	v_div_scale_f64 v[19:20], null, s[22:23], s[22:23], v[15:16]
	v_div_scale_f64 v[55:56], vcc_lo, v[13:14], s[20:21], v[13:14]
	s_delay_alu instid0(VALU_DEP_3) | instskip(NEXT) | instid1(VALU_DEP_2)
	v_rcp_f64_e32 v[47:48], v[17:18]
	v_rcp_f64_e32 v[49:50], v[19:20]
	s_waitcnt_depctr 0xfff
	v_fma_f64 v[51:52], -v[17:18], v[47:48], 1.0
	v_fma_f64 v[53:54], -v[19:20], v[49:50], 1.0
	s_delay_alu instid0(VALU_DEP_2) | instskip(NEXT) | instid1(VALU_DEP_2)
	v_fma_f64 v[47:48], v[47:48], v[51:52], v[47:48]
	v_fma_f64 v[49:50], v[49:50], v[53:54], v[49:50]
	s_delay_alu instid0(VALU_DEP_2) | instskip(NEXT) | instid1(VALU_DEP_2)
	v_fma_f64 v[51:52], -v[17:18], v[47:48], 1.0
	v_fma_f64 v[53:54], -v[19:20], v[49:50], 1.0
	s_delay_alu instid0(VALU_DEP_2) | instskip(SKIP_1) | instid1(VALU_DEP_3)
	v_fma_f64 v[47:48], v[47:48], v[51:52], v[47:48]
	v_div_scale_f64 v[51:52], s6, v[15:16], s[22:23], v[15:16]
	v_fma_f64 v[49:50], v[49:50], v[53:54], v[49:50]
	s_delay_alu instid0(VALU_DEP_3) | instskip(NEXT) | instid1(VALU_DEP_2)
	v_mul_f64 v[53:54], v[55:56], v[47:48]
	v_mul_f64 v[57:58], v[51:52], v[49:50]
	s_delay_alu instid0(VALU_DEP_2) | instskip(NEXT) | instid1(VALU_DEP_2)
	v_fma_f64 v[17:18], -v[17:18], v[53:54], v[55:56]
	v_fma_f64 v[19:20], -v[19:20], v[57:58], v[51:52]
	s_delay_alu instid0(VALU_DEP_2) | instskip(SKIP_1) | instid1(VALU_DEP_2)
	v_div_fmas_f64 v[17:18], v[17:18], v[47:48], v[53:54]
	s_mov_b32 vcc_lo, s6
	v_div_fmas_f64 v[19:20], v[19:20], v[49:50], v[57:58]
	s_delay_alu instid0(VALU_DEP_2) | instskip(NEXT) | instid1(VALU_DEP_2)
	v_div_fixup_f64 v[17:18], v[17:18], s[20:21], v[13:14]
	v_div_fixup_f64 v[19:20], v[19:20], s[22:23], v[15:16]
.LBB67_26:                              ;   in Loop: Header=BB67_4 Depth=1
	s_cbranch_execnz .LBB67_28
.LBB67_27:                              ;   in Loop: Header=BB67_4 Depth=1
	s_waitcnt vmcnt(0)
	v_fma_f64 v[17:18], v[23:24], v[13:14], v[15:16]
	v_fma_f64 v[13:14], v[23:24], v[15:16], -v[13:14]
	s_delay_alu instid0(VALU_DEP_2) | instskip(NEXT) | instid1(VALU_DEP_2)
	v_mul_f64 v[17:18], v[27:28], v[17:18]
	v_mul_f64 v[19:20], v[27:28], v[13:14]
.LBB67_28:                              ;   in Loop: Header=BB67_4 Depth=1
	s_and_not1_b32 vcc_lo, exec_lo, s35
	s_cbranch_vccnz .LBB67_31
; %bb.29:                               ;   in Loop: Header=BB67_4 Depth=1
	s_and_not1_b32 vcc_lo, exec_lo, s34
	s_cbranch_vccnz .LBB67_32
; %bb.30:                               ;   in Loop: Header=BB67_4 Depth=1
	s_waitcnt vmcnt(0)
	v_fma_f64 v[13:14], v[21:22], v[11:12], v[9:10]
	v_fma_f64 v[15:16], -v[21:22], v[9:10], v[11:12]
	s_delay_alu instid0(VALU_DEP_2) | instskip(NEXT) | instid1(VALU_DEP_2)
	v_mul_f64 v[13:14], v[25:26], v[13:14]
	v_mul_f64 v[15:16], v[25:26], v[15:16]
	s_cbranch_execz .LBB67_33
	s_branch .LBB67_34
.LBB67_31:                              ;   in Loop: Header=BB67_4 Depth=1
                                        ; implicit-def: $vgpr15_vgpr16
	s_branch .LBB67_35
.LBB67_32:                              ;   in Loop: Header=BB67_4 Depth=1
                                        ; implicit-def: $vgpr15_vgpr16
.LBB67_33:                              ;   in Loop: Header=BB67_4 Depth=1
	s_waitcnt vmcnt(0)
	v_div_scale_f64 v[13:14], null, s[20:21], s[20:21], v[9:10]
	v_div_scale_f64 v[15:16], null, s[22:23], s[22:23], v[11:12]
	v_div_scale_f64 v[55:56], vcc_lo, v[9:10], s[20:21], v[9:10]
	s_delay_alu instid0(VALU_DEP_3) | instskip(NEXT) | instid1(VALU_DEP_2)
	v_rcp_f64_e32 v[47:48], v[13:14]
	v_rcp_f64_e32 v[49:50], v[15:16]
	s_waitcnt_depctr 0xfff
	v_fma_f64 v[51:52], -v[13:14], v[47:48], 1.0
	v_fma_f64 v[53:54], -v[15:16], v[49:50], 1.0
	s_delay_alu instid0(VALU_DEP_2) | instskip(NEXT) | instid1(VALU_DEP_2)
	v_fma_f64 v[47:48], v[47:48], v[51:52], v[47:48]
	v_fma_f64 v[49:50], v[49:50], v[53:54], v[49:50]
	s_delay_alu instid0(VALU_DEP_2) | instskip(NEXT) | instid1(VALU_DEP_2)
	v_fma_f64 v[51:52], -v[13:14], v[47:48], 1.0
	v_fma_f64 v[53:54], -v[15:16], v[49:50], 1.0
	s_delay_alu instid0(VALU_DEP_2) | instskip(SKIP_1) | instid1(VALU_DEP_3)
	v_fma_f64 v[47:48], v[47:48], v[51:52], v[47:48]
	v_div_scale_f64 v[51:52], s6, v[11:12], s[22:23], v[11:12]
	v_fma_f64 v[49:50], v[49:50], v[53:54], v[49:50]
	s_delay_alu instid0(VALU_DEP_3) | instskip(NEXT) | instid1(VALU_DEP_2)
	v_mul_f64 v[53:54], v[55:56], v[47:48]
	v_mul_f64 v[57:58], v[51:52], v[49:50]
	s_delay_alu instid0(VALU_DEP_2) | instskip(NEXT) | instid1(VALU_DEP_2)
	v_fma_f64 v[13:14], -v[13:14], v[53:54], v[55:56]
	v_fma_f64 v[15:16], -v[15:16], v[57:58], v[51:52]
	s_delay_alu instid0(VALU_DEP_2) | instskip(SKIP_1) | instid1(VALU_DEP_2)
	v_div_fmas_f64 v[13:14], v[13:14], v[47:48], v[53:54]
	s_mov_b32 vcc_lo, s6
	v_div_fmas_f64 v[15:16], v[15:16], v[49:50], v[57:58]
	s_delay_alu instid0(VALU_DEP_2) | instskip(NEXT) | instid1(VALU_DEP_2)
	v_div_fixup_f64 v[13:14], v[13:14], s[20:21], v[9:10]
	v_div_fixup_f64 v[15:16], v[15:16], s[22:23], v[11:12]
.LBB67_34:                              ;   in Loop: Header=BB67_4 Depth=1
	s_cbranch_execnz .LBB67_36
.LBB67_35:                              ;   in Loop: Header=BB67_4 Depth=1
	s_waitcnt vmcnt(0)
	v_fma_f64 v[13:14], v[23:24], v[9:10], v[11:12]
	v_fma_f64 v[9:10], v[23:24], v[11:12], -v[9:10]
	s_delay_alu instid0(VALU_DEP_2) | instskip(NEXT) | instid1(VALU_DEP_2)
	v_mul_f64 v[13:14], v[27:28], v[13:14]
	v_mul_f64 v[15:16], v[27:28], v[9:10]
.LBB67_36:                              ;   in Loop: Header=BB67_4 Depth=1
	s_and_not1_b32 vcc_lo, exec_lo, s35
	s_cbranch_vccnz .LBB67_39
; %bb.37:                               ;   in Loop: Header=BB67_4 Depth=1
	s_and_not1_b32 vcc_lo, exec_lo, s34
	s_cbranch_vccnz .LBB67_40
; %bb.38:                               ;   in Loop: Header=BB67_4 Depth=1
	s_waitcnt vmcnt(0)
	v_fma_f64 v[9:10], v[21:22], v[3:4], v[1:2]
	v_fma_f64 v[11:12], -v[21:22], v[1:2], v[3:4]
	s_delay_alu instid0(VALU_DEP_2) | instskip(NEXT) | instid1(VALU_DEP_2)
	v_mul_f64 v[9:10], v[25:26], v[9:10]
	v_mul_f64 v[11:12], v[25:26], v[11:12]
	s_cbranch_execz .LBB67_41
	s_branch .LBB67_42
.LBB67_39:                              ;   in Loop: Header=BB67_4 Depth=1
                                        ; implicit-def: $vgpr11_vgpr12
	s_branch .LBB67_43
.LBB67_40:                              ;   in Loop: Header=BB67_4 Depth=1
                                        ; implicit-def: $vgpr11_vgpr12
.LBB67_41:                              ;   in Loop: Header=BB67_4 Depth=1
	s_waitcnt vmcnt(0)
	v_div_scale_f64 v[9:10], null, s[20:21], s[20:21], v[1:2]
	v_div_scale_f64 v[11:12], null, s[22:23], s[22:23], v[3:4]
	v_div_scale_f64 v[55:56], vcc_lo, v[1:2], s[20:21], v[1:2]
	s_delay_alu instid0(VALU_DEP_3) | instskip(NEXT) | instid1(VALU_DEP_2)
	v_rcp_f64_e32 v[47:48], v[9:10]
	v_rcp_f64_e32 v[49:50], v[11:12]
	s_waitcnt_depctr 0xfff
	v_fma_f64 v[51:52], -v[9:10], v[47:48], 1.0
	v_fma_f64 v[53:54], -v[11:12], v[49:50], 1.0
	s_delay_alu instid0(VALU_DEP_2) | instskip(NEXT) | instid1(VALU_DEP_2)
	v_fma_f64 v[47:48], v[47:48], v[51:52], v[47:48]
	v_fma_f64 v[49:50], v[49:50], v[53:54], v[49:50]
	s_delay_alu instid0(VALU_DEP_2) | instskip(NEXT) | instid1(VALU_DEP_2)
	v_fma_f64 v[51:52], -v[9:10], v[47:48], 1.0
	v_fma_f64 v[53:54], -v[11:12], v[49:50], 1.0
	s_delay_alu instid0(VALU_DEP_2) | instskip(SKIP_1) | instid1(VALU_DEP_3)
	v_fma_f64 v[47:48], v[47:48], v[51:52], v[47:48]
	v_div_scale_f64 v[51:52], s6, v[3:4], s[22:23], v[3:4]
	v_fma_f64 v[49:50], v[49:50], v[53:54], v[49:50]
	s_delay_alu instid0(VALU_DEP_3) | instskip(NEXT) | instid1(VALU_DEP_2)
	v_mul_f64 v[53:54], v[55:56], v[47:48]
	v_mul_f64 v[57:58], v[51:52], v[49:50]
	s_delay_alu instid0(VALU_DEP_2) | instskip(NEXT) | instid1(VALU_DEP_2)
	v_fma_f64 v[9:10], -v[9:10], v[53:54], v[55:56]
	v_fma_f64 v[11:12], -v[11:12], v[57:58], v[51:52]
	s_delay_alu instid0(VALU_DEP_2) | instskip(SKIP_1) | instid1(VALU_DEP_2)
	v_div_fmas_f64 v[9:10], v[9:10], v[47:48], v[53:54]
	s_mov_b32 vcc_lo, s6
	v_div_fmas_f64 v[11:12], v[11:12], v[49:50], v[57:58]
	s_delay_alu instid0(VALU_DEP_2) | instskip(NEXT) | instid1(VALU_DEP_2)
	v_div_fixup_f64 v[9:10], v[9:10], s[20:21], v[1:2]
	v_div_fixup_f64 v[11:12], v[11:12], s[22:23], v[3:4]
.LBB67_42:                              ;   in Loop: Header=BB67_4 Depth=1
	s_cbranch_execnz .LBB67_44
.LBB67_43:                              ;   in Loop: Header=BB67_4 Depth=1
	s_waitcnt vmcnt(0)
	v_fma_f64 v[9:10], v[23:24], v[1:2], v[3:4]
	v_fma_f64 v[1:2], v[23:24], v[3:4], -v[1:2]
	s_delay_alu instid0(VALU_DEP_2) | instskip(NEXT) | instid1(VALU_DEP_2)
	v_mul_f64 v[9:10], v[27:28], v[9:10]
	v_mul_f64 v[11:12], v[27:28], v[1:2]
.LBB67_44:                              ;   in Loop: Header=BB67_4 Depth=1
	s_and_saveexec_b32 s6, s2
	s_delay_alu instid0(SALU_CYCLE_1)
	s_xor_b32 s2, exec_lo, s6
	s_cbranch_execnz .LBB67_48
; %bb.45:                               ;   in Loop: Header=BB67_4 Depth=1
	s_or_b32 exec_lo, exec_lo, s2
	s_and_saveexec_b32 s2, s3
	s_cbranch_execnz .LBB67_49
.LBB67_46:                              ;   in Loop: Header=BB67_4 Depth=1
	s_or_b32 exec_lo, exec_lo, s2
	s_and_saveexec_b32 s2, s4
	s_cbranch_execnz .LBB67_50
.LBB67_47:                              ;   in Loop: Header=BB67_4 Depth=1
	s_or_b32 exec_lo, exec_lo, s2
	s_and_saveexec_b32 s2, s5
	s_cbranch_execz .LBB67_3
	s_branch .LBB67_51
.LBB67_48:                              ;   in Loop: Header=BB67_4 Depth=1
	s_waitcnt vmcnt(0)
	v_add_co_u32 v1, vcc_lo, v33, s14
	v_add_co_ci_u32_e32 v2, vcc_lo, s15, v34, vcc_lo
	global_store_b128 v[1:2], v[5:8], off offset:-8
	s_or_b32 exec_lo, exec_lo, s2
	s_and_saveexec_b32 s2, s3
	s_cbranch_execz .LBB67_46
.LBB67_49:                              ;   in Loop: Header=BB67_4 Depth=1
	s_waitcnt vmcnt(0)
	v_add_co_u32 v1, vcc_lo, v35, s14
	v_add_co_ci_u32_e32 v2, vcc_lo, s15, v36, vcc_lo
	global_store_b128 v[1:2], v[17:20], off
	s_or_b32 exec_lo, exec_lo, s2
	s_and_saveexec_b32 s2, s4
	s_cbranch_execz .LBB67_47
.LBB67_50:                              ;   in Loop: Header=BB67_4 Depth=1
	s_waitcnt vmcnt(0)
	v_add_co_u32 v1, vcc_lo, v45, s14
	v_add_co_ci_u32_e32 v2, vcc_lo, s15, v46, vcc_lo
	global_store_b128 v[1:2], v[13:16], off offset:-8
	s_or_b32 exec_lo, exec_lo, s2
	s_and_saveexec_b32 s2, s5
	s_cbranch_execz .LBB67_3
.LBB67_51:                              ;   in Loop: Header=BB67_4 Depth=1
	s_waitcnt vmcnt(0)
	v_add_co_u32 v1, vcc_lo, v41, s14
	v_add_co_ci_u32_e32 v2, vcc_lo, s15, v42, vcc_lo
	global_store_b128 v[1:2], v[9:12], off offset:-8
	s_branch .LBB67_3
.LBB67_52:
	s_mov_b32 s2, 0
.LBB67_53:
	s_delay_alu instid0(SALU_CYCLE_1)
	s_and_not1_b32 vcc_lo, exec_lo, s2
	s_cbranch_vccnz .LBB67_89
; %bb.54:
	s_waitcnt vmcnt(0)
	v_dual_mov_b32 v21, 0 :: v_dual_lshlrev_b32 v20, 2, v0
	s_mov_b32 s6, 0
	s_mov_b32 s2, exec_lo
	s_delay_alu instid0(VALU_DEP_1)
	v_cmpx_gt_i64_e64 s[12:13], v[20:21]
	s_cbranch_execz .LBB67_89
; %bb.55:
	v_div_scale_f64 v[1:2], null, s[8:9], s[8:9], s[10:11]
	v_div_scale_f64 v[7:8], vcc_lo, s[10:11], s[8:9], s[10:11]
	v_cmp_lt_f64_e64 s4, s[10:11], 0
	s_load_b32 s0, s[0:1], 0xfb4
	s_xor_b32 s1, s9, 0x80000000
	v_cmp_neq_f64_e64 s7, s[8:9], 0
	v_cmp_neq_f64_e64 s14, s[10:11], 0
	v_lshlrev_b32_e32 v30, 6, v0
	v_rcp_f64_e32 v[3:4], v[1:2]
	s_waitcnt_depctr 0xfff
	v_fma_f64 v[5:6], -v[1:2], v[3:4], 1.0
	s_delay_alu instid0(VALU_DEP_1) | instskip(NEXT) | instid1(VALU_DEP_1)
	v_fma_f64 v[3:4], v[3:4], v[5:6], v[3:4]
	v_fma_f64 v[5:6], -v[1:2], v[3:4], 1.0
	s_delay_alu instid0(VALU_DEP_1) | instskip(NEXT) | instid1(VALU_DEP_1)
	v_fma_f64 v[3:4], v[3:4], v[5:6], v[3:4]
	v_mul_f64 v[5:6], v[7:8], v[3:4]
	s_delay_alu instid0(VALU_DEP_1) | instskip(NEXT) | instid1(VALU_DEP_1)
	v_fma_f64 v[1:2], -v[1:2], v[5:6], v[7:8]
	v_div_fmas_f64 v[1:2], v[1:2], v[3:4], v[5:6]
	v_div_scale_f64 v[5:6], null, s[10:11], s[10:11], s[8:9]
	s_delay_alu instid0(VALU_DEP_2) | instskip(NEXT) | instid1(VALU_DEP_2)
	v_div_fixup_f64 v[22:23], v[1:2], s[8:9], s[10:11]
	v_rcp_f64_e32 v[9:10], v[5:6]
	s_delay_alu instid0(VALU_DEP_1) | instskip(SKIP_4) | instid1(VALU_DEP_3)
	v_fma_f64 v[1:2], s[10:11], v[22:23], s[8:9]
	s_waitcnt_depctr 0xfff
	v_fma_f64 v[13:14], -v[5:6], v[9:10], 1.0
	v_div_scale_f64 v[3:4], null, v[1:2], v[1:2], 1.0
	v_div_scale_f64 v[15:16], vcc_lo, 1.0, v[1:2], 1.0
	v_fma_f64 v[9:10], v[9:10], v[13:14], v[9:10]
	s_delay_alu instid0(VALU_DEP_3) | instskip(NEXT) | instid1(VALU_DEP_1)
	v_rcp_f64_e32 v[7:8], v[3:4]
	v_fma_f64 v[13:14], -v[5:6], v[9:10], 1.0
	s_waitcnt_depctr 0xfff
	v_fma_f64 v[11:12], -v[3:4], v[7:8], 1.0
	v_fma_f64 v[9:10], v[9:10], v[13:14], v[9:10]
	s_delay_alu instid0(VALU_DEP_2) | instskip(NEXT) | instid1(VALU_DEP_1)
	v_fma_f64 v[7:8], v[7:8], v[11:12], v[7:8]
	v_fma_f64 v[11:12], -v[3:4], v[7:8], 1.0
	s_delay_alu instid0(VALU_DEP_1) | instskip(SKIP_1) | instid1(VALU_DEP_2)
	v_fma_f64 v[7:8], v[7:8], v[11:12], v[7:8]
	v_div_scale_f64 v[11:12], s2, s[8:9], s[10:11], s[8:9]
	v_mul_f64 v[13:14], v[15:16], v[7:8]
	s_delay_alu instid0(VALU_DEP_2) | instskip(NEXT) | instid1(VALU_DEP_2)
	v_mul_f64 v[17:18], v[11:12], v[9:10]
	v_fma_f64 v[3:4], -v[3:4], v[13:14], v[15:16]
	s_delay_alu instid0(VALU_DEP_2) | instskip(NEXT) | instid1(VALU_DEP_2)
	v_fma_f64 v[5:6], -v[5:6], v[17:18], v[11:12]
	v_div_fmas_f64 v[3:4], v[3:4], v[7:8], v[13:14]
	s_mov_b32 vcc_lo, s2
	v_cmp_lt_f64_e64 s2, s[8:9], 0
	s_delay_alu instid0(VALU_DEP_3) | instskip(NEXT) | instid1(VALU_DEP_3)
	v_div_fmas_f64 v[5:6], v[5:6], v[9:10], v[17:18]
	v_div_fixup_f64 v[26:27], v[3:4], v[1:2], 1.0
	s_delay_alu instid0(VALU_DEP_3) | instskip(NEXT) | instid1(VALU_DEP_2)
	s_and_b32 s2, s2, exec_lo
	v_div_fixup_f64 v[24:25], v[5:6], s[10:11], s[8:9]
	s_cselect_b32 s3, s1, s9
	s_cselect_b32 s2, s8, s8
	s_xor_b32 s1, s11, 0x80000000
	s_and_b32 s4, s4, exec_lo
	s_cselect_b32 s5, s1, s11
	s_cselect_b32 s4, s10, s10
	s_waitcnt lgkmcnt(0)
	s_and_b32 s0, s0, 0xffff
	v_cmp_ge_f64_e64 s1, s[2:3], s[4:5]
	v_add_lshl_u32 v20, v0, s0, 2
	s_or_b32 s7, s7, s14
	s_delay_alu instid0(VALU_DEP_3) | instskip(SKIP_2) | instid1(VALU_DEP_1)
	v_fma_f64 v[5:6], s[8:9], v[24:25], s[10:11]
	s_lshl_b32 s8, s0, 2
	s_lshl_b32 s9, s0, 6
	v_div_scale_f64 v[7:8], null, v[5:6], v[5:6], 1.0
	s_delay_alu instid0(VALU_DEP_1) | instskip(SKIP_2) | instid1(VALU_DEP_1)
	v_rcp_f64_e32 v[9:10], v[7:8]
	s_waitcnt_depctr 0xfff
	v_fma_f64 v[11:12], -v[7:8], v[9:10], 1.0
	v_fma_f64 v[9:10], v[9:10], v[11:12], v[9:10]
	s_delay_alu instid0(VALU_DEP_1) | instskip(NEXT) | instid1(VALU_DEP_1)
	v_fma_f64 v[11:12], -v[7:8], v[9:10], 1.0
	v_fma_f64 v[9:10], v[9:10], v[11:12], v[9:10]
	v_div_scale_f64 v[11:12], vcc_lo, 1.0, v[5:6], 1.0
	s_delay_alu instid0(VALU_DEP_1) | instskip(NEXT) | instid1(VALU_DEP_1)
	v_mul_f64 v[13:14], v[11:12], v[9:10]
	v_fma_f64 v[7:8], -v[7:8], v[13:14], v[11:12]
	s_delay_alu instid0(VALU_DEP_1) | instskip(NEXT) | instid1(VALU_DEP_1)
	v_div_fmas_f64 v[7:8], v[7:8], v[9:10], v[13:14]
	v_div_fixup_f64 v[28:29], v[7:8], v[5:6], 1.0
	s_branch .LBB67_57
.LBB67_56:                              ;   in Loop: Header=BB67_57 Depth=1
	v_cmp_le_i64_e32 vcc_lo, s[12:13], v[20:21]
	v_cmp_lt_u64_e64 s0, 0xffff, v[20:21]
	s_waitcnt vmcnt(3)
	v_add_co_u32 v4, s10, s28, v30
	s_delay_alu instid0(VALU_DEP_1)
	v_add_co_ci_u32_e64 v5, null, s29, 0, s10
	global_store_b128 v[4:5], v[0:3], off
	s_waitcnt vmcnt(0)
	global_store_b128 v[4:5], v[8:11], off offset:16
	s_or_b32 s0, vcc_lo, s0
	s_add_u32 s26, s26, s9
	v_add_co_u32 v20, vcc_lo, v20, s8
	s_addc_u32 s27, s27, 0
	s_add_u32 s28, s28, s9
	v_add_co_ci_u32_e32 v21, vcc_lo, 0, v21, vcc_lo
	s_addc_u32 s29, s29, 0
	s_and_b32 s0, exec_lo, s0
	s_clause 0x1
	global_store_b128 v[4:5], v[16:19], off offset:32
	global_store_b128 v[4:5], v[12:15], off offset:48
	s_or_b32 s6, s0, s6
	s_delay_alu instid0(SALU_CYCLE_1)
	s_and_not1_b32 exec_lo, exec_lo, s6
	s_cbranch_execz .LBB67_89
.LBB67_57:                              ; =>This Inner Loop Header: Depth=1
	v_add_co_u32 v0, s0, s26, v30
	s_delay_alu instid0(VALU_DEP_1)
	v_add_co_ci_u32_e64 v1, null, s27, 0, s0
	s_and_not1_b32 vcc_lo, exec_lo, s1
	s_clause 0x3
	global_load_b128 v[4:7], v[0:1], off offset:48
	global_load_b128 v[12:15], v[0:1], off offset:32
	;; [unrolled: 1-line block ×3, first 2 shown]
	global_load_b128 v[8:11], v[0:1], off
	s_cbranch_vccnz .LBB67_60
; %bb.58:                               ;   in Loop: Header=BB67_57 Depth=1
	s_and_b32 vcc_lo, exec_lo, s7
	s_cbranch_vccz .LBB67_61
; %bb.59:                               ;   in Loop: Header=BB67_57 Depth=1
	s_waitcnt vmcnt(0)
	v_fma_f64 v[0:1], v[22:23], v[10:11], v[8:9]
	v_fma_f64 v[2:3], -v[22:23], v[8:9], v[10:11]
	s_delay_alu instid0(VALU_DEP_2) | instskip(NEXT) | instid1(VALU_DEP_2)
	v_mul_f64 v[0:1], v[26:27], v[0:1]
	v_mul_f64 v[2:3], v[26:27], v[2:3]
	s_cbranch_execz .LBB67_62
	s_branch .LBB67_63
.LBB67_60:                              ;   in Loop: Header=BB67_57 Depth=1
                                        ; implicit-def: $vgpr2_vgpr3
	s_branch .LBB67_64
.LBB67_61:                              ;   in Loop: Header=BB67_57 Depth=1
                                        ; implicit-def: $vgpr2_vgpr3
.LBB67_62:                              ;   in Loop: Header=BB67_57 Depth=1
	s_waitcnt vmcnt(0)
	v_div_scale_f64 v[0:1], null, s[2:3], s[2:3], v[8:9]
	v_div_scale_f64 v[2:3], null, s[4:5], s[4:5], v[10:11]
	v_div_scale_f64 v[39:40], vcc_lo, v[8:9], s[2:3], v[8:9]
	s_delay_alu instid0(VALU_DEP_3) | instskip(NEXT) | instid1(VALU_DEP_2)
	v_rcp_f64_e32 v[31:32], v[0:1]
	v_rcp_f64_e32 v[33:34], v[2:3]
	s_waitcnt_depctr 0xfff
	v_fma_f64 v[35:36], -v[0:1], v[31:32], 1.0
	v_fma_f64 v[37:38], -v[2:3], v[33:34], 1.0
	s_delay_alu instid0(VALU_DEP_2) | instskip(NEXT) | instid1(VALU_DEP_2)
	v_fma_f64 v[31:32], v[31:32], v[35:36], v[31:32]
	v_fma_f64 v[33:34], v[33:34], v[37:38], v[33:34]
	s_delay_alu instid0(VALU_DEP_2) | instskip(NEXT) | instid1(VALU_DEP_2)
	v_fma_f64 v[35:36], -v[0:1], v[31:32], 1.0
	v_fma_f64 v[37:38], -v[2:3], v[33:34], 1.0
	s_delay_alu instid0(VALU_DEP_2) | instskip(SKIP_1) | instid1(VALU_DEP_3)
	v_fma_f64 v[31:32], v[31:32], v[35:36], v[31:32]
	v_div_scale_f64 v[35:36], s0, v[10:11], s[4:5], v[10:11]
	v_fma_f64 v[33:34], v[33:34], v[37:38], v[33:34]
	s_delay_alu instid0(VALU_DEP_3) | instskip(NEXT) | instid1(VALU_DEP_2)
	v_mul_f64 v[37:38], v[39:40], v[31:32]
	v_mul_f64 v[41:42], v[35:36], v[33:34]
	s_delay_alu instid0(VALU_DEP_2) | instskip(NEXT) | instid1(VALU_DEP_2)
	v_fma_f64 v[0:1], -v[0:1], v[37:38], v[39:40]
	v_fma_f64 v[2:3], -v[2:3], v[41:42], v[35:36]
	s_delay_alu instid0(VALU_DEP_2) | instskip(SKIP_1) | instid1(VALU_DEP_2)
	v_div_fmas_f64 v[0:1], v[0:1], v[31:32], v[37:38]
	s_mov_b32 vcc_lo, s0
	v_div_fmas_f64 v[2:3], v[2:3], v[33:34], v[41:42]
	s_delay_alu instid0(VALU_DEP_2) | instskip(NEXT) | instid1(VALU_DEP_2)
	v_div_fixup_f64 v[0:1], v[0:1], s[2:3], v[8:9]
	v_div_fixup_f64 v[2:3], v[2:3], s[4:5], v[10:11]
.LBB67_63:                              ;   in Loop: Header=BB67_57 Depth=1
	s_cbranch_execnz .LBB67_65
.LBB67_64:                              ;   in Loop: Header=BB67_57 Depth=1
	s_waitcnt vmcnt(0)
	v_fma_f64 v[0:1], v[24:25], v[8:9], v[10:11]
	v_fma_f64 v[2:3], v[24:25], v[10:11], -v[8:9]
	s_delay_alu instid0(VALU_DEP_2) | instskip(NEXT) | instid1(VALU_DEP_2)
	v_mul_f64 v[0:1], v[28:29], v[0:1]
	v_mul_f64 v[2:3], v[28:29], v[2:3]
.LBB67_65:                              ;   in Loop: Header=BB67_57 Depth=1
	s_and_not1_b32 vcc_lo, exec_lo, s1
	s_cbranch_vccnz .LBB67_68
; %bb.66:                               ;   in Loop: Header=BB67_57 Depth=1
	s_and_not1_b32 vcc_lo, exec_lo, s7
	s_cbranch_vccnz .LBB67_69
; %bb.67:                               ;   in Loop: Header=BB67_57 Depth=1
	s_waitcnt vmcnt(0)
	v_fma_f64 v[8:9], v[22:23], v[18:19], v[16:17]
	v_fma_f64 v[10:11], -v[22:23], v[16:17], v[18:19]
	s_delay_alu instid0(VALU_DEP_2) | instskip(NEXT) | instid1(VALU_DEP_2)
	v_mul_f64 v[8:9], v[26:27], v[8:9]
	v_mul_f64 v[10:11], v[26:27], v[10:11]
	s_cbranch_execz .LBB67_70
	s_branch .LBB67_71
.LBB67_68:                              ;   in Loop: Header=BB67_57 Depth=1
                                        ; implicit-def: $vgpr10_vgpr11
	s_branch .LBB67_72
.LBB67_69:                              ;   in Loop: Header=BB67_57 Depth=1
                                        ; implicit-def: $vgpr10_vgpr11
.LBB67_70:                              ;   in Loop: Header=BB67_57 Depth=1
	s_waitcnt vmcnt(0)
	v_div_scale_f64 v[8:9], null, s[2:3], s[2:3], v[16:17]
	v_div_scale_f64 v[10:11], null, s[4:5], s[4:5], v[18:19]
	v_div_scale_f64 v[39:40], vcc_lo, v[16:17], s[2:3], v[16:17]
	s_delay_alu instid0(VALU_DEP_3) | instskip(NEXT) | instid1(VALU_DEP_2)
	v_rcp_f64_e32 v[31:32], v[8:9]
	v_rcp_f64_e32 v[33:34], v[10:11]
	s_waitcnt_depctr 0xfff
	v_fma_f64 v[35:36], -v[8:9], v[31:32], 1.0
	v_fma_f64 v[37:38], -v[10:11], v[33:34], 1.0
	s_delay_alu instid0(VALU_DEP_2) | instskip(NEXT) | instid1(VALU_DEP_2)
	v_fma_f64 v[31:32], v[31:32], v[35:36], v[31:32]
	v_fma_f64 v[33:34], v[33:34], v[37:38], v[33:34]
	s_delay_alu instid0(VALU_DEP_2) | instskip(NEXT) | instid1(VALU_DEP_2)
	v_fma_f64 v[35:36], -v[8:9], v[31:32], 1.0
	v_fma_f64 v[37:38], -v[10:11], v[33:34], 1.0
	s_delay_alu instid0(VALU_DEP_2) | instskip(SKIP_1) | instid1(VALU_DEP_3)
	v_fma_f64 v[31:32], v[31:32], v[35:36], v[31:32]
	v_div_scale_f64 v[35:36], s0, v[18:19], s[4:5], v[18:19]
	v_fma_f64 v[33:34], v[33:34], v[37:38], v[33:34]
	s_delay_alu instid0(VALU_DEP_3) | instskip(NEXT) | instid1(VALU_DEP_2)
	v_mul_f64 v[37:38], v[39:40], v[31:32]
	v_mul_f64 v[41:42], v[35:36], v[33:34]
	s_delay_alu instid0(VALU_DEP_2) | instskip(NEXT) | instid1(VALU_DEP_2)
	v_fma_f64 v[8:9], -v[8:9], v[37:38], v[39:40]
	v_fma_f64 v[10:11], -v[10:11], v[41:42], v[35:36]
	s_delay_alu instid0(VALU_DEP_2) | instskip(SKIP_1) | instid1(VALU_DEP_2)
	v_div_fmas_f64 v[8:9], v[8:9], v[31:32], v[37:38]
	s_mov_b32 vcc_lo, s0
	v_div_fmas_f64 v[10:11], v[10:11], v[33:34], v[41:42]
	s_delay_alu instid0(VALU_DEP_2) | instskip(NEXT) | instid1(VALU_DEP_2)
	v_div_fixup_f64 v[8:9], v[8:9], s[2:3], v[16:17]
	v_div_fixup_f64 v[10:11], v[10:11], s[4:5], v[18:19]
.LBB67_71:                              ;   in Loop: Header=BB67_57 Depth=1
	s_cbranch_execnz .LBB67_73
.LBB67_72:                              ;   in Loop: Header=BB67_57 Depth=1
	s_waitcnt vmcnt(0)
	v_fma_f64 v[8:9], v[24:25], v[16:17], v[18:19]
	v_fma_f64 v[10:11], v[24:25], v[18:19], -v[16:17]
	s_delay_alu instid0(VALU_DEP_2) | instskip(NEXT) | instid1(VALU_DEP_2)
	v_mul_f64 v[8:9], v[28:29], v[8:9]
	v_mul_f64 v[10:11], v[28:29], v[10:11]
.LBB67_73:                              ;   in Loop: Header=BB67_57 Depth=1
	s_and_not1_b32 vcc_lo, exec_lo, s1
	s_cbranch_vccnz .LBB67_76
; %bb.74:                               ;   in Loop: Header=BB67_57 Depth=1
	s_and_not1_b32 vcc_lo, exec_lo, s7
	s_cbranch_vccnz .LBB67_77
; %bb.75:                               ;   in Loop: Header=BB67_57 Depth=1
	s_waitcnt vmcnt(1)
	v_fma_f64 v[16:17], v[22:23], v[14:15], v[12:13]
	v_fma_f64 v[18:19], -v[22:23], v[12:13], v[14:15]
	s_delay_alu instid0(VALU_DEP_2) | instskip(NEXT) | instid1(VALU_DEP_2)
	v_mul_f64 v[16:17], v[26:27], v[16:17]
	v_mul_f64 v[18:19], v[26:27], v[18:19]
	s_cbranch_execz .LBB67_78
	s_branch .LBB67_79
.LBB67_76:                              ;   in Loop: Header=BB67_57 Depth=1
                                        ; implicit-def: $vgpr18_vgpr19
	s_branch .LBB67_80
.LBB67_77:                              ;   in Loop: Header=BB67_57 Depth=1
                                        ; implicit-def: $vgpr18_vgpr19
.LBB67_78:                              ;   in Loop: Header=BB67_57 Depth=1
	s_waitcnt vmcnt(1)
	v_div_scale_f64 v[16:17], null, s[2:3], s[2:3], v[12:13]
	v_div_scale_f64 v[18:19], null, s[4:5], s[4:5], v[14:15]
	v_div_scale_f64 v[39:40], vcc_lo, v[12:13], s[2:3], v[12:13]
	s_delay_alu instid0(VALU_DEP_3) | instskip(NEXT) | instid1(VALU_DEP_2)
	v_rcp_f64_e32 v[31:32], v[16:17]
	v_rcp_f64_e32 v[33:34], v[18:19]
	s_waitcnt_depctr 0xfff
	v_fma_f64 v[35:36], -v[16:17], v[31:32], 1.0
	v_fma_f64 v[37:38], -v[18:19], v[33:34], 1.0
	s_delay_alu instid0(VALU_DEP_2) | instskip(NEXT) | instid1(VALU_DEP_2)
	v_fma_f64 v[31:32], v[31:32], v[35:36], v[31:32]
	v_fma_f64 v[33:34], v[33:34], v[37:38], v[33:34]
	s_delay_alu instid0(VALU_DEP_2) | instskip(NEXT) | instid1(VALU_DEP_2)
	v_fma_f64 v[35:36], -v[16:17], v[31:32], 1.0
	v_fma_f64 v[37:38], -v[18:19], v[33:34], 1.0
	s_delay_alu instid0(VALU_DEP_2) | instskip(SKIP_1) | instid1(VALU_DEP_3)
	v_fma_f64 v[31:32], v[31:32], v[35:36], v[31:32]
	v_div_scale_f64 v[35:36], s0, v[14:15], s[4:5], v[14:15]
	v_fma_f64 v[33:34], v[33:34], v[37:38], v[33:34]
	s_delay_alu instid0(VALU_DEP_3) | instskip(NEXT) | instid1(VALU_DEP_2)
	v_mul_f64 v[37:38], v[39:40], v[31:32]
	v_mul_f64 v[41:42], v[35:36], v[33:34]
	s_delay_alu instid0(VALU_DEP_2) | instskip(NEXT) | instid1(VALU_DEP_2)
	v_fma_f64 v[16:17], -v[16:17], v[37:38], v[39:40]
	v_fma_f64 v[18:19], -v[18:19], v[41:42], v[35:36]
	s_delay_alu instid0(VALU_DEP_2) | instskip(SKIP_1) | instid1(VALU_DEP_2)
	v_div_fmas_f64 v[16:17], v[16:17], v[31:32], v[37:38]
	s_mov_b32 vcc_lo, s0
	v_div_fmas_f64 v[18:19], v[18:19], v[33:34], v[41:42]
	s_delay_alu instid0(VALU_DEP_2) | instskip(NEXT) | instid1(VALU_DEP_2)
	v_div_fixup_f64 v[16:17], v[16:17], s[2:3], v[12:13]
	v_div_fixup_f64 v[18:19], v[18:19], s[4:5], v[14:15]
.LBB67_79:                              ;   in Loop: Header=BB67_57 Depth=1
	s_cbranch_execnz .LBB67_81
.LBB67_80:                              ;   in Loop: Header=BB67_57 Depth=1
	s_waitcnt vmcnt(1)
	v_fma_f64 v[16:17], v[24:25], v[12:13], v[14:15]
	v_fma_f64 v[12:13], v[24:25], v[14:15], -v[12:13]
	s_delay_alu instid0(VALU_DEP_2) | instskip(NEXT) | instid1(VALU_DEP_2)
	v_mul_f64 v[16:17], v[28:29], v[16:17]
	v_mul_f64 v[18:19], v[28:29], v[12:13]
.LBB67_81:                              ;   in Loop: Header=BB67_57 Depth=1
	s_and_not1_b32 vcc_lo, exec_lo, s1
	s_cbranch_vccnz .LBB67_84
; %bb.82:                               ;   in Loop: Header=BB67_57 Depth=1
	s_and_not1_b32 vcc_lo, exec_lo, s7
	s_cbranch_vccnz .LBB67_85
; %bb.83:                               ;   in Loop: Header=BB67_57 Depth=1
	s_waitcnt vmcnt(2)
	v_fma_f64 v[12:13], v[22:23], v[6:7], v[4:5]
	v_fma_f64 v[14:15], -v[22:23], v[4:5], v[6:7]
	s_delay_alu instid0(VALU_DEP_2) | instskip(NEXT) | instid1(VALU_DEP_2)
	v_mul_f64 v[12:13], v[26:27], v[12:13]
	v_mul_f64 v[14:15], v[26:27], v[14:15]
	s_cbranch_execz .LBB67_86
	s_branch .LBB67_87
.LBB67_84:                              ;   in Loop: Header=BB67_57 Depth=1
                                        ; implicit-def: $vgpr14_vgpr15
	s_branch .LBB67_88
.LBB67_85:                              ;   in Loop: Header=BB67_57 Depth=1
                                        ; implicit-def: $vgpr14_vgpr15
.LBB67_86:                              ;   in Loop: Header=BB67_57 Depth=1
	s_waitcnt vmcnt(2)
	v_div_scale_f64 v[12:13], null, s[2:3], s[2:3], v[4:5]
	v_div_scale_f64 v[14:15], null, s[4:5], s[4:5], v[6:7]
	v_div_scale_f64 v[39:40], vcc_lo, v[4:5], s[2:3], v[4:5]
	s_delay_alu instid0(VALU_DEP_3) | instskip(NEXT) | instid1(VALU_DEP_2)
	v_rcp_f64_e32 v[31:32], v[12:13]
	v_rcp_f64_e32 v[33:34], v[14:15]
	s_waitcnt_depctr 0xfff
	v_fma_f64 v[35:36], -v[12:13], v[31:32], 1.0
	v_fma_f64 v[37:38], -v[14:15], v[33:34], 1.0
	s_delay_alu instid0(VALU_DEP_2) | instskip(NEXT) | instid1(VALU_DEP_2)
	v_fma_f64 v[31:32], v[31:32], v[35:36], v[31:32]
	v_fma_f64 v[33:34], v[33:34], v[37:38], v[33:34]
	s_delay_alu instid0(VALU_DEP_2) | instskip(NEXT) | instid1(VALU_DEP_2)
	v_fma_f64 v[35:36], -v[12:13], v[31:32], 1.0
	v_fma_f64 v[37:38], -v[14:15], v[33:34], 1.0
	s_delay_alu instid0(VALU_DEP_2) | instskip(SKIP_1) | instid1(VALU_DEP_3)
	v_fma_f64 v[31:32], v[31:32], v[35:36], v[31:32]
	v_div_scale_f64 v[35:36], s0, v[6:7], s[4:5], v[6:7]
	v_fma_f64 v[33:34], v[33:34], v[37:38], v[33:34]
	s_delay_alu instid0(VALU_DEP_3) | instskip(NEXT) | instid1(VALU_DEP_2)
	v_mul_f64 v[37:38], v[39:40], v[31:32]
	v_mul_f64 v[41:42], v[35:36], v[33:34]
	s_delay_alu instid0(VALU_DEP_2) | instskip(NEXT) | instid1(VALU_DEP_2)
	v_fma_f64 v[12:13], -v[12:13], v[37:38], v[39:40]
	v_fma_f64 v[14:15], -v[14:15], v[41:42], v[35:36]
	s_delay_alu instid0(VALU_DEP_2) | instskip(SKIP_1) | instid1(VALU_DEP_2)
	v_div_fmas_f64 v[12:13], v[12:13], v[31:32], v[37:38]
	s_mov_b32 vcc_lo, s0
	v_div_fmas_f64 v[14:15], v[14:15], v[33:34], v[41:42]
	s_delay_alu instid0(VALU_DEP_2) | instskip(NEXT) | instid1(VALU_DEP_2)
	v_div_fixup_f64 v[12:13], v[12:13], s[2:3], v[4:5]
	v_div_fixup_f64 v[14:15], v[14:15], s[4:5], v[6:7]
.LBB67_87:                              ;   in Loop: Header=BB67_57 Depth=1
	s_cbranch_execnz .LBB67_56
.LBB67_88:                              ;   in Loop: Header=BB67_57 Depth=1
	s_waitcnt vmcnt(2)
	v_fma_f64 v[12:13], v[24:25], v[4:5], v[6:7]
	v_fma_f64 v[4:5], v[24:25], v[6:7], -v[4:5]
	s_delay_alu instid0(VALU_DEP_2) | instskip(NEXT) | instid1(VALU_DEP_2)
	v_mul_f64 v[12:13], v[28:29], v[12:13]
	v_mul_f64 v[14:15], v[28:29], v[4:5]
	s_branch .LBB67_56
.LBB67_89:
	s_nop 0
	s_sendmsg sendmsg(MSG_DEALLOC_VGPRS)
	s_endpgm
	.section	.rodata,"a",@progbits
	.p2align	6, 0x0
	.amdhsa_kernel _ZN2at6native12_GLOBAL__N_125multi_tensor_apply_kernelINS1_28TensorListScalarListMetadataIN3c107complexIdEELi2EEENS1_25BinaryOpScalarListFunctorIS6_Li2ELi1ELi1EEEJSt7dividesIS6_EEEEvT_T0_DpT1_
		.amdhsa_group_segment_fixed_size 0
		.amdhsa_private_segment_fixed_size 0
		.amdhsa_kernarg_size 4264
		.amdhsa_user_sgpr_count 15
		.amdhsa_user_sgpr_dispatch_ptr 0
		.amdhsa_user_sgpr_queue_ptr 0
		.amdhsa_user_sgpr_kernarg_segment_ptr 1
		.amdhsa_user_sgpr_dispatch_id 0
		.amdhsa_user_sgpr_private_segment_size 0
		.amdhsa_wavefront_size32 1
		.amdhsa_uses_dynamic_stack 0
		.amdhsa_enable_private_segment 0
		.amdhsa_system_sgpr_workgroup_id_x 1
		.amdhsa_system_sgpr_workgroup_id_y 0
		.amdhsa_system_sgpr_workgroup_id_z 0
		.amdhsa_system_sgpr_workgroup_info 0
		.amdhsa_system_vgpr_workitem_id 0
		.amdhsa_next_free_vgpr 59
		.amdhsa_next_free_sgpr 36
		.amdhsa_reserve_vcc 1
		.amdhsa_float_round_mode_32 0
		.amdhsa_float_round_mode_16_64 0
		.amdhsa_float_denorm_mode_32 3
		.amdhsa_float_denorm_mode_16_64 3
		.amdhsa_dx10_clamp 1
		.amdhsa_ieee_mode 1
		.amdhsa_fp16_overflow 0
		.amdhsa_workgroup_processor_mode 1
		.amdhsa_memory_ordered 1
		.amdhsa_forward_progress 0
		.amdhsa_shared_vgpr_count 0
		.amdhsa_exception_fp_ieee_invalid_op 0
		.amdhsa_exception_fp_denorm_src 0
		.amdhsa_exception_fp_ieee_div_zero 0
		.amdhsa_exception_fp_ieee_overflow 0
		.amdhsa_exception_fp_ieee_underflow 0
		.amdhsa_exception_fp_ieee_inexact 0
		.amdhsa_exception_int_div_zero 0
	.end_amdhsa_kernel
	.section	.text._ZN2at6native12_GLOBAL__N_125multi_tensor_apply_kernelINS1_28TensorListScalarListMetadataIN3c107complexIdEELi2EEENS1_25BinaryOpScalarListFunctorIS6_Li2ELi1ELi1EEEJSt7dividesIS6_EEEEvT_T0_DpT1_,"axG",@progbits,_ZN2at6native12_GLOBAL__N_125multi_tensor_apply_kernelINS1_28TensorListScalarListMetadataIN3c107complexIdEELi2EEENS1_25BinaryOpScalarListFunctorIS6_Li2ELi1ELi1EEEJSt7dividesIS6_EEEEvT_T0_DpT1_,comdat
.Lfunc_end67:
	.size	_ZN2at6native12_GLOBAL__N_125multi_tensor_apply_kernelINS1_28TensorListScalarListMetadataIN3c107complexIdEELi2EEENS1_25BinaryOpScalarListFunctorIS6_Li2ELi1ELi1EEEJSt7dividesIS6_EEEEvT_T0_DpT1_, .Lfunc_end67-_ZN2at6native12_GLOBAL__N_125multi_tensor_apply_kernelINS1_28TensorListScalarListMetadataIN3c107complexIdEELi2EEENS1_25BinaryOpScalarListFunctorIS6_Li2ELi1ELi1EEEJSt7dividesIS6_EEEEvT_T0_DpT1_
                                        ; -- End function
	.section	.AMDGPU.csdata,"",@progbits
; Kernel info:
; codeLenInByte = 5040
; NumSgprs: 38
; NumVgprs: 59
; ScratchSize: 0
; MemoryBound: 1
; FloatMode: 240
; IeeeMode: 1
; LDSByteSize: 0 bytes/workgroup (compile time only)
; SGPRBlocks: 4
; VGPRBlocks: 7
; NumSGPRsForWavesPerEU: 38
; NumVGPRsForWavesPerEU: 59
; Occupancy: 16
; WaveLimiterHint : 0
; COMPUTE_PGM_RSRC2:SCRATCH_EN: 0
; COMPUTE_PGM_RSRC2:USER_SGPR: 15
; COMPUTE_PGM_RSRC2:TRAP_HANDLER: 0
; COMPUTE_PGM_RSRC2:TGID_X_EN: 1
; COMPUTE_PGM_RSRC2:TGID_Y_EN: 0
; COMPUTE_PGM_RSRC2:TGID_Z_EN: 0
; COMPUTE_PGM_RSRC2:TIDIG_COMP_CNT: 0
	.section	.text._ZN2at6native12_GLOBAL__N_125multi_tensor_apply_kernelINS1_28TensorListScalarListMetadataIN3c107complexIfEELi2EEENS1_25BinaryOpScalarListFunctorIS6_Li2ELi1ELi1EEEJSt7dividesIS6_EEEEvT_T0_DpT1_,"axG",@progbits,_ZN2at6native12_GLOBAL__N_125multi_tensor_apply_kernelINS1_28TensorListScalarListMetadataIN3c107complexIfEELi2EEENS1_25BinaryOpScalarListFunctorIS6_Li2ELi1ELi1EEEJSt7dividesIS6_EEEEvT_T0_DpT1_,comdat
	.globl	_ZN2at6native12_GLOBAL__N_125multi_tensor_apply_kernelINS1_28TensorListScalarListMetadataIN3c107complexIfEELi2EEENS1_25BinaryOpScalarListFunctorIS6_Li2ELi1ELi1EEEJSt7dividesIS6_EEEEvT_T0_DpT1_ ; -- Begin function _ZN2at6native12_GLOBAL__N_125multi_tensor_apply_kernelINS1_28TensorListScalarListMetadataIN3c107complexIfEELi2EEENS1_25BinaryOpScalarListFunctorIS6_Li2ELi1ELi1EEEJSt7dividesIS6_EEEEvT_T0_DpT1_
	.p2align	8
	.type	_ZN2at6native12_GLOBAL__N_125multi_tensor_apply_kernelINS1_28TensorListScalarListMetadataIN3c107complexIfEELi2EEENS1_25BinaryOpScalarListFunctorIS6_Li2ELi1ELi1EEEJSt7dividesIS6_EEEEvT_T0_DpT1_,@function
_ZN2at6native12_GLOBAL__N_125multi_tensor_apply_kernelINS1_28TensorListScalarListMetadataIN3c107complexIfEELi2EEENS1_25BinaryOpScalarListFunctorIS6_Li2ELi1ELi1EEEJSt7dividesIS6_EEEEvT_T0_DpT1_: ; @_ZN2at6native12_GLOBAL__N_125multi_tensor_apply_kernelINS1_28TensorListScalarListMetadataIN3c107complexIfEELi2EEENS1_25BinaryOpScalarListFunctorIS6_Li2ELi1ELi1EEEJSt7dividesIS6_EEEEvT_T0_DpT1_
; %bb.0:
	v_mov_b32_e32 v1, s15
	s_add_u32 s2, s0, s15
	s_mul_hi_u32 s3, s15, 3
	s_mul_i32 s15, s15, 3
	s_addc_u32 s4, s1, 0
	global_load_u8 v1, v1, s[0:1] offset:2048
	s_add_u32 s2, s2, s15
	s_addc_u32 s3, s4, s3
	s_mov_b32 s15, 0
	s_load_b32 s2, s[2:3], 0x940
	s_mov_b32 s17, s15
	s_mov_b32 s19, s15
	s_waitcnt vmcnt(0)
	v_readfirstlane_b32 s3, v1
	s_delay_alu instid0(VALU_DEP_1)
	s_lshl_b32 s3, s3, 3
	s_clause 0x3
	s_load_b64 s[4:5], s[0:1], s3 offset:0x0
	s_load_b64 s[10:11], s[0:1], s3 offset:0x600
	;; [unrolled: 1-line block ×4, first 2 shown]
	s_waitcnt lgkmcnt(0)
	s_ashr_i32 s3, s2, 31
	s_delay_alu instid0(SALU_CYCLE_1) | instskip(NEXT) | instid1(SALU_CYCLE_1)
	s_lshl_b64 s[12:13], s[2:3], 19
	s_add_u32 s20, s4, s12
	s_addc_u32 s21, s5, s13
	s_add_u32 s22, s6, s12
	s_addc_u32 s23, s7, s13
	s_and_b32 s16, s20, 31
	s_and_b32 s18, s8, 3
	;; [unrolled: 1-line block ×3, first 2 shown]
	s_or_b64 s[16:17], s[16:17], s[18:19]
	s_lshl_b64 s[2:3], s[2:3], 16
	s_or_b64 s[14:15], s[14:15], s[16:17]
	s_sub_u32 s8, s8, s2
	s_subb_u32 s9, s9, s3
	s_cmp_eq_u64 s[14:15], 0
	s_mov_b32 s2, -1
	s_cbranch_scc1 .LBB68_53
; %bb.1:
	v_cmp_lt_i64_e64 s2, s[8:9], 1
	s_delay_alu instid0(VALU_DEP_1)
	s_and_b32 vcc_lo, exec_lo, s2
	s_cbranch_vccnz .LBB68_52
; %bb.2:
	v_div_scale_f32 v1, null, s10, s10, s11
	v_div_scale_f32 v4, vcc_lo, s11, s10, s11
	v_div_scale_f32 v9, s2, s10, s11, s10
	s_delay_alu instid0(VALU_DEP_3)
	v_rcp_f32_e32 v2, v1
	s_load_b32 s3, s[0:1], 0xe54
	v_cmp_gt_u64_e64 s14, 0x10000, s[8:9]
	v_cmp_neq_f32_e64 s18, s10, 0
	v_cmp_neq_f32_e64 s19, s11, 0
	s_mov_b32 s15, 0
	s_waitcnt_depctr 0xfff
	v_fma_f32 v3, -v1, v2, 1.0
	s_delay_alu instid0(VALU_DEP_1) | instskip(NEXT) | instid1(VALU_DEP_1)
	v_fmac_f32_e32 v2, v3, v2
	v_mul_f32_e32 v3, v4, v2
	s_waitcnt lgkmcnt(0)
	s_and_b32 s24, s3, 0xffff
	s_and_b32 s3, s14, exec_lo
	s_cselect_b32 s17, s9, 0
	s_mul_i32 s26, s24, 3
	v_fma_f32 v5, -v1, v3, v4
	s_delay_alu instid0(VALU_DEP_1) | instskip(NEXT) | instid1(VALU_DEP_1)
	v_fmac_f32_e32 v3, v5, v2
	v_fma_f32 v1, -v1, v3, v4
	s_delay_alu instid0(VALU_DEP_1) | instskip(SKIP_1) | instid1(VALU_DEP_2)
	v_div_fmas_f32 v1, v1, v2, v3
	v_div_scale_f32 v3, null, s11, s11, s10
	v_div_fixup_f32 v13, v1, s10, s11
	s_delay_alu instid0(VALU_DEP_2) | instskip(NEXT) | instid1(VALU_DEP_1)
	v_rcp_f32_e32 v5, v3
	v_fma_f32 v6, v13, s11, s10
	s_delay_alu instid0(VALU_DEP_1) | instskip(SKIP_4) | instid1(VALU_DEP_2)
	v_div_scale_f32 v2, null, v6, v6, 1.0
	s_waitcnt_depctr 0xfff
	v_fma_f32 v7, -v3, v5, 1.0
	v_div_scale_f32 v8, vcc_lo, 1.0, v6, 1.0
	v_rcp_f32_e32 v4, v2
	v_fmac_f32_e32 v5, v7, v5
	s_delay_alu instid0(VALU_DEP_1) | instskip(SKIP_2) | instid1(VALU_DEP_1)
	v_mul_f32_e32 v10, v9, v5
	s_waitcnt_depctr 0xfff
	v_fma_f32 v1, -v2, v4, 1.0
	v_fmac_f32_e32 v4, v1, v4
	s_delay_alu instid0(VALU_DEP_1) | instskip(NEXT) | instid1(VALU_DEP_1)
	v_mul_f32_e32 v7, v8, v4
	v_fma_f32 v1, -v2, v7, v8
	s_delay_alu instid0(VALU_DEP_1) | instskip(SKIP_2) | instid1(VALU_DEP_3)
	v_fmac_f32_e32 v7, v1, v4
	v_mov_b32_e32 v1, 0
	v_fma_f32 v11, -v3, v10, v9
	v_fma_f32 v2, -v2, v7, v8
	s_delay_alu instid0(VALU_DEP_2) | instskip(SKIP_1) | instid1(VALU_DEP_3)
	v_fmac_f32_e32 v10, v11, v5
	v_add_lshl_u32 v11, v0, s24, 3
	v_div_fmas_f32 v7, v2, v4, v7
	s_mov_b32 vcc_lo, s2
	s_delay_alu instid0(VALU_DEP_3) | instskip(SKIP_1) | instid1(VALU_DEP_3)
	v_fma_f32 v3, -v3, v10, v9
	v_cmp_lt_f32_e64 s2, s10, 0
	v_div_fixup_f32 v33, v7, v6, 1.0
	s_delay_alu instid0(VALU_DEP_3) | instskip(SKIP_1) | instid1(VALU_DEP_4)
	v_div_fmas_f32 v2, v3, v5, v10
	v_mov_b32_e32 v3, v1
	v_cndmask_b32_e64 v14, s10, -s10, s2
	v_cmp_lt_f32_e64 s2, s11, 0
	s_delay_alu instid0(VALU_DEP_4) | instskip(SKIP_1) | instid1(VALU_DEP_3)
	v_div_fixup_f32 v16, v2, s11, s10
	v_lshl_or_b32 v2, v0, 3, 4
	v_cndmask_b32_e64 v15, s11, -s11, s2
	s_delay_alu instid0(VALU_DEP_3) | instskip(NEXT) | instid1(VALU_DEP_3)
	v_fma_f32 v8, v16, s10, s11
	v_mad_u64_u32 v[4:5], null, s24, 24, v[2:3]
	v_add_co_u32 v17, s16, s4, v2
	s_delay_alu instid0(VALU_DEP_3) | instskip(SKIP_2) | instid1(VALU_DEP_3)
	v_div_scale_f32 v9, null, v8, v8, 1.0
	v_div_scale_f32 v29, vcc_lo, 1.0, v8, 1.0
	v_add_co_ci_u32_e64 v18, null, s5, 0, s16
	v_rcp_f32_e32 v10, v9
	v_add_co_u32 v19, s16, s6, v2
	s_delay_alu instid0(VALU_DEP_1)
	v_add_co_ci_u32_e64 v20, null, s7, 0, s16
	s_cselect_b32 s16, s8, 0x10000
	s_lshl_b32 s3, s24, 4
	v_cmp_ge_f32_e64 s2, v14, v15
	v_add_co_u32 v2, s3, v2, s3
	s_waitcnt_depctr 0xfff
	v_fma_f32 v3, -v9, v10, 1.0
	v_add_co_ci_u32_e64 v12, null, 0, 0, s3
	v_add_co_u32 v21, s3, s6, v11
	s_delay_alu instid0(VALU_DEP_3) | instskip(SKIP_2) | instid1(VALU_DEP_3)
	v_fmac_f32_e32 v10, v3, v10
	v_add_co_ci_u32_e64 v22, null, s7, 0, s3
	v_add_co_u32 v23, s3, s4, v11
	v_mul_f32_e32 v3, v29, v10
	v_add_co_ci_u32_e64 v24, null, s5, 0, s3
	v_add_co_u32 v25, s3, s4, v2
	s_delay_alu instid0(VALU_DEP_3) | instskip(SKIP_2) | instid1(VALU_DEP_3)
	v_fma_f32 v11, -v9, v3, v29
	v_add_co_ci_u32_e64 v26, s3, s5, v12, s3
	v_add_co_u32 v27, s3, s6, v2
	v_fmac_f32_e32 v3, v11, v10
	v_add_co_ci_u32_e64 v28, s3, s7, v12, s3
	s_lshl_b32 s14, s24, 2
	s_lshl_b32 s25, s24, 1
	s_delay_alu instid0(VALU_DEP_2) | instskip(SKIP_1) | instid1(VALU_DEP_1)
	v_fma_f32 v2, -v9, v3, v29
	v_add_co_u32 v29, s3, s4, v4
	v_add_co_ci_u32_e64 v30, s3, s5, v5, s3
	s_delay_alu instid0(VALU_DEP_3) | instskip(SKIP_2) | instid1(VALU_DEP_3)
	v_div_fmas_f32 v2, v2, v10, v3
	v_add_co_u32 v31, vcc_lo, s6, v4
	v_add_co_ci_u32_e32 v32, vcc_lo, s7, v5, vcc_lo
	v_div_fixup_f32 v34, v2, v8, 1.0
	v_mov_b32_e32 v2, v1
	v_mov_b32_e32 v1, v0
	s_or_b32 s27, s18, s19
	s_lshl_b32 s28, s24, 5
	s_mov_b64 s[18:19], s[14:15]
	s_branch .LBB68_4
.LBB68_3:                               ;   in Loop: Header=BB68_4 Depth=1
	s_or_b32 exec_lo, exec_lo, s3
	v_add_co_u32 v1, vcc_lo, v1, s14
	v_add_co_ci_u32_e32 v2, vcc_lo, 0, v2, vcc_lo
	v_add_co_u32 v17, vcc_lo, v17, s28
	v_add_co_ci_u32_e32 v18, vcc_lo, 0, v18, vcc_lo
	;; [unrolled: 2-line block ×7, first 2 shown]
	v_cmp_ge_i64_e64 s3, s[18:19], s[8:9]
	v_cmp_lt_u64_e64 s4, 0xffff, s[18:19]
	v_add_co_u32 v25, vcc_lo, v25, s28
	v_add_co_ci_u32_e32 v26, vcc_lo, 0, v26, vcc_lo
	v_add_co_u32 v27, vcc_lo, v27, s28
	v_add_co_ci_u32_e32 v28, vcc_lo, 0, v28, vcc_lo
	s_or_b32 s3, s3, s4
	s_add_u32 s18, s18, s14
	s_addc_u32 s19, s19, 0
	s_and_b32 vcc_lo, exec_lo, s3
	s_cbranch_vccnz .LBB68_52
.LBB68_4:                               ; =>This Inner Loop Header: Depth=1
	v_cmp_gt_u64_e64 s3, s[16:17], v[1:2]
	s_waitcnt vmcnt(0)
	v_dual_mov_b32 v10, 0 :: v_dual_mov_b32 v9, 0
	s_delay_alu instid0(VALU_DEP_2)
	s_and_saveexec_b32 s4, s3
	s_cbranch_execz .LBB68_6
; %bb.5:                                ;   in Loop: Header=BB68_4 Depth=1
	v_add_co_u32 v3, vcc_lo, v17, s12
	v_add_co_ci_u32_e32 v4, vcc_lo, s13, v18, vcc_lo
	global_load_b64 v[9:10], v[3:4], off offset:-4
.LBB68_6:                               ;   in Loop: Header=BB68_4 Depth=1
	s_or_b32 exec_lo, exec_lo, s4
	v_add_co_u32 v3, vcc_lo, s24, v1
	v_add_co_ci_u32_e32 v4, vcc_lo, 0, v2, vcc_lo
	v_dual_mov_b32 v8, 0 :: v_dual_mov_b32 v11, 0
	v_mov_b32_e32 v12, 0
	s_delay_alu instid0(VALU_DEP_3) | instskip(NEXT) | instid1(VALU_DEP_1)
	v_cmp_gt_u64_e64 s4, s[16:17], v[3:4]
	s_and_saveexec_b32 s5, s4
	s_cbranch_execz .LBB68_8
; %bb.7:                                ;   in Loop: Header=BB68_4 Depth=1
	v_add_co_u32 v3, vcc_lo, v23, s12
	v_add_co_ci_u32_e32 v4, vcc_lo, s13, v24, vcc_lo
	global_load_b64 v[11:12], v[3:4], off
.LBB68_8:                               ;   in Loop: Header=BB68_4 Depth=1
	s_or_b32 exec_lo, exec_lo, s5
	v_add_co_u32 v3, vcc_lo, s25, v1
	v_add_co_ci_u32_e32 v4, vcc_lo, 0, v2, vcc_lo
	v_mov_b32_e32 v7, 0
	s_delay_alu instid0(VALU_DEP_2) | instskip(NEXT) | instid1(VALU_DEP_1)
	v_cmp_gt_u64_e64 s5, s[16:17], v[3:4]
	s_and_saveexec_b32 s6, s5
	s_cbranch_execz .LBB68_10
; %bb.9:                                ;   in Loop: Header=BB68_4 Depth=1
	v_add_co_u32 v3, vcc_lo, v25, s12
	v_add_co_ci_u32_e32 v4, vcc_lo, s13, v26, vcc_lo
	global_load_b64 v[7:8], v[3:4], off offset:-4
.LBB68_10:                              ;   in Loop: Header=BB68_4 Depth=1
	s_or_b32 exec_lo, exec_lo, s6
	v_add_co_u32 v3, vcc_lo, s26, v1
	v_add_co_ci_u32_e32 v4, vcc_lo, 0, v2, vcc_lo
	s_delay_alu instid0(VALU_DEP_1) | instskip(SKIP_1) | instid1(VALU_DEP_2)
	v_cmp_gt_u64_e64 s6, s[16:17], v[3:4]
	v_dual_mov_b32 v4, 0 :: v_dual_mov_b32 v3, 0
	s_and_saveexec_b32 s7, s6
	s_cbranch_execz .LBB68_12
; %bb.11:                               ;   in Loop: Header=BB68_4 Depth=1
	v_add_co_u32 v3, vcc_lo, v29, s12
	v_add_co_ci_u32_e32 v4, vcc_lo, s13, v30, vcc_lo
	global_load_b64 v[3:4], v[3:4], off offset:-4
.LBB68_12:                              ;   in Loop: Header=BB68_4 Depth=1
	s_or_b32 exec_lo, exec_lo, s7
	s_delay_alu instid0(SALU_CYCLE_1)
	s_and_b32 vcc_lo, exec_lo, s2
	s_cbranch_vccz .LBB68_15
; %bb.13:                               ;   in Loop: Header=BB68_4 Depth=1
	s_and_b32 vcc_lo, exec_lo, s27
	s_cbranch_vccz .LBB68_16
; %bb.14:                               ;   in Loop: Header=BB68_4 Depth=1
	s_waitcnt vmcnt(0)
	v_fma_f32 v5, v13, v10, v9
	v_fma_f32 v6, -v13, v9, v10
	s_delay_alu instid0(VALU_DEP_2) | instskip(NEXT) | instid1(VALU_DEP_2)
	v_mul_f32_e32 v5, v33, v5
	v_mul_f32_e32 v6, v33, v6
	s_cbranch_execz .LBB68_17
	s_branch .LBB68_18
.LBB68_15:                              ;   in Loop: Header=BB68_4 Depth=1
                                        ; implicit-def: $vgpr6
	s_branch .LBB68_19
.LBB68_16:                              ;   in Loop: Header=BB68_4 Depth=1
                                        ; implicit-def: $vgpr6
.LBB68_17:                              ;   in Loop: Header=BB68_4 Depth=1
	s_waitcnt vmcnt(0)
	v_div_scale_f32 v5, null, v14, v14, v9
	v_div_scale_f32 v6, null, v15, v15, v10
	v_div_scale_f32 v39, vcc_lo, v9, v14, v9
	s_delay_alu instid0(VALU_DEP_3) | instskip(NEXT) | instid1(VALU_DEP_2)
	v_rcp_f32_e32 v35, v5
	v_rcp_f32_e32 v36, v6
	s_waitcnt_depctr 0xfff
	v_fma_f32 v37, -v5, v35, 1.0
	v_fma_f32 v38, -v6, v36, 1.0
	s_delay_alu instid0(VALU_DEP_1) | instskip(SKIP_1) | instid1(VALU_DEP_2)
	v_dual_fmac_f32 v35, v37, v35 :: v_dual_fmac_f32 v36, v38, v36
	v_div_scale_f32 v37, s7, v10, v15, v10
	v_mul_f32_e32 v38, v39, v35
	s_delay_alu instid0(VALU_DEP_2) | instskip(NEXT) | instid1(VALU_DEP_2)
	v_mul_f32_e32 v40, v37, v36
	v_fma_f32 v41, -v5, v38, v39
	s_delay_alu instid0(VALU_DEP_2) | instskip(NEXT) | instid1(VALU_DEP_2)
	v_fma_f32 v42, -v6, v40, v37
	v_fmac_f32_e32 v38, v41, v35
	s_delay_alu instid0(VALU_DEP_2) | instskip(NEXT) | instid1(VALU_DEP_2)
	v_fmac_f32_e32 v40, v42, v36
	v_fma_f32 v5, -v5, v38, v39
	s_delay_alu instid0(VALU_DEP_2) | instskip(NEXT) | instid1(VALU_DEP_2)
	v_fma_f32 v6, -v6, v40, v37
	v_div_fmas_f32 v5, v5, v35, v38
	s_mov_b32 vcc_lo, s7
	s_delay_alu instid0(VALU_DEP_2) | instskip(NEXT) | instid1(VALU_DEP_2)
	v_div_fmas_f32 v6, v6, v36, v40
	v_div_fixup_f32 v5, v5, v14, v9
	s_delay_alu instid0(VALU_DEP_2)
	v_div_fixup_f32 v6, v6, v15, v10
.LBB68_18:                              ;   in Loop: Header=BB68_4 Depth=1
	s_cbranch_execnz .LBB68_20
.LBB68_19:                              ;   in Loop: Header=BB68_4 Depth=1
	s_waitcnt vmcnt(0)
	v_fma_f32 v5, v16, v9, v10
	v_fma_f32 v6, v16, v10, -v9
	s_delay_alu instid0(VALU_DEP_2) | instskip(NEXT) | instid1(VALU_DEP_2)
	v_mul_f32_e32 v5, v34, v5
	v_mul_f32_e32 v6, v34, v6
.LBB68_20:                              ;   in Loop: Header=BB68_4 Depth=1
	s_and_not1_b32 vcc_lo, exec_lo, s2
	s_cbranch_vccnz .LBB68_23
; %bb.21:                               ;   in Loop: Header=BB68_4 Depth=1
	s_and_not1_b32 vcc_lo, exec_lo, s27
	s_cbranch_vccnz .LBB68_24
; %bb.22:                               ;   in Loop: Header=BB68_4 Depth=1
	s_waitcnt vmcnt(0)
	v_fma_f32 v9, v13, v12, v11
	v_fma_f32 v10, -v13, v11, v12
	s_delay_alu instid0(VALU_DEP_2) | instskip(NEXT) | instid1(VALU_DEP_2)
	v_mul_f32_e32 v9, v33, v9
	v_mul_f32_e32 v10, v33, v10
	s_cbranch_execz .LBB68_25
	s_branch .LBB68_26
.LBB68_23:                              ;   in Loop: Header=BB68_4 Depth=1
                                        ; implicit-def: $vgpr10
	s_branch .LBB68_27
.LBB68_24:                              ;   in Loop: Header=BB68_4 Depth=1
                                        ; implicit-def: $vgpr10
.LBB68_25:                              ;   in Loop: Header=BB68_4 Depth=1
	s_waitcnt vmcnt(0)
	v_div_scale_f32 v9, null, v14, v14, v11
	v_div_scale_f32 v10, null, v15, v15, v12
	v_div_scale_f32 v39, vcc_lo, v11, v14, v11
	s_delay_alu instid0(VALU_DEP_3) | instskip(NEXT) | instid1(VALU_DEP_2)
	v_rcp_f32_e32 v35, v9
	v_rcp_f32_e32 v36, v10
	s_waitcnt_depctr 0xfff
	v_fma_f32 v37, -v9, v35, 1.0
	v_fma_f32 v38, -v10, v36, 1.0
	s_delay_alu instid0(VALU_DEP_1) | instskip(SKIP_1) | instid1(VALU_DEP_2)
	v_dual_fmac_f32 v35, v37, v35 :: v_dual_fmac_f32 v36, v38, v36
	v_div_scale_f32 v37, s7, v12, v15, v12
	v_mul_f32_e32 v38, v39, v35
	s_delay_alu instid0(VALU_DEP_2) | instskip(NEXT) | instid1(VALU_DEP_2)
	v_mul_f32_e32 v40, v37, v36
	v_fma_f32 v41, -v9, v38, v39
	s_delay_alu instid0(VALU_DEP_2) | instskip(NEXT) | instid1(VALU_DEP_2)
	v_fma_f32 v42, -v10, v40, v37
	v_fmac_f32_e32 v38, v41, v35
	s_delay_alu instid0(VALU_DEP_2) | instskip(NEXT) | instid1(VALU_DEP_2)
	v_fmac_f32_e32 v40, v42, v36
	v_fma_f32 v9, -v9, v38, v39
	s_delay_alu instid0(VALU_DEP_2) | instskip(NEXT) | instid1(VALU_DEP_2)
	v_fma_f32 v10, -v10, v40, v37
	v_div_fmas_f32 v9, v9, v35, v38
	s_mov_b32 vcc_lo, s7
	s_delay_alu instid0(VALU_DEP_2) | instskip(NEXT) | instid1(VALU_DEP_2)
	v_div_fmas_f32 v10, v10, v36, v40
	v_div_fixup_f32 v9, v9, v14, v11
	s_delay_alu instid0(VALU_DEP_2)
	v_div_fixup_f32 v10, v10, v15, v12
.LBB68_26:                              ;   in Loop: Header=BB68_4 Depth=1
	s_cbranch_execnz .LBB68_28
.LBB68_27:                              ;   in Loop: Header=BB68_4 Depth=1
	s_waitcnt vmcnt(0)
	v_fma_f32 v9, v16, v11, v12
	v_fma_f32 v10, v16, v12, -v11
	s_delay_alu instid0(VALU_DEP_2) | instskip(NEXT) | instid1(VALU_DEP_2)
	v_mul_f32_e32 v9, v34, v9
	v_mul_f32_e32 v10, v34, v10
.LBB68_28:                              ;   in Loop: Header=BB68_4 Depth=1
	s_and_not1_b32 vcc_lo, exec_lo, s2
	s_cbranch_vccnz .LBB68_31
; %bb.29:                               ;   in Loop: Header=BB68_4 Depth=1
	s_and_not1_b32 vcc_lo, exec_lo, s27
	s_cbranch_vccnz .LBB68_32
; %bb.30:                               ;   in Loop: Header=BB68_4 Depth=1
	s_waitcnt vmcnt(0)
	v_fma_f32 v11, v13, v8, v7
	v_fma_f32 v12, -v13, v7, v8
	s_delay_alu instid0(VALU_DEP_2) | instskip(NEXT) | instid1(VALU_DEP_2)
	v_mul_f32_e32 v11, v33, v11
	v_mul_f32_e32 v12, v33, v12
	s_cbranch_execz .LBB68_33
	s_branch .LBB68_34
.LBB68_31:                              ;   in Loop: Header=BB68_4 Depth=1
                                        ; implicit-def: $vgpr12
	s_branch .LBB68_35
.LBB68_32:                              ;   in Loop: Header=BB68_4 Depth=1
                                        ; implicit-def: $vgpr12
.LBB68_33:                              ;   in Loop: Header=BB68_4 Depth=1
	s_waitcnt vmcnt(0)
	v_div_scale_f32 v11, null, v14, v14, v7
	v_div_scale_f32 v12, null, v15, v15, v8
	v_div_scale_f32 v39, vcc_lo, v7, v14, v7
	s_delay_alu instid0(VALU_DEP_3) | instskip(NEXT) | instid1(VALU_DEP_2)
	v_rcp_f32_e32 v35, v11
	v_rcp_f32_e32 v36, v12
	s_waitcnt_depctr 0xfff
	v_fma_f32 v37, -v11, v35, 1.0
	v_fma_f32 v38, -v12, v36, 1.0
	s_delay_alu instid0(VALU_DEP_1) | instskip(SKIP_1) | instid1(VALU_DEP_2)
	v_dual_fmac_f32 v35, v37, v35 :: v_dual_fmac_f32 v36, v38, v36
	v_div_scale_f32 v37, s7, v8, v15, v8
	v_mul_f32_e32 v38, v39, v35
	s_delay_alu instid0(VALU_DEP_2) | instskip(NEXT) | instid1(VALU_DEP_2)
	v_mul_f32_e32 v40, v37, v36
	v_fma_f32 v41, -v11, v38, v39
	s_delay_alu instid0(VALU_DEP_2) | instskip(NEXT) | instid1(VALU_DEP_2)
	v_fma_f32 v42, -v12, v40, v37
	v_fmac_f32_e32 v38, v41, v35
	s_delay_alu instid0(VALU_DEP_2) | instskip(NEXT) | instid1(VALU_DEP_2)
	v_fmac_f32_e32 v40, v42, v36
	v_fma_f32 v11, -v11, v38, v39
	s_delay_alu instid0(VALU_DEP_2) | instskip(NEXT) | instid1(VALU_DEP_2)
	v_fma_f32 v12, -v12, v40, v37
	v_div_fmas_f32 v11, v11, v35, v38
	s_mov_b32 vcc_lo, s7
	s_delay_alu instid0(VALU_DEP_2) | instskip(NEXT) | instid1(VALU_DEP_2)
	v_div_fmas_f32 v12, v12, v36, v40
	v_div_fixup_f32 v11, v11, v14, v7
	s_delay_alu instid0(VALU_DEP_2)
	v_div_fixup_f32 v12, v12, v15, v8
.LBB68_34:                              ;   in Loop: Header=BB68_4 Depth=1
	s_cbranch_execnz .LBB68_36
.LBB68_35:                              ;   in Loop: Header=BB68_4 Depth=1
	s_waitcnt vmcnt(0)
	v_fma_f32 v11, v16, v7, v8
	v_fma_f32 v7, v16, v8, -v7
	s_delay_alu instid0(VALU_DEP_2) | instskip(NEXT) | instid1(VALU_DEP_2)
	v_mul_f32_e32 v11, v34, v11
	v_mul_f32_e32 v12, v34, v7
.LBB68_36:                              ;   in Loop: Header=BB68_4 Depth=1
	s_and_not1_b32 vcc_lo, exec_lo, s2
	s_cbranch_vccnz .LBB68_39
; %bb.37:                               ;   in Loop: Header=BB68_4 Depth=1
	s_and_not1_b32 vcc_lo, exec_lo, s27
	s_cbranch_vccnz .LBB68_40
; %bb.38:                               ;   in Loop: Header=BB68_4 Depth=1
	s_waitcnt vmcnt(0)
	v_fma_f32 v7, v13, v4, v3
	v_fma_f32 v8, -v13, v3, v4
	s_delay_alu instid0(VALU_DEP_2) | instskip(NEXT) | instid1(VALU_DEP_2)
	v_mul_f32_e32 v7, v33, v7
	v_mul_f32_e32 v8, v33, v8
	s_cbranch_execz .LBB68_41
	s_branch .LBB68_42
.LBB68_39:                              ;   in Loop: Header=BB68_4 Depth=1
                                        ; implicit-def: $vgpr8
	s_branch .LBB68_43
.LBB68_40:                              ;   in Loop: Header=BB68_4 Depth=1
                                        ; implicit-def: $vgpr8
.LBB68_41:                              ;   in Loop: Header=BB68_4 Depth=1
	s_waitcnt vmcnt(0)
	v_div_scale_f32 v7, null, v14, v14, v3
	v_div_scale_f32 v8, null, v15, v15, v4
	v_div_scale_f32 v39, vcc_lo, v3, v14, v3
	s_delay_alu instid0(VALU_DEP_3) | instskip(NEXT) | instid1(VALU_DEP_2)
	v_rcp_f32_e32 v35, v7
	v_rcp_f32_e32 v36, v8
	s_waitcnt_depctr 0xfff
	v_fma_f32 v37, -v7, v35, 1.0
	v_fma_f32 v38, -v8, v36, 1.0
	s_delay_alu instid0(VALU_DEP_1) | instskip(SKIP_1) | instid1(VALU_DEP_2)
	v_dual_fmac_f32 v35, v37, v35 :: v_dual_fmac_f32 v36, v38, v36
	v_div_scale_f32 v37, s7, v4, v15, v4
	v_mul_f32_e32 v38, v39, v35
	s_delay_alu instid0(VALU_DEP_2) | instskip(NEXT) | instid1(VALU_DEP_2)
	v_mul_f32_e32 v40, v37, v36
	v_fma_f32 v41, -v7, v38, v39
	s_delay_alu instid0(VALU_DEP_2) | instskip(NEXT) | instid1(VALU_DEP_2)
	v_fma_f32 v42, -v8, v40, v37
	v_fmac_f32_e32 v38, v41, v35
	s_delay_alu instid0(VALU_DEP_2) | instskip(NEXT) | instid1(VALU_DEP_2)
	v_fmac_f32_e32 v40, v42, v36
	v_fma_f32 v7, -v7, v38, v39
	s_delay_alu instid0(VALU_DEP_2) | instskip(NEXT) | instid1(VALU_DEP_2)
	v_fma_f32 v8, -v8, v40, v37
	v_div_fmas_f32 v7, v7, v35, v38
	s_mov_b32 vcc_lo, s7
	s_delay_alu instid0(VALU_DEP_2) | instskip(NEXT) | instid1(VALU_DEP_2)
	v_div_fmas_f32 v8, v8, v36, v40
	v_div_fixup_f32 v7, v7, v14, v3
	s_delay_alu instid0(VALU_DEP_2)
	v_div_fixup_f32 v8, v8, v15, v4
.LBB68_42:                              ;   in Loop: Header=BB68_4 Depth=1
	s_cbranch_execnz .LBB68_44
.LBB68_43:                              ;   in Loop: Header=BB68_4 Depth=1
	s_waitcnt vmcnt(0)
	v_fma_f32 v7, v16, v3, v4
	v_fma_f32 v3, v16, v4, -v3
	s_delay_alu instid0(VALU_DEP_2) | instskip(NEXT) | instid1(VALU_DEP_2)
	v_mul_f32_e32 v7, v34, v7
	v_mul_f32_e32 v8, v34, v3
.LBB68_44:                              ;   in Loop: Header=BB68_4 Depth=1
	s_and_saveexec_b32 s7, s3
	s_delay_alu instid0(SALU_CYCLE_1)
	s_xor_b32 s3, exec_lo, s7
	s_cbranch_execnz .LBB68_48
; %bb.45:                               ;   in Loop: Header=BB68_4 Depth=1
	s_or_b32 exec_lo, exec_lo, s3
	s_and_saveexec_b32 s3, s4
	s_cbranch_execnz .LBB68_49
.LBB68_46:                              ;   in Loop: Header=BB68_4 Depth=1
	s_or_b32 exec_lo, exec_lo, s3
	s_and_saveexec_b32 s3, s5
	s_cbranch_execnz .LBB68_50
.LBB68_47:                              ;   in Loop: Header=BB68_4 Depth=1
	s_or_b32 exec_lo, exec_lo, s3
	s_and_saveexec_b32 s3, s6
	s_cbranch_execz .LBB68_3
	s_branch .LBB68_51
.LBB68_48:                              ;   in Loop: Header=BB68_4 Depth=1
	s_waitcnt vmcnt(0)
	v_add_co_u32 v3, vcc_lo, v19, s12
	v_add_co_ci_u32_e32 v4, vcc_lo, s13, v20, vcc_lo
	global_store_b64 v[3:4], v[5:6], off offset:-4
	s_or_b32 exec_lo, exec_lo, s3
	s_and_saveexec_b32 s3, s4
	s_cbranch_execz .LBB68_46
.LBB68_49:                              ;   in Loop: Header=BB68_4 Depth=1
	s_waitcnt vmcnt(0)
	v_add_co_u32 v3, vcc_lo, v21, s12
	v_add_co_ci_u32_e32 v4, vcc_lo, s13, v22, vcc_lo
	global_store_b64 v[3:4], v[9:10], off
	s_or_b32 exec_lo, exec_lo, s3
	s_and_saveexec_b32 s3, s5
	s_cbranch_execz .LBB68_47
.LBB68_50:                              ;   in Loop: Header=BB68_4 Depth=1
	s_waitcnt vmcnt(0)
	v_add_co_u32 v3, vcc_lo, v27, s12
	v_add_co_ci_u32_e32 v4, vcc_lo, s13, v28, vcc_lo
	global_store_b64 v[3:4], v[11:12], off offset:-4
	s_or_b32 exec_lo, exec_lo, s3
	s_and_saveexec_b32 s3, s6
	s_cbranch_execz .LBB68_3
.LBB68_51:                              ;   in Loop: Header=BB68_4 Depth=1
	s_waitcnt vmcnt(0)
	v_add_co_u32 v3, vcc_lo, v31, s12
	v_add_co_ci_u32_e32 v4, vcc_lo, s13, v32, vcc_lo
	global_store_b64 v[3:4], v[7:8], off offset:-4
	s_branch .LBB68_3
.LBB68_52:
	s_mov_b32 s2, 0
.LBB68_53:
	s_delay_alu instid0(SALU_CYCLE_1)
	s_and_not1_b32 vcc_lo, exec_lo, s2
	s_cbranch_vccnz .LBB68_89
; %bb.54:
	s_waitcnt vmcnt(0)
	v_dual_mov_b32 v13, 0 :: v_dual_lshlrev_b32 v12, 2, v0
	s_mov_b32 s3, 0
	s_mov_b32 s2, exec_lo
	s_delay_alu instid0(VALU_DEP_1)
	v_cmpx_gt_i64_e64 s[8:9], v[12:13]
	s_cbranch_execz .LBB68_89
; %bb.55:
	v_div_scale_f32 v1, null, s10, s10, s11
	v_div_scale_f32 v4, vcc_lo, s11, s10, s11
	s_load_b32 s0, s[0:1], 0xe54
	s_delay_alu instid0(VALU_DEP_2) | instskip(SKIP_2) | instid1(VALU_DEP_2)
	v_rcp_f32_e32 v2, v1
	v_cmp_lt_f32_e64 s1, s10, 0
	v_lshlrev_b32_e32 v18, 5, v0
	v_cndmask_b32_e64 v16, s10, -s10, s1
	v_cmp_lt_f32_e64 s1, s11, 0
	s_waitcnt_depctr 0xfff
	v_fma_f32 v3, -v1, v2, 1.0
	v_cndmask_b32_e64 v17, s11, -s11, s1
	v_cmp_neq_f32_e64 s1, s10, 0
	s_delay_alu instid0(VALU_DEP_3) | instskip(SKIP_2) | instid1(VALU_DEP_1)
	v_fmac_f32_e32 v2, v3, v2
	s_waitcnt lgkmcnt(0)
	s_and_b32 s5, s0, 0xffff
	v_mul_f32_e32 v3, v4, v2
	v_cmp_ge_f32_e64 s0, v16, v17
	v_add_lshl_u32 v12, v0, s5, 2
	s_lshl_b32 s4, s5, 2
	s_lshl_b32 s5, s5, 5
	v_fma_f32 v5, -v1, v3, v4
	s_delay_alu instid0(VALU_DEP_1) | instskip(NEXT) | instid1(VALU_DEP_1)
	v_fmac_f32_e32 v3, v5, v2
	v_fma_f32 v1, -v1, v3, v4
	s_delay_alu instid0(VALU_DEP_1) | instskip(SKIP_1) | instid1(VALU_DEP_2)
	v_div_fmas_f32 v1, v1, v2, v3
	v_div_scale_f32 v3, null, s11, s11, s10
	v_div_fixup_f32 v14, v1, s10, s11
	s_delay_alu instid0(VALU_DEP_2) | instskip(NEXT) | instid1(VALU_DEP_1)
	v_rcp_f32_e32 v5, v3
	v_fma_f32 v1, v14, s11, s10
	s_delay_alu instid0(VALU_DEP_1) | instskip(SKIP_4) | instid1(VALU_DEP_2)
	v_div_scale_f32 v2, null, v1, v1, 1.0
	s_waitcnt_depctr 0xfff
	v_fma_f32 v7, -v3, v5, 1.0
	v_div_scale_f32 v8, vcc_lo, 1.0, v1, 1.0
	v_rcp_f32_e32 v4, v2
	v_fmac_f32_e32 v5, v7, v5
	s_waitcnt_depctr 0xfff
	v_fma_f32 v6, -v2, v4, 1.0
	s_delay_alu instid0(VALU_DEP_1) | instskip(SKIP_1) | instid1(VALU_DEP_2)
	v_fmac_f32_e32 v4, v6, v4
	v_div_scale_f32 v6, s2, s10, s11, s10
	v_mul_f32_e32 v7, v8, v4
	s_delay_alu instid0(VALU_DEP_2) | instskip(NEXT) | instid1(VALU_DEP_2)
	v_mul_f32_e32 v9, v6, v5
	v_fma_f32 v10, -v2, v7, v8
	s_delay_alu instid0(VALU_DEP_2) | instskip(NEXT) | instid1(VALU_DEP_2)
	v_fma_f32 v11, -v3, v9, v6
	v_fmac_f32_e32 v7, v10, v4
	s_delay_alu instid0(VALU_DEP_2) | instskip(NEXT) | instid1(VALU_DEP_2)
	v_fmac_f32_e32 v9, v11, v5
	v_fma_f32 v2, -v2, v7, v8
	s_delay_alu instid0(VALU_DEP_2) | instskip(NEXT) | instid1(VALU_DEP_2)
	v_fma_f32 v3, -v3, v9, v6
	v_div_fmas_f32 v2, v2, v4, v7
	s_mov_b32 vcc_lo, s2
	v_cmp_neq_f32_e64 s2, s11, 0
	s_delay_alu instid0(VALU_DEP_3) | instskip(NEXT) | instid1(VALU_DEP_3)
	v_div_fmas_f32 v3, v3, v5, v9
	v_div_fixup_f32 v19, v2, v1, 1.0
	s_delay_alu instid0(VALU_DEP_3) | instskip(NEXT) | instid1(VALU_DEP_2)
	s_or_b32 s2, s1, s2
	v_div_fixup_f32 v15, v3, s11, s10
	s_delay_alu instid0(VALU_DEP_1) | instskip(NEXT) | instid1(VALU_DEP_1)
	v_fma_f32 v3, v15, s10, s11
	v_div_scale_f32 v4, null, v3, v3, 1.0
	v_div_scale_f32 v7, vcc_lo, 1.0, v3, 1.0
	s_delay_alu instid0(VALU_DEP_2) | instskip(SKIP_2) | instid1(VALU_DEP_1)
	v_rcp_f32_e32 v5, v4
	s_waitcnt_depctr 0xfff
	v_fma_f32 v6, -v4, v5, 1.0
	v_fmac_f32_e32 v5, v6, v5
	s_delay_alu instid0(VALU_DEP_1) | instskip(NEXT) | instid1(VALU_DEP_1)
	v_mul_f32_e32 v6, v7, v5
	v_fma_f32 v8, -v4, v6, v7
	s_delay_alu instid0(VALU_DEP_1) | instskip(NEXT) | instid1(VALU_DEP_1)
	v_fmac_f32_e32 v6, v8, v5
	v_fma_f32 v4, -v4, v6, v7
	s_delay_alu instid0(VALU_DEP_1) | instskip(NEXT) | instid1(VALU_DEP_1)
	v_div_fmas_f32 v4, v4, v5, v6
	v_div_fixup_f32 v20, v4, v3, 1.0
	s_branch .LBB68_57
.LBB68_56:                              ;   in Loop: Header=BB68_57 Depth=1
	v_cmp_le_i64_e32 vcc_lo, s[8:9], v[12:13]
	v_cmp_lt_u64_e64 s1, 0xffff, v[12:13]
	s_waitcnt vmcnt(1)
	v_add_co_u32 v0, s6, s22, v18
	s_delay_alu instid0(VALU_DEP_1)
	v_add_co_ci_u32_e64 v1, null, s23, 0, s6
	s_waitcnt vmcnt(0)
	s_clause 0x1
	global_store_b128 v[0:1], v[4:7], off
	global_store_b128 v[0:1], v[8:11], off offset:16
	s_or_b32 s1, vcc_lo, s1
	s_add_u32 s20, s20, s5
	v_add_co_u32 v12, vcc_lo, v12, s4
	s_addc_u32 s21, s21, 0
	s_add_u32 s22, s22, s5
	v_add_co_ci_u32_e32 v13, vcc_lo, 0, v13, vcc_lo
	s_addc_u32 s23, s23, 0
	s_and_b32 s1, exec_lo, s1
	s_delay_alu instid0(SALU_CYCLE_1) | instskip(NEXT) | instid1(SALU_CYCLE_1)
	s_or_b32 s3, s1, s3
	s_and_not1_b32 exec_lo, exec_lo, s3
	s_cbranch_execz .LBB68_89
.LBB68_57:                              ; =>This Inner Loop Header: Depth=1
	v_add_co_u32 v4, s1, s20, v18
	s_delay_alu instid0(VALU_DEP_1)
	v_add_co_ci_u32_e64 v5, null, s21, 0, s1
	s_and_not1_b32 vcc_lo, exec_lo, s0
	s_clause 0x1
	global_load_b128 v[0:3], v[4:5], off offset:16
	global_load_b128 v[6:9], v[4:5], off
	s_cbranch_vccnz .LBB68_60
; %bb.58:                               ;   in Loop: Header=BB68_57 Depth=1
	s_and_b32 vcc_lo, exec_lo, s2
	s_cbranch_vccz .LBB68_61
; %bb.59:                               ;   in Loop: Header=BB68_57 Depth=1
	s_waitcnt vmcnt(0)
	v_fma_f32 v4, v14, v7, v6
	v_fma_f32 v5, -v14, v6, v7
	s_delay_alu instid0(VALU_DEP_2) | instskip(NEXT) | instid1(VALU_DEP_2)
	v_mul_f32_e32 v4, v19, v4
	v_mul_f32_e32 v5, v19, v5
	s_cbranch_execz .LBB68_62
	s_branch .LBB68_63
.LBB68_60:                              ;   in Loop: Header=BB68_57 Depth=1
                                        ; implicit-def: $vgpr5
	s_branch .LBB68_64
.LBB68_61:                              ;   in Loop: Header=BB68_57 Depth=1
                                        ; implicit-def: $vgpr5
.LBB68_62:                              ;   in Loop: Header=BB68_57 Depth=1
	s_waitcnt vmcnt(0)
	v_div_scale_f32 v4, null, v16, v16, v6
	v_div_scale_f32 v5, null, v17, v17, v7
	v_div_scale_f32 v23, vcc_lo, v6, v16, v6
	s_delay_alu instid0(VALU_DEP_3) | instskip(NEXT) | instid1(VALU_DEP_2)
	v_rcp_f32_e32 v10, v4
	v_rcp_f32_e32 v11, v5
	s_waitcnt_depctr 0xfff
	v_fma_f32 v21, -v4, v10, 1.0
	v_fma_f32 v22, -v5, v11, 1.0
	s_delay_alu instid0(VALU_DEP_1) | instskip(SKIP_1) | instid1(VALU_DEP_2)
	v_dual_fmac_f32 v10, v21, v10 :: v_dual_fmac_f32 v11, v22, v11
	v_div_scale_f32 v21, s1, v7, v17, v7
	v_mul_f32_e32 v22, v23, v10
	s_delay_alu instid0(VALU_DEP_2) | instskip(NEXT) | instid1(VALU_DEP_2)
	v_mul_f32_e32 v24, v21, v11
	v_fma_f32 v25, -v4, v22, v23
	s_delay_alu instid0(VALU_DEP_2) | instskip(NEXT) | instid1(VALU_DEP_2)
	v_fma_f32 v26, -v5, v24, v21
	v_fmac_f32_e32 v22, v25, v10
	s_delay_alu instid0(VALU_DEP_2) | instskip(NEXT) | instid1(VALU_DEP_2)
	v_fmac_f32_e32 v24, v26, v11
	v_fma_f32 v4, -v4, v22, v23
	s_delay_alu instid0(VALU_DEP_2) | instskip(NEXT) | instid1(VALU_DEP_2)
	v_fma_f32 v5, -v5, v24, v21
	v_div_fmas_f32 v4, v4, v10, v22
	s_mov_b32 vcc_lo, s1
	s_delay_alu instid0(VALU_DEP_2) | instskip(NEXT) | instid1(VALU_DEP_2)
	v_div_fmas_f32 v5, v5, v11, v24
	v_div_fixup_f32 v4, v4, v16, v6
	s_delay_alu instid0(VALU_DEP_2)
	v_div_fixup_f32 v5, v5, v17, v7
.LBB68_63:                              ;   in Loop: Header=BB68_57 Depth=1
	s_cbranch_execnz .LBB68_65
.LBB68_64:                              ;   in Loop: Header=BB68_57 Depth=1
	s_waitcnt vmcnt(0)
	v_fma_f32 v4, v15, v6, v7
	v_fma_f32 v5, v15, v7, -v6
	s_delay_alu instid0(VALU_DEP_2) | instskip(NEXT) | instid1(VALU_DEP_2)
	v_mul_f32_e32 v4, v20, v4
	v_mul_f32_e32 v5, v20, v5
.LBB68_65:                              ;   in Loop: Header=BB68_57 Depth=1
	s_and_not1_b32 vcc_lo, exec_lo, s0
	s_cbranch_vccnz .LBB68_68
; %bb.66:                               ;   in Loop: Header=BB68_57 Depth=1
	s_and_not1_b32 vcc_lo, exec_lo, s2
	s_cbranch_vccnz .LBB68_69
; %bb.67:                               ;   in Loop: Header=BB68_57 Depth=1
	s_waitcnt vmcnt(0)
	v_fma_f32 v6, v14, v9, v8
	v_fma_f32 v7, -v14, v8, v9
	s_delay_alu instid0(VALU_DEP_2) | instskip(NEXT) | instid1(VALU_DEP_2)
	v_mul_f32_e32 v6, v19, v6
	v_mul_f32_e32 v7, v19, v7
	s_cbranch_execz .LBB68_70
	s_branch .LBB68_71
.LBB68_68:                              ;   in Loop: Header=BB68_57 Depth=1
	s_branch .LBB68_72
.LBB68_69:                              ;   in Loop: Header=BB68_57 Depth=1
.LBB68_70:                              ;   in Loop: Header=BB68_57 Depth=1
	s_waitcnt vmcnt(0)
	v_div_scale_f32 v6, null, v16, v16, v8
	v_div_scale_f32 v7, null, v17, v17, v9
	v_div_scale_f32 v23, vcc_lo, v8, v16, v8
	s_delay_alu instid0(VALU_DEP_3) | instskip(NEXT) | instid1(VALU_DEP_2)
	v_rcp_f32_e32 v10, v6
	v_rcp_f32_e32 v11, v7
	s_waitcnt_depctr 0xfff
	v_fma_f32 v21, -v6, v10, 1.0
	v_fma_f32 v22, -v7, v11, 1.0
	s_delay_alu instid0(VALU_DEP_1) | instskip(SKIP_1) | instid1(VALU_DEP_2)
	v_dual_fmac_f32 v10, v21, v10 :: v_dual_fmac_f32 v11, v22, v11
	v_div_scale_f32 v21, s1, v9, v17, v9
	v_mul_f32_e32 v22, v23, v10
	s_delay_alu instid0(VALU_DEP_2) | instskip(NEXT) | instid1(VALU_DEP_2)
	v_mul_f32_e32 v24, v21, v11
	v_fma_f32 v25, -v6, v22, v23
	s_delay_alu instid0(VALU_DEP_2) | instskip(NEXT) | instid1(VALU_DEP_2)
	v_fma_f32 v26, -v7, v24, v21
	v_fmac_f32_e32 v22, v25, v10
	s_delay_alu instid0(VALU_DEP_2) | instskip(NEXT) | instid1(VALU_DEP_2)
	v_fmac_f32_e32 v24, v26, v11
	v_fma_f32 v6, -v6, v22, v23
	s_delay_alu instid0(VALU_DEP_2) | instskip(NEXT) | instid1(VALU_DEP_2)
	v_fma_f32 v7, -v7, v24, v21
	v_div_fmas_f32 v6, v6, v10, v22
	s_mov_b32 vcc_lo, s1
	s_delay_alu instid0(VALU_DEP_2) | instskip(NEXT) | instid1(VALU_DEP_2)
	v_div_fmas_f32 v7, v7, v11, v24
	v_div_fixup_f32 v6, v6, v16, v8
	s_delay_alu instid0(VALU_DEP_2)
	v_div_fixup_f32 v7, v7, v17, v9
.LBB68_71:                              ;   in Loop: Header=BB68_57 Depth=1
	s_cbranch_execnz .LBB68_73
.LBB68_72:                              ;   in Loop: Header=BB68_57 Depth=1
	s_waitcnt vmcnt(0)
	v_fma_f32 v6, v15, v8, v9
	v_fma_f32 v7, v15, v9, -v8
	s_delay_alu instid0(VALU_DEP_2) | instskip(NEXT) | instid1(VALU_DEP_2)
	v_mul_f32_e32 v6, v20, v6
	v_mul_f32_e32 v7, v20, v7
.LBB68_73:                              ;   in Loop: Header=BB68_57 Depth=1
	s_and_not1_b32 vcc_lo, exec_lo, s0
	s_cbranch_vccnz .LBB68_76
; %bb.74:                               ;   in Loop: Header=BB68_57 Depth=1
	s_and_not1_b32 vcc_lo, exec_lo, s2
	s_cbranch_vccnz .LBB68_77
; %bb.75:                               ;   in Loop: Header=BB68_57 Depth=1
	s_waitcnt vmcnt(0)
	v_fma_f32 v8, v14, v1, v0
	v_fma_f32 v9, -v14, v0, v1
	s_delay_alu instid0(VALU_DEP_2) | instskip(NEXT) | instid1(VALU_DEP_2)
	v_mul_f32_e32 v8, v19, v8
	v_mul_f32_e32 v9, v19, v9
	s_cbranch_execz .LBB68_78
	s_branch .LBB68_79
.LBB68_76:                              ;   in Loop: Header=BB68_57 Depth=1
                                        ; implicit-def: $vgpr9
	s_branch .LBB68_80
.LBB68_77:                              ;   in Loop: Header=BB68_57 Depth=1
                                        ; implicit-def: $vgpr9
.LBB68_78:                              ;   in Loop: Header=BB68_57 Depth=1
	s_waitcnt vmcnt(0)
	v_div_scale_f32 v8, null, v16, v16, v0
	v_div_scale_f32 v9, null, v17, v17, v1
	v_div_scale_f32 v23, vcc_lo, v0, v16, v0
	s_delay_alu instid0(VALU_DEP_3) | instskip(NEXT) | instid1(VALU_DEP_2)
	v_rcp_f32_e32 v10, v8
	v_rcp_f32_e32 v11, v9
	s_waitcnt_depctr 0xfff
	v_fma_f32 v21, -v8, v10, 1.0
	v_fma_f32 v22, -v9, v11, 1.0
	s_delay_alu instid0(VALU_DEP_1) | instskip(SKIP_1) | instid1(VALU_DEP_2)
	v_dual_fmac_f32 v10, v21, v10 :: v_dual_fmac_f32 v11, v22, v11
	v_div_scale_f32 v21, s1, v1, v17, v1
	v_mul_f32_e32 v22, v23, v10
	s_delay_alu instid0(VALU_DEP_2) | instskip(NEXT) | instid1(VALU_DEP_2)
	v_mul_f32_e32 v24, v21, v11
	v_fma_f32 v25, -v8, v22, v23
	s_delay_alu instid0(VALU_DEP_2) | instskip(NEXT) | instid1(VALU_DEP_2)
	v_fma_f32 v26, -v9, v24, v21
	v_fmac_f32_e32 v22, v25, v10
	s_delay_alu instid0(VALU_DEP_2) | instskip(NEXT) | instid1(VALU_DEP_2)
	v_fmac_f32_e32 v24, v26, v11
	v_fma_f32 v8, -v8, v22, v23
	s_delay_alu instid0(VALU_DEP_2) | instskip(NEXT) | instid1(VALU_DEP_2)
	v_fma_f32 v9, -v9, v24, v21
	v_div_fmas_f32 v8, v8, v10, v22
	s_mov_b32 vcc_lo, s1
	s_delay_alu instid0(VALU_DEP_2) | instskip(NEXT) | instid1(VALU_DEP_2)
	v_div_fmas_f32 v9, v9, v11, v24
	v_div_fixup_f32 v8, v8, v16, v0
	s_delay_alu instid0(VALU_DEP_2)
	v_div_fixup_f32 v9, v9, v17, v1
.LBB68_79:                              ;   in Loop: Header=BB68_57 Depth=1
	s_cbranch_execnz .LBB68_81
.LBB68_80:                              ;   in Loop: Header=BB68_57 Depth=1
	s_waitcnt vmcnt(0)
	v_fma_f32 v8, v15, v0, v1
	v_fma_f32 v0, v15, v1, -v0
	s_delay_alu instid0(VALU_DEP_2) | instskip(NEXT) | instid1(VALU_DEP_2)
	v_mul_f32_e32 v8, v20, v8
	v_mul_f32_e32 v9, v20, v0
.LBB68_81:                              ;   in Loop: Header=BB68_57 Depth=1
	s_and_not1_b32 vcc_lo, exec_lo, s0
	s_cbranch_vccnz .LBB68_84
; %bb.82:                               ;   in Loop: Header=BB68_57 Depth=1
	s_and_not1_b32 vcc_lo, exec_lo, s2
	s_cbranch_vccnz .LBB68_85
; %bb.83:                               ;   in Loop: Header=BB68_57 Depth=1
	s_waitcnt vmcnt(1)
	v_fma_f32 v0, v14, v3, v2
	v_fma_f32 v1, -v14, v2, v3
	s_delay_alu instid0(VALU_DEP_2) | instskip(NEXT) | instid1(VALU_DEP_2)
	v_mul_f32_e32 v10, v19, v0
	v_mul_f32_e32 v11, v19, v1
	s_cbranch_execz .LBB68_86
	s_branch .LBB68_87
.LBB68_84:                              ;   in Loop: Header=BB68_57 Depth=1
	s_branch .LBB68_88
.LBB68_85:                              ;   in Loop: Header=BB68_57 Depth=1
.LBB68_86:                              ;   in Loop: Header=BB68_57 Depth=1
	s_waitcnt vmcnt(1)
	v_div_scale_f32 v0, null, v16, v16, v2
	v_div_scale_f32 v1, null, v17, v17, v3
	v_div_scale_f32 v23, vcc_lo, v2, v16, v2
	s_delay_alu instid0(VALU_DEP_3) | instskip(NEXT) | instid1(VALU_DEP_2)
	v_rcp_f32_e32 v10, v0
	v_rcp_f32_e32 v11, v1
	s_waitcnt_depctr 0xfff
	v_fma_f32 v21, -v0, v10, 1.0
	v_fma_f32 v22, -v1, v11, 1.0
	s_delay_alu instid0(VALU_DEP_1) | instskip(SKIP_1) | instid1(VALU_DEP_2)
	v_dual_fmac_f32 v10, v21, v10 :: v_dual_fmac_f32 v11, v22, v11
	v_div_scale_f32 v21, s1, v3, v17, v3
	v_mul_f32_e32 v22, v23, v10
	s_delay_alu instid0(VALU_DEP_2) | instskip(NEXT) | instid1(VALU_DEP_2)
	v_mul_f32_e32 v24, v21, v11
	v_fma_f32 v25, -v0, v22, v23
	s_delay_alu instid0(VALU_DEP_2) | instskip(NEXT) | instid1(VALU_DEP_2)
	v_fma_f32 v26, -v1, v24, v21
	v_fmac_f32_e32 v22, v25, v10
	s_delay_alu instid0(VALU_DEP_2) | instskip(NEXT) | instid1(VALU_DEP_2)
	v_fmac_f32_e32 v24, v26, v11
	v_fma_f32 v0, -v0, v22, v23
	s_delay_alu instid0(VALU_DEP_2) | instskip(NEXT) | instid1(VALU_DEP_2)
	v_fma_f32 v1, -v1, v24, v21
	v_div_fmas_f32 v0, v0, v10, v22
	s_mov_b32 vcc_lo, s1
	s_delay_alu instid0(VALU_DEP_2) | instskip(NEXT) | instid1(VALU_DEP_2)
	v_div_fmas_f32 v1, v1, v11, v24
	v_div_fixup_f32 v10, v0, v16, v2
	s_delay_alu instid0(VALU_DEP_2)
	v_div_fixup_f32 v11, v1, v17, v3
.LBB68_87:                              ;   in Loop: Header=BB68_57 Depth=1
	s_cbranch_execnz .LBB68_56
.LBB68_88:                              ;   in Loop: Header=BB68_57 Depth=1
	s_waitcnt vmcnt(1)
	v_fma_f32 v0, v15, v2, v3
	v_fma_f32 v1, v15, v3, -v2
	s_delay_alu instid0(VALU_DEP_2) | instskip(NEXT) | instid1(VALU_DEP_2)
	v_mul_f32_e32 v10, v20, v0
	v_mul_f32_e32 v11, v20, v1
	s_branch .LBB68_56
.LBB68_89:
	s_nop 0
	s_sendmsg sendmsg(MSG_DEALLOC_VGPRS)
	s_endpgm
	.section	.rodata,"a",@progbits
	.p2align	6, 0x0
	.amdhsa_kernel _ZN2at6native12_GLOBAL__N_125multi_tensor_apply_kernelINS1_28TensorListScalarListMetadataIN3c107complexIfEELi2EEENS1_25BinaryOpScalarListFunctorIS6_Li2ELi1ELi1EEEJSt7dividesIS6_EEEEvT_T0_DpT1_
		.amdhsa_group_segment_fixed_size 0
		.amdhsa_private_segment_fixed_size 0
		.amdhsa_kernarg_size 3912
		.amdhsa_user_sgpr_count 15
		.amdhsa_user_sgpr_dispatch_ptr 0
		.amdhsa_user_sgpr_queue_ptr 0
		.amdhsa_user_sgpr_kernarg_segment_ptr 1
		.amdhsa_user_sgpr_dispatch_id 0
		.amdhsa_user_sgpr_private_segment_size 0
		.amdhsa_wavefront_size32 1
		.amdhsa_uses_dynamic_stack 0
		.amdhsa_enable_private_segment 0
		.amdhsa_system_sgpr_workgroup_id_x 1
		.amdhsa_system_sgpr_workgroup_id_y 0
		.amdhsa_system_sgpr_workgroup_id_z 0
		.amdhsa_system_sgpr_workgroup_info 0
		.amdhsa_system_vgpr_workitem_id 0
		.amdhsa_next_free_vgpr 43
		.amdhsa_next_free_sgpr 29
		.amdhsa_reserve_vcc 1
		.amdhsa_float_round_mode_32 0
		.amdhsa_float_round_mode_16_64 0
		.amdhsa_float_denorm_mode_32 3
		.amdhsa_float_denorm_mode_16_64 3
		.amdhsa_dx10_clamp 1
		.amdhsa_ieee_mode 1
		.amdhsa_fp16_overflow 0
		.amdhsa_workgroup_processor_mode 1
		.amdhsa_memory_ordered 1
		.amdhsa_forward_progress 0
		.amdhsa_shared_vgpr_count 0
		.amdhsa_exception_fp_ieee_invalid_op 0
		.amdhsa_exception_fp_denorm_src 0
		.amdhsa_exception_fp_ieee_div_zero 0
		.amdhsa_exception_fp_ieee_overflow 0
		.amdhsa_exception_fp_ieee_underflow 0
		.amdhsa_exception_fp_ieee_inexact 0
		.amdhsa_exception_int_div_zero 0
	.end_amdhsa_kernel
	.section	.text._ZN2at6native12_GLOBAL__N_125multi_tensor_apply_kernelINS1_28TensorListScalarListMetadataIN3c107complexIfEELi2EEENS1_25BinaryOpScalarListFunctorIS6_Li2ELi1ELi1EEEJSt7dividesIS6_EEEEvT_T0_DpT1_,"axG",@progbits,_ZN2at6native12_GLOBAL__N_125multi_tensor_apply_kernelINS1_28TensorListScalarListMetadataIN3c107complexIfEELi2EEENS1_25BinaryOpScalarListFunctorIS6_Li2ELi1ELi1EEEJSt7dividesIS6_EEEEvT_T0_DpT1_,comdat
.Lfunc_end68:
	.size	_ZN2at6native12_GLOBAL__N_125multi_tensor_apply_kernelINS1_28TensorListScalarListMetadataIN3c107complexIfEELi2EEENS1_25BinaryOpScalarListFunctorIS6_Li2ELi1ELi1EEEJSt7dividesIS6_EEEEvT_T0_DpT1_, .Lfunc_end68-_ZN2at6native12_GLOBAL__N_125multi_tensor_apply_kernelINS1_28TensorListScalarListMetadataIN3c107complexIfEELi2EEENS1_25BinaryOpScalarListFunctorIS6_Li2ELi1ELi1EEEJSt7dividesIS6_EEEEvT_T0_DpT1_
                                        ; -- End function
	.section	.AMDGPU.csdata,"",@progbits
; Kernel info:
; codeLenInByte = 4520
; NumSgprs: 31
; NumVgprs: 43
; ScratchSize: 0
; MemoryBound: 1
; FloatMode: 240
; IeeeMode: 1
; LDSByteSize: 0 bytes/workgroup (compile time only)
; SGPRBlocks: 3
; VGPRBlocks: 5
; NumSGPRsForWavesPerEU: 31
; NumVGPRsForWavesPerEU: 43
; Occupancy: 16
; WaveLimiterHint : 1
; COMPUTE_PGM_RSRC2:SCRATCH_EN: 0
; COMPUTE_PGM_RSRC2:USER_SGPR: 15
; COMPUTE_PGM_RSRC2:TRAP_HANDLER: 0
; COMPUTE_PGM_RSRC2:TGID_X_EN: 1
; COMPUTE_PGM_RSRC2:TGID_Y_EN: 0
; COMPUTE_PGM_RSRC2:TGID_Z_EN: 0
; COMPUTE_PGM_RSRC2:TIDIG_COMP_CNT: 0
	.section	.text._ZN2at6native12_GLOBAL__N_125multi_tensor_apply_kernelINS1_28TensorListScalarListMetadataIbLi2EEENS1_25BinaryOpScalarListFunctorIbLi2ELi1ELi1EEEJSt7dividesIbEEEEvT_T0_DpT1_,"axG",@progbits,_ZN2at6native12_GLOBAL__N_125multi_tensor_apply_kernelINS1_28TensorListScalarListMetadataIbLi2EEENS1_25BinaryOpScalarListFunctorIbLi2ELi1ELi1EEEJSt7dividesIbEEEEvT_T0_DpT1_,comdat
	.globl	_ZN2at6native12_GLOBAL__N_125multi_tensor_apply_kernelINS1_28TensorListScalarListMetadataIbLi2EEENS1_25BinaryOpScalarListFunctorIbLi2ELi1ELi1EEEJSt7dividesIbEEEEvT_T0_DpT1_ ; -- Begin function _ZN2at6native12_GLOBAL__N_125multi_tensor_apply_kernelINS1_28TensorListScalarListMetadataIbLi2EEENS1_25BinaryOpScalarListFunctorIbLi2ELi1ELi1EEEJSt7dividesIbEEEEvT_T0_DpT1_
	.p2align	8
	.type	_ZN2at6native12_GLOBAL__N_125multi_tensor_apply_kernelINS1_28TensorListScalarListMetadataIbLi2EEENS1_25BinaryOpScalarListFunctorIbLi2ELi1ELi1EEEJSt7dividesIbEEEEvT_T0_DpT1_,@function
_ZN2at6native12_GLOBAL__N_125multi_tensor_apply_kernelINS1_28TensorListScalarListMetadataIbLi2EEENS1_25BinaryOpScalarListFunctorIbLi2ELi1ELi1EEEJSt7dividesIbEEEEvT_T0_DpT1_: ; @_ZN2at6native12_GLOBAL__N_125multi_tensor_apply_kernelINS1_28TensorListScalarListMetadataIbLi2EEENS1_25BinaryOpScalarListFunctorIbLi2ELi1ELi1EEEJSt7dividesIbEEEEvT_T0_DpT1_
; %bb.0:
	v_mov_b32_e32 v1, s15
	s_add_u32 s2, s0, s15
	s_mul_hi_u32 s3, s15, 3
	s_mul_i32 s15, s15, 3
	s_addc_u32 s4, s1, 0
	global_load_u8 v1, v1, s[0:1] offset:1600
	s_add_u32 s2, s2, s15
	s_addc_u32 s3, s4, s3
	s_load_b32 s6, s[2:3], 0x780
	s_waitcnt vmcnt(0)
	v_readfirstlane_b32 s5, v1
	s_delay_alu instid0(VALU_DEP_1)
	s_lshl_b32 s7, s5, 3
	s_clause 0x2
	s_load_b64 s[2:3], s[0:1], s7 offset:0x0
	s_load_b64 s[4:5], s[0:1], s7 offset:0x200
	;; [unrolled: 1-line block ×3, first 2 shown]
	s_waitcnt lgkmcnt(0)
	s_ashr_i32 s7, s6, 31
	s_delay_alu instid0(SALU_CYCLE_1) | instskip(NEXT) | instid1(SALU_CYCLE_1)
	s_lshl_b64 s[12:13], s[6:7], 16
	s_add_u32 s6, s2, s12
	s_addc_u32 s7, s3, s13
	s_add_u32 s14, s4, s12
	s_addc_u32 s15, s5, s13
	s_or_b64 s[10:11], s[8:9], s[6:7]
	s_delay_alu instid0(SALU_CYCLE_1) | instskip(NEXT) | instid1(SALU_CYCLE_1)
	s_or_b32 s10, s14, s10
	s_and_b32 s10, s10, 3
	s_sub_u32 s8, s8, s12
	s_subb_u32 s9, s9, s13
	s_cmp_eq_u32 s10, 0
	s_mov_b32 s10, -1
	s_cbranch_scc1 .LBB69_21
; %bb.1:
	v_cmp_lt_i64_e64 s10, s[8:9], 1
	s_delay_alu instid0(VALU_DEP_1)
	s_and_b32 vcc_lo, exec_lo, s10
	s_cbranch_vccnz .LBB69_20
; %bb.2:
	s_load_b32 s10, s[0:1], 0xc94
	v_add_co_u32 v15, s11, s12, v0
	s_delay_alu instid0(VALU_DEP_1) | instskip(SKIP_1) | instid1(VALU_DEP_3)
	v_add_co_ci_u32_e64 v16, null, s13, 0, s11
	v_cmp_gt_u64_e64 s11, 0x10000, s[8:9]
	v_add_co_u32 v1, vcc_lo, s2, v15
	s_delay_alu instid0(VALU_DEP_3)
	v_add_co_ci_u32_e32 v2, vcc_lo, s3, v16, vcc_lo
	v_add_co_u32 v3, vcc_lo, s4, v15
	v_add_co_ci_u32_e32 v4, vcc_lo, s5, v16, vcc_lo
	s_waitcnt lgkmcnt(0)
	s_and_b32 s17, s10, 0xffff
	s_and_b32 s10, s11, exec_lo
	s_mul_i32 s19, s17, 3
	s_cselect_b32 s11, s9, 0
	s_cselect_b32 s10, s8, 0x10000
	s_lshl_b32 s18, s17, 1
	s_lshl_b32 s16, s17, 2
	s_add_u32 s20, s12, s19
	s_addc_u32 s21, s13, 0
	v_add_co_u32 v7, s20, s20, v0
	s_delay_alu instid0(VALU_DEP_1) | instskip(SKIP_1) | instid1(VALU_DEP_2)
	v_add_co_ci_u32_e64 v8, null, s21, 0, s20
	s_add_u32 s12, s12, s18
	v_add_co_u32 v5, vcc_lo, s2, v7
	s_addc_u32 s13, s13, 0
	v_add_co_u32 v13, s12, s12, v0
	v_add_co_ci_u32_e32 v6, vcc_lo, s3, v8, vcc_lo
	v_add_co_u32 v7, vcc_lo, s4, v7
	v_add_co_ci_u32_e64 v14, null, s13, 0, s12
	v_add_co_ci_u32_e32 v8, vcc_lo, s5, v8, vcc_lo
	v_add_co_u32 v11, vcc_lo, s2, v13
	s_delay_alu instid0(VALU_DEP_3)
	v_add_co_ci_u32_e32 v12, vcc_lo, s3, v14, vcc_lo
	v_add_co_u32 v13, vcc_lo, s4, v13
	v_add_co_ci_u32_e32 v14, vcc_lo, s5, v14, vcc_lo
	v_add_co_u32 v19, vcc_lo, v15, s17
	v_add_co_ci_u32_e32 v20, vcc_lo, 0, v16, vcc_lo
	v_add_co_u32 v9, s12, s19, v0
	s_delay_alu instid0(VALU_DEP_3) | instskip(NEXT) | instid1(VALU_DEP_3)
	v_add_co_u32 v17, vcc_lo, s2, v19
	v_add_co_ci_u32_e32 v18, vcc_lo, s3, v20, vcc_lo
	v_add_co_ci_u32_e64 v10, null, 0, 0, s12
	v_add_co_u32 v15, s12, s18, v0
	v_add_co_u32 v19, vcc_lo, s4, v19
	v_add_co_u32 v21, s2, v0, s17
	v_add_co_ci_u32_e64 v16, null, 0, 0, s12
	v_add_co_ci_u32_e32 v20, vcc_lo, s5, v20, vcc_lo
	v_add_co_ci_u32_e64 v22, null, 0, 0, s2
	s_mov_b64 s[12:13], 0
	s_branch .LBB69_4
.LBB69_3:                               ;   in Loop: Header=BB69_4 Depth=1
	s_or_b32 exec_lo, exec_lo, s2
	s_add_u32 s12, s12, s16
	s_addc_u32 s13, s13, 0
	s_delay_alu instid0(SALU_CYCLE_1) | instskip(SKIP_1) | instid1(VALU_DEP_1)
	v_cmp_lt_i64_e64 s2, s[12:13], s[8:9]
	v_cmp_gt_u64_e64 s3, 0x10000, s[12:13]
	s_and_b32 s2, s2, s3
	s_delay_alu instid0(SALU_CYCLE_1)
	s_and_b32 vcc_lo, exec_lo, s2
	s_cbranch_vccz .LBB69_20
.LBB69_4:                               ; =>This Inner Loop Header: Depth=1
	s_waitcnt vmcnt(0)
	v_add_co_u32 v23, s2, v0, s12
	s_delay_alu instid0(VALU_DEP_1) | instskip(NEXT) | instid1(VALU_DEP_1)
	v_add_co_ci_u32_e64 v24, null, 0, s13, s2
	v_cmp_gt_u64_e32 vcc_lo, s[10:11], v[23:24]
	v_mov_b32_e32 v23, 0
	s_and_saveexec_b32 s3, vcc_lo
	s_cbranch_execz .LBB69_6
; %bb.5:                                ;   in Loop: Header=BB69_4 Depth=1
	v_add_co_u32 v23, s2, v1, s12
	s_delay_alu instid0(VALU_DEP_1)
	v_add_co_ci_u32_e64 v24, s2, s13, v2, s2
	global_load_u8 v23, v[23:24], off
.LBB69_6:                               ;   in Loop: Header=BB69_4 Depth=1
	s_or_b32 exec_lo, exec_lo, s3
	v_add_co_u32 v24, s2, v21, s12
	s_delay_alu instid0(VALU_DEP_1) | instskip(NEXT) | instid1(VALU_DEP_1)
	v_add_co_ci_u32_e64 v25, s2, s13, v22, s2
	v_cmp_gt_u64_e64 s2, s[10:11], v[24:25]
	v_mov_b32_e32 v25, 0
	s_delay_alu instid0(VALU_DEP_2)
	s_and_saveexec_b32 s4, s2
	s_cbranch_execz .LBB69_8
; %bb.7:                                ;   in Loop: Header=BB69_4 Depth=1
	v_add_co_u32 v24, s3, v17, s12
	s_delay_alu instid0(VALU_DEP_1)
	v_add_co_ci_u32_e64 v25, s3, s13, v18, s3
	global_load_u8 v25, v[24:25], off
.LBB69_8:                               ;   in Loop: Header=BB69_4 Depth=1
	s_or_b32 exec_lo, exec_lo, s4
	v_add_co_u32 v26, s3, v15, s12
	s_delay_alu instid0(VALU_DEP_1) | instskip(SKIP_1) | instid1(VALU_DEP_2)
	v_add_co_ci_u32_e64 v27, s3, s13, v16, s3
	v_mov_b32_e32 v24, 0
	v_cmp_gt_u64_e64 s3, s[10:11], v[26:27]
	v_mov_b32_e32 v26, 0
	s_delay_alu instid0(VALU_DEP_2)
	s_and_saveexec_b32 s5, s3
	s_cbranch_execz .LBB69_10
; %bb.9:                                ;   in Loop: Header=BB69_4 Depth=1
	v_add_co_u32 v26, s4, v11, s12
	s_delay_alu instid0(VALU_DEP_1)
	v_add_co_ci_u32_e64 v27, s4, s13, v12, s4
	global_load_u8 v26, v[26:27], off
.LBB69_10:                              ;   in Loop: Header=BB69_4 Depth=1
	s_or_b32 exec_lo, exec_lo, s5
	v_add_co_u32 v27, s4, v9, s12
	s_delay_alu instid0(VALU_DEP_1) | instskip(NEXT) | instid1(VALU_DEP_1)
	v_add_co_ci_u32_e64 v28, s4, s13, v10, s4
	v_cmp_gt_u64_e64 s4, s[10:11], v[27:28]
	s_delay_alu instid0(VALU_DEP_1)
	s_and_saveexec_b32 s17, s4
	s_cbranch_execnz .LBB69_15
; %bb.11:                               ;   in Loop: Header=BB69_4 Depth=1
	s_or_b32 exec_lo, exec_lo, s17
	s_and_saveexec_b32 s5, vcc_lo
	s_cbranch_execnz .LBB69_16
.LBB69_12:                              ;   in Loop: Header=BB69_4 Depth=1
	s_or_b32 exec_lo, exec_lo, s5
	s_and_saveexec_b32 s5, s2
	s_cbranch_execnz .LBB69_17
.LBB69_13:                              ;   in Loop: Header=BB69_4 Depth=1
	s_or_b32 exec_lo, exec_lo, s5
	s_and_saveexec_b32 s2, s3
	s_cbranch_execnz .LBB69_18
.LBB69_14:                              ;   in Loop: Header=BB69_4 Depth=1
	s_or_b32 exec_lo, exec_lo, s2
	s_and_saveexec_b32 s2, s4
	s_cbranch_execz .LBB69_3
	s_branch .LBB69_19
.LBB69_15:                              ;   in Loop: Header=BB69_4 Depth=1
	v_add_co_u32 v27, s5, v5, s12
	s_delay_alu instid0(VALU_DEP_1)
	v_add_co_ci_u32_e64 v28, s5, s13, v6, s5
	global_load_u8 v24, v[27:28], off
	s_or_b32 exec_lo, exec_lo, s17
	s_and_saveexec_b32 s5, vcc_lo
	s_cbranch_execz .LBB69_12
.LBB69_16:                              ;   in Loop: Header=BB69_4 Depth=1
	v_add_co_u32 v27, vcc_lo, v3, s12
	v_add_co_ci_u32_e32 v28, vcc_lo, s13, v4, vcc_lo
	s_waitcnt vmcnt(0)
	global_store_b8 v[27:28], v23, off
	s_or_b32 exec_lo, exec_lo, s5
	s_and_saveexec_b32 s5, s2
	s_cbranch_execz .LBB69_13
.LBB69_17:                              ;   in Loop: Header=BB69_4 Depth=1
	v_add_co_u32 v27, vcc_lo, v19, s12
	v_add_co_ci_u32_e32 v28, vcc_lo, s13, v20, vcc_lo
	s_waitcnt vmcnt(0)
	global_store_b8 v[27:28], v25, off
	s_or_b32 exec_lo, exec_lo, s5
	s_and_saveexec_b32 s2, s3
	s_cbranch_execz .LBB69_14
.LBB69_18:                              ;   in Loop: Header=BB69_4 Depth=1
	v_add_co_u32 v27, vcc_lo, v13, s12
	v_add_co_ci_u32_e32 v28, vcc_lo, s13, v14, vcc_lo
	s_waitcnt vmcnt(0)
	global_store_b8 v[27:28], v26, off
	s_or_b32 exec_lo, exec_lo, s2
	s_and_saveexec_b32 s2, s4
	s_cbranch_execz .LBB69_3
.LBB69_19:                              ;   in Loop: Header=BB69_4 Depth=1
	s_waitcnt vmcnt(0)
	v_add_co_u32 v25, vcc_lo, v7, s12
	v_add_co_ci_u32_e32 v26, vcc_lo, s13, v8, vcc_lo
	global_store_b8 v[25:26], v24, off
	s_branch .LBB69_3
.LBB69_20:
	s_mov_b32 s10, 0
.LBB69_21:
	s_delay_alu instid0(SALU_CYCLE_1)
	s_and_not1_b32 vcc_lo, exec_lo, s10
	s_cbranch_vccnz .LBB69_25
; %bb.22:
	v_dual_mov_b32 v1, 0 :: v_dual_lshlrev_b32 v0, 2, v0
	s_mov_b32 s2, exec_lo
	s_delay_alu instid0(VALU_DEP_1)
	v_cmpx_gt_i64_e64 s[8:9], v[0:1]
	s_cbranch_execz .LBB69_25
; %bb.23:
	s_load_b32 s0, s[0:1], 0xc94
	s_mov_b32 s2, 0
	s_waitcnt lgkmcnt(0)
	s_and_b32 s0, s0, 0xffff
	s_delay_alu instid0(SALU_CYCLE_1)
	s_lshl_b32 s1, s0, 2
	.p2align	6
.LBB69_24:                              ; =>This Inner Loop Header: Depth=1
	v_add_co_u32 v2, vcc_lo, s6, v0
	v_add_co_ci_u32_e32 v3, vcc_lo, s7, v1, vcc_lo
	global_load_b32 v4, v[2:3], off
	v_add_co_u32 v2, vcc_lo, s14, v0
	v_add_co_ci_u32_e32 v3, vcc_lo, s15, v1, vcc_lo
	v_add_co_u32 v0, vcc_lo, s1, v0
	v_add_co_ci_u32_e32 v1, vcc_lo, 0, v1, vcc_lo
	s_delay_alu instid0(VALU_DEP_1) | instskip(SKIP_1) | instid1(VALU_DEP_1)
	v_cmp_le_i64_e32 vcc_lo, s[8:9], v[0:1]
	v_cmp_lt_u64_e64 s0, 0xffff, v[0:1]
	s_or_b32 s0, vcc_lo, s0
	s_delay_alu instid0(SALU_CYCLE_1) | instskip(NEXT) | instid1(SALU_CYCLE_1)
	s_and_b32 s0, exec_lo, s0
	s_or_b32 s2, s0, s2
	s_waitcnt vmcnt(0)
	global_store_b32 v[2:3], v4, off
	s_and_not1_b32 exec_lo, exec_lo, s2
	s_cbranch_execnz .LBB69_24
.LBB69_25:
	s_nop 0
	s_sendmsg sendmsg(MSG_DEALLOC_VGPRS)
	s_endpgm
	.section	.rodata,"a",@progbits
	.p2align	6, 0x0
	.amdhsa_kernel _ZN2at6native12_GLOBAL__N_125multi_tensor_apply_kernelINS1_28TensorListScalarListMetadataIbLi2EEENS1_25BinaryOpScalarListFunctorIbLi2ELi1ELi1EEEJSt7dividesIbEEEEvT_T0_DpT1_
		.amdhsa_group_segment_fixed_size 0
		.amdhsa_private_segment_fixed_size 0
		.amdhsa_kernarg_size 3464
		.amdhsa_user_sgpr_count 15
		.amdhsa_user_sgpr_dispatch_ptr 0
		.amdhsa_user_sgpr_queue_ptr 0
		.amdhsa_user_sgpr_kernarg_segment_ptr 1
		.amdhsa_user_sgpr_dispatch_id 0
		.amdhsa_user_sgpr_private_segment_size 0
		.amdhsa_wavefront_size32 1
		.amdhsa_uses_dynamic_stack 0
		.amdhsa_enable_private_segment 0
		.amdhsa_system_sgpr_workgroup_id_x 1
		.amdhsa_system_sgpr_workgroup_id_y 0
		.amdhsa_system_sgpr_workgroup_id_z 0
		.amdhsa_system_sgpr_workgroup_info 0
		.amdhsa_system_vgpr_workitem_id 0
		.amdhsa_next_free_vgpr 29
		.amdhsa_next_free_sgpr 22
		.amdhsa_reserve_vcc 1
		.amdhsa_float_round_mode_32 0
		.amdhsa_float_round_mode_16_64 0
		.amdhsa_float_denorm_mode_32 3
		.amdhsa_float_denorm_mode_16_64 3
		.amdhsa_dx10_clamp 1
		.amdhsa_ieee_mode 1
		.amdhsa_fp16_overflow 0
		.amdhsa_workgroup_processor_mode 1
		.amdhsa_memory_ordered 1
		.amdhsa_forward_progress 0
		.amdhsa_shared_vgpr_count 0
		.amdhsa_exception_fp_ieee_invalid_op 0
		.amdhsa_exception_fp_denorm_src 0
		.amdhsa_exception_fp_ieee_div_zero 0
		.amdhsa_exception_fp_ieee_overflow 0
		.amdhsa_exception_fp_ieee_underflow 0
		.amdhsa_exception_fp_ieee_inexact 0
		.amdhsa_exception_int_div_zero 0
	.end_amdhsa_kernel
	.section	.text._ZN2at6native12_GLOBAL__N_125multi_tensor_apply_kernelINS1_28TensorListScalarListMetadataIbLi2EEENS1_25BinaryOpScalarListFunctorIbLi2ELi1ELi1EEEJSt7dividesIbEEEEvT_T0_DpT1_,"axG",@progbits,_ZN2at6native12_GLOBAL__N_125multi_tensor_apply_kernelINS1_28TensorListScalarListMetadataIbLi2EEENS1_25BinaryOpScalarListFunctorIbLi2ELi1ELi1EEEJSt7dividesIbEEEEvT_T0_DpT1_,comdat
.Lfunc_end69:
	.size	_ZN2at6native12_GLOBAL__N_125multi_tensor_apply_kernelINS1_28TensorListScalarListMetadataIbLi2EEENS1_25BinaryOpScalarListFunctorIbLi2ELi1ELi1EEEJSt7dividesIbEEEEvT_T0_DpT1_, .Lfunc_end69-_ZN2at6native12_GLOBAL__N_125multi_tensor_apply_kernelINS1_28TensorListScalarListMetadataIbLi2EEENS1_25BinaryOpScalarListFunctorIbLi2ELi1ELi1EEEJSt7dividesIbEEEEvT_T0_DpT1_
                                        ; -- End function
	.section	.AMDGPU.csdata,"",@progbits
; Kernel info:
; codeLenInByte = 1220
; NumSgprs: 24
; NumVgprs: 29
; ScratchSize: 0
; MemoryBound: 0
; FloatMode: 240
; IeeeMode: 1
; LDSByteSize: 0 bytes/workgroup (compile time only)
; SGPRBlocks: 2
; VGPRBlocks: 3
; NumSGPRsForWavesPerEU: 24
; NumVGPRsForWavesPerEU: 29
; Occupancy: 16
; WaveLimiterHint : 0
; COMPUTE_PGM_RSRC2:SCRATCH_EN: 0
; COMPUTE_PGM_RSRC2:USER_SGPR: 15
; COMPUTE_PGM_RSRC2:TRAP_HANDLER: 0
; COMPUTE_PGM_RSRC2:TGID_X_EN: 1
; COMPUTE_PGM_RSRC2:TGID_Y_EN: 0
; COMPUTE_PGM_RSRC2:TGID_Z_EN: 0
; COMPUTE_PGM_RSRC2:TIDIG_COMP_CNT: 0
	.section	.text._ZN2at6native12_GLOBAL__N_125multi_tensor_apply_kernelINS1_28TensorListScalarListMetadataIfLi2EEENS1_25BinaryOpScalarListFunctorIN3c104HalfELi2ELi1ELi1EEEJSt7dividesIfEEEEvT_T0_DpT1_,"axG",@progbits,_ZN2at6native12_GLOBAL__N_125multi_tensor_apply_kernelINS1_28TensorListScalarListMetadataIfLi2EEENS1_25BinaryOpScalarListFunctorIN3c104HalfELi2ELi1ELi1EEEJSt7dividesIfEEEEvT_T0_DpT1_,comdat
	.globl	_ZN2at6native12_GLOBAL__N_125multi_tensor_apply_kernelINS1_28TensorListScalarListMetadataIfLi2EEENS1_25BinaryOpScalarListFunctorIN3c104HalfELi2ELi1ELi1EEEJSt7dividesIfEEEEvT_T0_DpT1_ ; -- Begin function _ZN2at6native12_GLOBAL__N_125multi_tensor_apply_kernelINS1_28TensorListScalarListMetadataIfLi2EEENS1_25BinaryOpScalarListFunctorIN3c104HalfELi2ELi1ELi1EEEJSt7dividesIfEEEEvT_T0_DpT1_
	.p2align	8
	.type	_ZN2at6native12_GLOBAL__N_125multi_tensor_apply_kernelINS1_28TensorListScalarListMetadataIfLi2EEENS1_25BinaryOpScalarListFunctorIN3c104HalfELi2ELi1ELi1EEEJSt7dividesIfEEEEvT_T0_DpT1_,@function
_ZN2at6native12_GLOBAL__N_125multi_tensor_apply_kernelINS1_28TensorListScalarListMetadataIfLi2EEENS1_25BinaryOpScalarListFunctorIN3c104HalfELi2ELi1ELi1EEEJSt7dividesIfEEEEvT_T0_DpT1_: ; @_ZN2at6native12_GLOBAL__N_125multi_tensor_apply_kernelINS1_28TensorListScalarListMetadataIfLi2EEENS1_25BinaryOpScalarListFunctorIN3c104HalfELi2ELi1ELi1EEEJSt7dividesIfEEEEvT_T0_DpT1_
; %bb.0:
	v_mov_b32_e32 v1, s15
	s_add_u32 s2, s0, s15
	s_mul_hi_u32 s3, s15, 3
	s_mul_i32 s15, s15, 3
	s_addc_u32 s4, s1, 0
	global_load_u8 v1, v1, s[0:1] offset:1792
	s_add_u32 s2, s2, s15
	s_addc_u32 s3, s4, s3
	s_mov_b32 s15, 0
	s_load_b32 s2, s[2:3], 0x840
	s_waitcnt vmcnt(0)
	v_readfirstlane_b32 s3, v1
	v_lshlrev_b32_e32 v1, 2, v1
	s_delay_alu instid0(VALU_DEP_2)
	s_lshl_b32 s8, s3, 3
	s_waitcnt lgkmcnt(0)
	s_ashr_i32 s3, s2, 31
	s_add_u32 s9, s0, s8
	s_addc_u32 s10, s1, 0
	v_sub_co_u32 v1, s9, s9, v1
	s_delay_alu instid0(VALU_DEP_1)
	v_sub_co_ci_u32_e64 v2, null, s10, 0, s9
	s_clause 0x2
	s_load_b64 s[4:5], s[0:1], s8 offset:0x400
	s_load_b64 s[6:7], s[0:1], s8 offset:0x0
	;; [unrolled: 1-line block ×3, first 2 shown]
	v_readfirstlane_b32 s10, v1
	v_readfirstlane_b32 s11, v2
	s_lshl_b64 s[12:13], s[2:3], 17
	s_lshl_b64 s[2:3], s[2:3], 16
	s_load_b32 s18, s[10:11], 0x600
	s_waitcnt lgkmcnt(0)
	s_and_b32 s11, s4, 3
	s_and_b32 s10, s6, 7
	;; [unrolled: 1-line block ×3, first 2 shown]
	s_or_b32 s10, s10, s11
	s_delay_alu instid0(SALU_CYCLE_1)
	s_or_b32 s14, s14, s10
	s_sub_u32 s10, s4, s2
	s_subb_u32 s11, s5, s3
	s_cmp_eq_u64 s[14:15], 0
	s_mov_b32 s2, -1
	s_cbranch_scc1 .LBB70_21
; %bb.1:
	v_cmp_lt_i64_e64 s2, s[10:11], 1
	s_delay_alu instid0(VALU_DEP_1)
	s_and_b32 vcc_lo, exec_lo, s2
	s_cbranch_vccnz .LBB70_20
; %bb.2:
	s_load_b32 s2, s[0:1], 0xd54
	v_dual_mov_b32 v10, 0 :: v_dual_lshlrev_b32 v9, 1, v0
	v_cmp_gt_u64_e64 s3, 0x10000, s[10:11]
	s_mov_b64 s[16:17], 0
	s_delay_alu instid0(VALU_DEP_2) | instskip(NEXT) | instid1(VALU_DEP_1)
	v_add_co_u32 v1, s4, s6, v9
	v_add_co_ci_u32_e64 v2, null, s7, 0, s4
	v_add_co_u32 v3, s4, s8, v9
	s_delay_alu instid0(VALU_DEP_1)
	v_add_co_ci_u32_e64 v4, null, s9, 0, s4
	s_waitcnt lgkmcnt(0)
	s_and_b32 s2, s2, 0xffff
	s_and_b32 s3, s3, exec_lo
	v_mad_u64_u32 v[7:8], null, s2, 6, v[9:10]
	s_cselect_b32 s15, s11, 0
	s_cselect_b32 s14, s10, 0x10000
	s_mul_i32 s4, s2, 3
	s_lshl_b32 s19, s2, 2
	s_lshl_b32 s3, s2, 1
	v_add_co_u32 v14, s5, s19, v9
	v_add_co_u32 v9, s4, s4, v0
	s_delay_alu instid0(VALU_DEP_1) | instskip(SKIP_3) | instid1(VALU_DEP_3)
	v_add_co_ci_u32_e64 v10, null, 0, 0, s4
	v_add_co_u32 v13, s4, v0, s2
	v_add_co_u32 v5, vcc_lo, s6, v7
	v_add_co_ci_u32_e32 v6, vcc_lo, s7, v8, vcc_lo
	v_lshlrev_b32_e32 v21, 1, v13
	v_add_co_u32 v7, vcc_lo, s8, v7
	v_add_co_ci_u32_e64 v15, null, 0, 0, s5
	v_add_co_ci_u32_e32 v8, vcc_lo, s9, v8, vcc_lo
	v_add_co_u32 v17, s3, s3, v0
	v_add_co_u32 v11, vcc_lo, s6, v14
	v_add_co_ci_u32_e64 v18, null, 0, 0, s3
	v_add_co_u32 v19, s3, s6, v21
	v_add_co_ci_u32_e32 v12, vcc_lo, s7, v15, vcc_lo
	v_add_co_u32 v14, vcc_lo, s8, v14
	v_add_co_ci_u32_e64 v20, null, s7, 0, s3
	v_add_co_u32 v21, s3, s8, v21
	v_add_co_ci_u32_e32 v15, vcc_lo, s9, v15, vcc_lo
	v_add_co_ci_u32_e64 v16, null, 0, 0, s4
	v_add_co_ci_u32_e64 v22, null, s9, 0, s3
	s_lshl_b32 s20, s2, 3
	s_branch .LBB70_4
.LBB70_3:                               ;   in Loop: Header=BB70_4 Depth=1
	s_or_b32 exec_lo, exec_lo, s3
	v_add_co_u32 v1, vcc_lo, v1, s20
	v_add_co_ci_u32_e32 v2, vcc_lo, 0, v2, vcc_lo
	v_add_co_u32 v3, vcc_lo, v3, s20
	v_add_co_ci_u32_e32 v4, vcc_lo, 0, v4, vcc_lo
	;; [unrolled: 2-line block ×5, first 2 shown]
	s_add_u32 s16, s16, s19
	v_add_co_u32 v14, vcc_lo, v14, s20
	s_addc_u32 s17, s17, 0
	v_add_co_ci_u32_e32 v15, vcc_lo, 0, v15, vcc_lo
	v_cmp_lt_i64_e64 s2, s[16:17], s[10:11]
	v_cmp_gt_u64_e64 s3, 0x10000, s[16:17]
	v_add_co_u32 v19, vcc_lo, v19, s20
	v_add_co_ci_u32_e32 v20, vcc_lo, 0, v20, vcc_lo
	v_add_co_u32 v21, vcc_lo, v21, s20
	v_add_co_ci_u32_e32 v22, vcc_lo, 0, v22, vcc_lo
	s_and_b32 s2, s2, s3
	s_delay_alu instid0(SALU_CYCLE_1)
	s_and_b32 vcc_lo, exec_lo, s2
	s_cbranch_vccz .LBB70_20
.LBB70_4:                               ; =>This Inner Loop Header: Depth=1
	s_waitcnt vmcnt(0)
	v_add_co_u32 v23, s2, v0, s16
	s_delay_alu instid0(VALU_DEP_1) | instskip(SKIP_1) | instid1(VALU_DEP_2)
	v_add_co_ci_u32_e64 v24, null, 0, s17, s2
	v_mov_b32_e32 v26, 0
	v_cmp_gt_u64_e32 vcc_lo, s[14:15], v[23:24]
	s_and_saveexec_b32 s3, vcc_lo
	s_cbranch_execz .LBB70_6
; %bb.5:                                ;   in Loop: Header=BB70_4 Depth=1
	v_add_co_u32 v23, s2, v1, s12
	s_delay_alu instid0(VALU_DEP_1)
	v_add_co_ci_u32_e64 v24, s2, s13, v2, s2
	global_load_u16 v26, v[23:24], off
.LBB70_6:                               ;   in Loop: Header=BB70_4 Depth=1
	s_or_b32 exec_lo, exec_lo, s3
	v_add_co_u32 v23, s2, v13, s16
	s_delay_alu instid0(VALU_DEP_1) | instskip(SKIP_1) | instid1(VALU_DEP_2)
	v_add_co_ci_u32_e64 v24, s2, s17, v16, s2
	v_mov_b32_e32 v25, 0
	v_cmp_gt_u64_e64 s4, s[14:15], v[23:24]
	s_delay_alu instid0(VALU_DEP_1)
	s_and_saveexec_b32 s3, s4
	s_cbranch_execz .LBB70_8
; %bb.7:                                ;   in Loop: Header=BB70_4 Depth=1
	v_add_co_u32 v23, s2, v19, s12
	s_delay_alu instid0(VALU_DEP_1)
	v_add_co_ci_u32_e64 v24, s2, s13, v20, s2
	global_load_u16 v25, v[23:24], off
.LBB70_8:                               ;   in Loop: Header=BB70_4 Depth=1
	s_or_b32 exec_lo, exec_lo, s3
	v_add_co_u32 v23, s2, v17, s16
	s_delay_alu instid0(VALU_DEP_1) | instskip(NEXT) | instid1(VALU_DEP_1)
	v_add_co_ci_u32_e64 v24, s2, s17, v18, s2
	v_cmp_gt_u64_e64 s3, s[14:15], v[23:24]
	v_dual_mov_b32 v23, 0 :: v_dual_mov_b32 v24, 0
	s_delay_alu instid0(VALU_DEP_2)
	s_and_saveexec_b32 s5, s3
	s_cbranch_execz .LBB70_10
; %bb.9:                                ;   in Loop: Header=BB70_4 Depth=1
	v_add_co_u32 v27, s2, v11, s12
	s_delay_alu instid0(VALU_DEP_1)
	v_add_co_ci_u32_e64 v28, s2, s13, v12, s2
	global_load_u16 v24, v[27:28], off
.LBB70_10:                              ;   in Loop: Header=BB70_4 Depth=1
	s_or_b32 exec_lo, exec_lo, s5
	v_add_co_u32 v27, s2, v9, s16
	s_delay_alu instid0(VALU_DEP_1) | instskip(NEXT) | instid1(VALU_DEP_1)
	v_add_co_ci_u32_e64 v28, s2, s17, v10, s2
	v_cmp_gt_u64_e64 s2, s[14:15], v[27:28]
	s_delay_alu instid0(VALU_DEP_1)
	s_and_saveexec_b32 s21, s2
	s_cbranch_execnz .LBB70_15
; %bb.11:                               ;   in Loop: Header=BB70_4 Depth=1
	s_or_b32 exec_lo, exec_lo, s21
	s_and_saveexec_b32 s5, vcc_lo
	s_cbranch_execnz .LBB70_16
.LBB70_12:                              ;   in Loop: Header=BB70_4 Depth=1
	s_or_b32 exec_lo, exec_lo, s5
	s_and_saveexec_b32 s5, s4
	s_cbranch_execnz .LBB70_17
.LBB70_13:                              ;   in Loop: Header=BB70_4 Depth=1
	s_or_b32 exec_lo, exec_lo, s5
	s_and_saveexec_b32 s4, s3
	s_cbranch_execnz .LBB70_18
.LBB70_14:                              ;   in Loop: Header=BB70_4 Depth=1
	s_or_b32 exec_lo, exec_lo, s4
	s_and_saveexec_b32 s3, s2
	s_cbranch_execz .LBB70_3
	s_branch .LBB70_19
.LBB70_15:                              ;   in Loop: Header=BB70_4 Depth=1
	v_add_co_u32 v27, s5, v5, s12
	s_delay_alu instid0(VALU_DEP_1)
	v_add_co_ci_u32_e64 v28, s5, s13, v6, s5
	global_load_u16 v23, v[27:28], off
	s_or_b32 exec_lo, exec_lo, s21
	s_and_saveexec_b32 s5, vcc_lo
	s_cbranch_execz .LBB70_12
.LBB70_16:                              ;   in Loop: Header=BB70_4 Depth=1
	s_waitcnt vmcnt(0)
	v_cvt_f32_f16_e32 v26, v26
	s_delay_alu instid0(VALU_DEP_1) | instskip(NEXT) | instid1(VALU_DEP_1)
	v_div_scale_f32 v27, null, s18, s18, v26
	v_rcp_f32_e32 v28, v27
	s_waitcnt_depctr 0xfff
	v_fma_f32 v29, -v27, v28, 1.0
	s_delay_alu instid0(VALU_DEP_1) | instskip(SKIP_1) | instid1(VALU_DEP_1)
	v_fmac_f32_e32 v28, v29, v28
	v_div_scale_f32 v29, vcc_lo, v26, s18, v26
	v_mul_f32_e32 v30, v29, v28
	s_delay_alu instid0(VALU_DEP_1) | instskip(NEXT) | instid1(VALU_DEP_1)
	v_fma_f32 v31, -v27, v30, v29
	v_fmac_f32_e32 v30, v31, v28
	s_delay_alu instid0(VALU_DEP_1) | instskip(NEXT) | instid1(VALU_DEP_1)
	v_fma_f32 v27, -v27, v30, v29
	v_div_fmas_f32 v27, v27, v28, v30
	s_delay_alu instid0(VALU_DEP_1) | instskip(SKIP_2) | instid1(VALU_DEP_3)
	v_div_fixup_f32 v28, v27, s18, v26
	v_add_co_u32 v26, vcc_lo, v3, s12
	v_add_co_ci_u32_e32 v27, vcc_lo, s13, v4, vcc_lo
	v_cvt_f16_f32_e32 v28, v28
	global_store_b16 v[26:27], v28, off
	s_or_b32 exec_lo, exec_lo, s5
	s_and_saveexec_b32 s5, s4
	s_cbranch_execz .LBB70_13
.LBB70_17:                              ;   in Loop: Header=BB70_4 Depth=1
	s_waitcnt vmcnt(0)
	v_cvt_f32_f16_e32 v25, v25
	s_delay_alu instid0(VALU_DEP_1) | instskip(SKIP_1) | instid1(VALU_DEP_2)
	v_div_scale_f32 v26, null, s18, s18, v25
	v_div_scale_f32 v29, vcc_lo, v25, s18, v25
	v_rcp_f32_e32 v27, v26
	s_waitcnt_depctr 0xfff
	v_fma_f32 v28, -v26, v27, 1.0
	s_delay_alu instid0(VALU_DEP_1) | instskip(NEXT) | instid1(VALU_DEP_1)
	v_fmac_f32_e32 v27, v28, v27
	v_mul_f32_e32 v28, v29, v27
	s_delay_alu instid0(VALU_DEP_1) | instskip(NEXT) | instid1(VALU_DEP_1)
	v_fma_f32 v30, -v26, v28, v29
	v_fmac_f32_e32 v28, v30, v27
	s_delay_alu instid0(VALU_DEP_1) | instskip(NEXT) | instid1(VALU_DEP_1)
	v_fma_f32 v26, -v26, v28, v29
	v_div_fmas_f32 v26, v26, v27, v28
	s_delay_alu instid0(VALU_DEP_1) | instskip(NEXT) | instid1(VALU_DEP_1)
	v_div_fixup_f32 v25, v26, s18, v25
	v_cvt_f16_f32_e32 v27, v25
	v_add_co_u32 v25, vcc_lo, v21, s12
	v_add_co_ci_u32_e32 v26, vcc_lo, s13, v22, vcc_lo
	global_store_b16 v[25:26], v27, off
	s_or_b32 exec_lo, exec_lo, s5
	s_and_saveexec_b32 s4, s3
	s_cbranch_execz .LBB70_14
.LBB70_18:                              ;   in Loop: Header=BB70_4 Depth=1
	s_waitcnt vmcnt(0)
	v_cvt_f32_f16_e32 v24, v24
	s_delay_alu instid0(VALU_DEP_1) | instskip(SKIP_1) | instid1(VALU_DEP_2)
	v_div_scale_f32 v25, null, s18, s18, v24
	v_div_scale_f32 v28, vcc_lo, v24, s18, v24
	v_rcp_f32_e32 v26, v25
	s_waitcnt_depctr 0xfff
	v_fma_f32 v27, -v25, v26, 1.0
	s_delay_alu instid0(VALU_DEP_1) | instskip(NEXT) | instid1(VALU_DEP_1)
	v_fmac_f32_e32 v26, v27, v26
	v_mul_f32_e32 v27, v28, v26
	s_delay_alu instid0(VALU_DEP_1) | instskip(NEXT) | instid1(VALU_DEP_1)
	v_fma_f32 v29, -v25, v27, v28
	v_fmac_f32_e32 v27, v29, v26
	s_delay_alu instid0(VALU_DEP_1) | instskip(NEXT) | instid1(VALU_DEP_1)
	v_fma_f32 v25, -v25, v27, v28
	v_div_fmas_f32 v25, v25, v26, v27
	s_delay_alu instid0(VALU_DEP_1) | instskip(NEXT) | instid1(VALU_DEP_1)
	v_div_fixup_f32 v24, v25, s18, v24
	v_cvt_f16_f32_e32 v26, v24
	v_add_co_u32 v24, vcc_lo, v14, s12
	v_add_co_ci_u32_e32 v25, vcc_lo, s13, v15, vcc_lo
	global_store_b16 v[24:25], v26, off
	s_or_b32 exec_lo, exec_lo, s4
	s_and_saveexec_b32 s3, s2
	s_cbranch_execz .LBB70_3
.LBB70_19:                              ;   in Loop: Header=BB70_4 Depth=1
	s_waitcnt vmcnt(0)
	v_cvt_f32_f16_e32 v23, v23
	s_delay_alu instid0(VALU_DEP_1) | instskip(SKIP_1) | instid1(VALU_DEP_2)
	v_div_scale_f32 v24, null, s18, s18, v23
	v_div_scale_f32 v27, vcc_lo, v23, s18, v23
	v_rcp_f32_e32 v25, v24
	s_waitcnt_depctr 0xfff
	v_fma_f32 v26, -v24, v25, 1.0
	s_delay_alu instid0(VALU_DEP_1) | instskip(NEXT) | instid1(VALU_DEP_1)
	v_fmac_f32_e32 v25, v26, v25
	v_mul_f32_e32 v26, v27, v25
	s_delay_alu instid0(VALU_DEP_1) | instskip(NEXT) | instid1(VALU_DEP_1)
	v_fma_f32 v28, -v24, v26, v27
	v_fmac_f32_e32 v26, v28, v25
	s_delay_alu instid0(VALU_DEP_1) | instskip(NEXT) | instid1(VALU_DEP_1)
	v_fma_f32 v24, -v24, v26, v27
	v_div_fmas_f32 v24, v24, v25, v26
	s_delay_alu instid0(VALU_DEP_1) | instskip(NEXT) | instid1(VALU_DEP_1)
	v_div_fixup_f32 v23, v24, s18, v23
	v_cvt_f16_f32_e32 v25, v23
	v_add_co_u32 v23, vcc_lo, v7, s12
	v_add_co_ci_u32_e32 v24, vcc_lo, s13, v8, vcc_lo
	global_store_b16 v[23:24], v25, off
	s_branch .LBB70_3
.LBB70_20:
	s_mov_b32 s2, 0
.LBB70_21:
	s_delay_alu instid0(SALU_CYCLE_1)
	s_and_not1_b32 vcc_lo, exec_lo, s2
	s_cbranch_vccnz .LBB70_25
; %bb.22:
	v_dual_mov_b32 v2, 0 :: v_dual_lshlrev_b32 v1, 2, v0
	s_mov_b32 s5, 0
	s_mov_b32 s2, exec_lo
	s_delay_alu instid0(VALU_DEP_1)
	v_cmpx_gt_i64_e64 s[10:11], v[1:2]
	s_cbranch_execz .LBB70_25
; %bb.23:
	s_load_b32 s0, s[0:1], 0xd54
	v_lshlrev_b32_e32 v1, 3, v0
	s_delay_alu instid0(VALU_DEP_1) | instskip(NEXT) | instid1(VALU_DEP_1)
	v_add_co_u32 v3, s1, s12, v1
	v_add_co_ci_u32_e64 v4, null, s13, 0, s1
	s_mov_b32 s12, s18
	s_waitcnt lgkmcnt(0)
	s_and_b32 s0, s0, 0xffff
	s_delay_alu instid0(SALU_CYCLE_1)
	v_add_lshl_u32 v1, v0, s0, 2
	s_lshl_b32 s13, s0, 3
	s_lshl_b32 s14, s0, 2
.LBB70_24:                              ; =>This Inner Loop Header: Depth=1
	v_add_co_u32 v5, vcc_lo, s6, v3
	v_add_co_ci_u32_e32 v6, vcc_lo, s7, v4, vcc_lo
	v_add_co_u32 v7, vcc_lo, s8, v3
	v_add_co_ci_u32_e32 v8, vcc_lo, s9, v4, vcc_lo
	global_load_b64 v[5:6], v[5:6], off
	v_add_co_u32 v3, vcc_lo, v3, s13
	v_add_co_ci_u32_e32 v4, vcc_lo, 0, v4, vcc_lo
	v_cmp_le_i64_e64 s0, s[10:11], v[1:2]
	v_cmp_lt_u64_e64 s1, 0xffff, v[1:2]
	s_delay_alu instid0(VALU_DEP_1) | instskip(NEXT) | instid1(SALU_CYCLE_1)
	s_or_b32 s0, s0, s1
	s_and_b32 s0, exec_lo, s0
	s_delay_alu instid0(SALU_CYCLE_1)
	s_or_b32 s5, s0, s5
	s_waitcnt vmcnt(0)
	v_lshrrev_b32_e32 v0, 16, v5
	v_lshrrev_b32_e32 v9, 16, v6
	v_cvt_f32_f16_e32 v5, v5
	v_cvt_f32_f16_e32 v6, v6
	s_delay_alu instid0(VALU_DEP_4) | instskip(NEXT) | instid1(VALU_DEP_4)
	v_cvt_f32_f16_e32 v0, v0
	v_cvt_f32_f16_e32 v9, v9
	s_delay_alu instid0(VALU_DEP_4) | instskip(NEXT) | instid1(VALU_DEP_4)
	v_div_scale_f32 v10, null, s18, s18, v5
	v_div_scale_f32 v12, null, s18, s18, v6
	s_delay_alu instid0(VALU_DEP_4) | instskip(NEXT) | instid1(VALU_DEP_4)
	v_div_scale_f32 v14, null, s12, s12, v0
	v_div_scale_f32 v17, null, s12, s12, v9
	s_delay_alu instid0(VALU_DEP_4) | instskip(NEXT) | instid1(VALU_DEP_3)
	v_rcp_f32_e32 v16, v10
	v_rcp_f32_e32 v19, v12
	s_delay_alu instid0(VALU_DEP_2) | instskip(NEXT) | instid1(VALU_DEP_1)
	v_rcp_f32_e32 v20, v14
	v_rcp_f32_e32 v21, v17
	v_div_scale_f32 v11, s2, v5, s18, v5
	v_div_scale_f32 v13, s3, v6, s18, v6
	v_div_scale_f32 v15, vcc_lo, v0, s12, v0
	v_fma_f32 v22, -v10, v16, 1.0
	s_delay_alu instid0(TRANS32_DEP_3) | instskip(NEXT) | instid1(TRANS32_DEP_2)
	v_fma_f32 v23, -v12, v19, 1.0
	v_fma_f32 v24, -v14, v20, 1.0
	s_delay_alu instid0(TRANS32_DEP_1) | instskip(SKIP_1) | instid1(VALU_DEP_4)
	v_fma_f32 v25, -v17, v21, 1.0
	v_div_scale_f32 v18, s4, v9, s12, v9
	v_dual_fmac_f32 v16, v22, v16 :: v_dual_fmac_f32 v19, v23, v19
	s_delay_alu instid0(VALU_DEP_3) | instskip(NEXT) | instid1(VALU_DEP_2)
	v_dual_fmac_f32 v20, v24, v20 :: v_dual_fmac_f32 v21, v25, v21
	v_dual_mul_f32 v22, v11, v16 :: v_dual_mul_f32 v23, v13, v19
	s_delay_alu instid0(VALU_DEP_2) | instskip(NEXT) | instid1(VALU_DEP_2)
	v_dual_mul_f32 v24, v15, v20 :: v_dual_mul_f32 v25, v18, v21
	v_fma_f32 v26, -v10, v22, v11
	s_delay_alu instid0(VALU_DEP_3) | instskip(NEXT) | instid1(VALU_DEP_3)
	v_fma_f32 v27, -v12, v23, v13
	v_fma_f32 v28, -v14, v24, v15
	s_delay_alu instid0(VALU_DEP_4) | instskip(NEXT) | instid1(VALU_DEP_3)
	v_fma_f32 v29, -v17, v25, v18
	v_dual_fmac_f32 v22, v26, v16 :: v_dual_fmac_f32 v23, v27, v19
	s_delay_alu instid0(VALU_DEP_2) | instskip(NEXT) | instid1(VALU_DEP_2)
	v_dual_fmac_f32 v24, v28, v20 :: v_dual_fmac_f32 v25, v29, v21
	v_fma_f32 v10, -v10, v22, v11
	s_delay_alu instid0(VALU_DEP_3) | instskip(NEXT) | instid1(VALU_DEP_3)
	v_fma_f32 v11, -v12, v23, v13
	v_fma_f32 v12, -v14, v24, v15
	s_delay_alu instid0(VALU_DEP_4) | instskip(NEXT) | instid1(VALU_DEP_2)
	v_fma_f32 v13, -v17, v25, v18
	v_div_fmas_f32 v12, v12, v20, v24
	s_mov_b32 vcc_lo, s2
	v_div_fmas_f32 v10, v10, v16, v22
	s_mov_b32 vcc_lo, s4
	s_delay_alu instid0(VALU_DEP_2)
	v_div_fixup_f32 v0, v12, s12, v0
	v_div_fmas_f32 v13, v13, v21, v25
	s_mov_b32 vcc_lo, s3
	v_div_fixup_f32 v5, v10, s18, v5
	v_div_fmas_f32 v11, v11, v19, v23
	v_cvt_f16_f32_e32 v0, v0
	v_div_fixup_f32 v9, v13, s12, v9
	v_add_co_u32 v1, vcc_lo, v1, s14
	s_delay_alu instid0(VALU_DEP_4) | instskip(SKIP_1) | instid1(VALU_DEP_4)
	v_div_fixup_f32 v6, v11, s18, v6
	v_cvt_f16_f32_e32 v5, v5
	v_cvt_f16_f32_e32 v9, v9
	v_add_co_ci_u32_e32 v2, vcc_lo, 0, v2, vcc_lo
	s_delay_alu instid0(VALU_DEP_4) | instskip(NEXT) | instid1(VALU_DEP_4)
	v_cvt_f16_f32_e32 v6, v6
	v_pack_b32_f16 v5, v5, v0
	s_delay_alu instid0(VALU_DEP_2)
	v_pack_b32_f16 v6, v6, v9
	global_store_b64 v[7:8], v[5:6], off
	s_and_not1_b32 exec_lo, exec_lo, s5
	s_cbranch_execnz .LBB70_24
.LBB70_25:
	s_nop 0
	s_sendmsg sendmsg(MSG_DEALLOC_VGPRS)
	s_endpgm
	.section	.rodata,"a",@progbits
	.p2align	6, 0x0
	.amdhsa_kernel _ZN2at6native12_GLOBAL__N_125multi_tensor_apply_kernelINS1_28TensorListScalarListMetadataIfLi2EEENS1_25BinaryOpScalarListFunctorIN3c104HalfELi2ELi1ELi1EEEJSt7dividesIfEEEEvT_T0_DpT1_
		.amdhsa_group_segment_fixed_size 0
		.amdhsa_private_segment_fixed_size 0
		.amdhsa_kernarg_size 3656
		.amdhsa_user_sgpr_count 15
		.amdhsa_user_sgpr_dispatch_ptr 0
		.amdhsa_user_sgpr_queue_ptr 0
		.amdhsa_user_sgpr_kernarg_segment_ptr 1
		.amdhsa_user_sgpr_dispatch_id 0
		.amdhsa_user_sgpr_private_segment_size 0
		.amdhsa_wavefront_size32 1
		.amdhsa_uses_dynamic_stack 0
		.amdhsa_enable_private_segment 0
		.amdhsa_system_sgpr_workgroup_id_x 1
		.amdhsa_system_sgpr_workgroup_id_y 0
		.amdhsa_system_sgpr_workgroup_id_z 0
		.amdhsa_system_sgpr_workgroup_info 0
		.amdhsa_system_vgpr_workitem_id 0
		.amdhsa_next_free_vgpr 32
		.amdhsa_next_free_sgpr 22
		.amdhsa_reserve_vcc 1
		.amdhsa_float_round_mode_32 0
		.amdhsa_float_round_mode_16_64 0
		.amdhsa_float_denorm_mode_32 3
		.amdhsa_float_denorm_mode_16_64 3
		.amdhsa_dx10_clamp 1
		.amdhsa_ieee_mode 1
		.amdhsa_fp16_overflow 0
		.amdhsa_workgroup_processor_mode 1
		.amdhsa_memory_ordered 1
		.amdhsa_forward_progress 0
		.amdhsa_shared_vgpr_count 0
		.amdhsa_exception_fp_ieee_invalid_op 0
		.amdhsa_exception_fp_denorm_src 0
		.amdhsa_exception_fp_ieee_div_zero 0
		.amdhsa_exception_fp_ieee_overflow 0
		.amdhsa_exception_fp_ieee_underflow 0
		.amdhsa_exception_fp_ieee_inexact 0
		.amdhsa_exception_int_div_zero 0
	.end_amdhsa_kernel
	.section	.text._ZN2at6native12_GLOBAL__N_125multi_tensor_apply_kernelINS1_28TensorListScalarListMetadataIfLi2EEENS1_25BinaryOpScalarListFunctorIN3c104HalfELi2ELi1ELi1EEEJSt7dividesIfEEEEvT_T0_DpT1_,"axG",@progbits,_ZN2at6native12_GLOBAL__N_125multi_tensor_apply_kernelINS1_28TensorListScalarListMetadataIfLi2EEENS1_25BinaryOpScalarListFunctorIN3c104HalfELi2ELi1ELi1EEEJSt7dividesIfEEEEvT_T0_DpT1_,comdat
.Lfunc_end70:
	.size	_ZN2at6native12_GLOBAL__N_125multi_tensor_apply_kernelINS1_28TensorListScalarListMetadataIfLi2EEENS1_25BinaryOpScalarListFunctorIN3c104HalfELi2ELi1ELi1EEEJSt7dividesIfEEEEvT_T0_DpT1_, .Lfunc_end70-_ZN2at6native12_GLOBAL__N_125multi_tensor_apply_kernelINS1_28TensorListScalarListMetadataIfLi2EEENS1_25BinaryOpScalarListFunctorIN3c104HalfELi2ELi1ELi1EEEJSt7dividesIfEEEEvT_T0_DpT1_
                                        ; -- End function
	.section	.AMDGPU.csdata,"",@progbits
; Kernel info:
; codeLenInByte = 2232
; NumSgprs: 24
; NumVgprs: 32
; ScratchSize: 0
; MemoryBound: 0
; FloatMode: 240
; IeeeMode: 1
; LDSByteSize: 0 bytes/workgroup (compile time only)
; SGPRBlocks: 2
; VGPRBlocks: 3
; NumSGPRsForWavesPerEU: 24
; NumVGPRsForWavesPerEU: 32
; Occupancy: 16
; WaveLimiterHint : 0
; COMPUTE_PGM_RSRC2:SCRATCH_EN: 0
; COMPUTE_PGM_RSRC2:USER_SGPR: 15
; COMPUTE_PGM_RSRC2:TRAP_HANDLER: 0
; COMPUTE_PGM_RSRC2:TGID_X_EN: 1
; COMPUTE_PGM_RSRC2:TGID_Y_EN: 0
; COMPUTE_PGM_RSRC2:TGID_Z_EN: 0
; COMPUTE_PGM_RSRC2:TIDIG_COMP_CNT: 0
	.section	.text._ZN2at6native12_GLOBAL__N_125multi_tensor_apply_kernelINS1_28TensorListScalarListMetadataIfLi2EEENS1_25BinaryOpScalarListFunctorIN3c108BFloat16ELi2ELi1ELi1EEEJSt7dividesIfEEEEvT_T0_DpT1_,"axG",@progbits,_ZN2at6native12_GLOBAL__N_125multi_tensor_apply_kernelINS1_28TensorListScalarListMetadataIfLi2EEENS1_25BinaryOpScalarListFunctorIN3c108BFloat16ELi2ELi1ELi1EEEJSt7dividesIfEEEEvT_T0_DpT1_,comdat
	.globl	_ZN2at6native12_GLOBAL__N_125multi_tensor_apply_kernelINS1_28TensorListScalarListMetadataIfLi2EEENS1_25BinaryOpScalarListFunctorIN3c108BFloat16ELi2ELi1ELi1EEEJSt7dividesIfEEEEvT_T0_DpT1_ ; -- Begin function _ZN2at6native12_GLOBAL__N_125multi_tensor_apply_kernelINS1_28TensorListScalarListMetadataIfLi2EEENS1_25BinaryOpScalarListFunctorIN3c108BFloat16ELi2ELi1ELi1EEEJSt7dividesIfEEEEvT_T0_DpT1_
	.p2align	8
	.type	_ZN2at6native12_GLOBAL__N_125multi_tensor_apply_kernelINS1_28TensorListScalarListMetadataIfLi2EEENS1_25BinaryOpScalarListFunctorIN3c108BFloat16ELi2ELi1ELi1EEEJSt7dividesIfEEEEvT_T0_DpT1_,@function
_ZN2at6native12_GLOBAL__N_125multi_tensor_apply_kernelINS1_28TensorListScalarListMetadataIfLi2EEENS1_25BinaryOpScalarListFunctorIN3c108BFloat16ELi2ELi1ELi1EEEJSt7dividesIfEEEEvT_T0_DpT1_: ; @_ZN2at6native12_GLOBAL__N_125multi_tensor_apply_kernelINS1_28TensorListScalarListMetadataIfLi2EEENS1_25BinaryOpScalarListFunctorIN3c108BFloat16ELi2ELi1ELi1EEEJSt7dividesIfEEEEvT_T0_DpT1_
; %bb.0:
	v_mov_b32_e32 v1, s15
	s_add_u32 s2, s0, s15
	s_mul_hi_u32 s3, s15, 3
	s_mul_i32 s15, s15, 3
	s_addc_u32 s4, s1, 0
	global_load_u8 v1, v1, s[0:1] offset:1792
	s_add_u32 s2, s2, s15
	s_addc_u32 s3, s4, s3
	s_mov_b32 s15, 0
	s_load_b32 s2, s[2:3], 0x840
	s_waitcnt vmcnt(0)
	v_readfirstlane_b32 s3, v1
	v_lshlrev_b32_e32 v1, 2, v1
	s_delay_alu instid0(VALU_DEP_2)
	s_lshl_b32 s8, s3, 3
	s_waitcnt lgkmcnt(0)
	s_ashr_i32 s3, s2, 31
	s_add_u32 s9, s0, s8
	s_addc_u32 s10, s1, 0
	v_sub_co_u32 v1, s9, s9, v1
	s_delay_alu instid0(VALU_DEP_1)
	v_sub_co_ci_u32_e64 v2, null, s10, 0, s9
	s_clause 0x2
	s_load_b64 s[4:5], s[0:1], s8 offset:0x400
	s_load_b64 s[6:7], s[0:1], s8 offset:0x0
	;; [unrolled: 1-line block ×3, first 2 shown]
	v_readfirstlane_b32 s10, v1
	v_readfirstlane_b32 s11, v2
	s_lshl_b64 s[12:13], s[2:3], 17
	s_lshl_b64 s[2:3], s[2:3], 16
	s_load_b32 s18, s[10:11], 0x600
	s_waitcnt lgkmcnt(0)
	s_and_b32 s11, s4, 3
	s_and_b32 s10, s6, 7
	;; [unrolled: 1-line block ×3, first 2 shown]
	s_or_b32 s10, s10, s11
	s_delay_alu instid0(SALU_CYCLE_1)
	s_or_b32 s14, s14, s10
	s_sub_u32 s10, s4, s2
	s_subb_u32 s11, s5, s3
	s_cmp_eq_u64 s[14:15], 0
	s_mov_b32 s2, -1
	s_cbranch_scc1 .LBB71_21
; %bb.1:
	v_cmp_lt_i64_e64 s2, s[10:11], 1
	s_delay_alu instid0(VALU_DEP_1)
	s_and_b32 vcc_lo, exec_lo, s2
	s_cbranch_vccnz .LBB71_20
; %bb.2:
	s_load_b32 s2, s[0:1], 0xd54
	v_dual_mov_b32 v10, 0 :: v_dual_lshlrev_b32 v9, 1, v0
	v_cmp_gt_u64_e64 s3, 0x10000, s[10:11]
	s_mov_b64 s[16:17], 0
	s_delay_alu instid0(VALU_DEP_2) | instskip(NEXT) | instid1(VALU_DEP_1)
	v_add_co_u32 v1, s4, s6, v9
	v_add_co_ci_u32_e64 v2, null, s7, 0, s4
	v_add_co_u32 v3, s4, s8, v9
	s_delay_alu instid0(VALU_DEP_1)
	v_add_co_ci_u32_e64 v4, null, s9, 0, s4
	s_waitcnt lgkmcnt(0)
	s_and_b32 s2, s2, 0xffff
	s_and_b32 s3, s3, exec_lo
	v_mad_u64_u32 v[7:8], null, s2, 6, v[9:10]
	s_cselect_b32 s15, s11, 0
	s_cselect_b32 s14, s10, 0x10000
	s_mul_i32 s4, s2, 3
	s_lshl_b32 s19, s2, 2
	s_lshl_b32 s3, s2, 1
	v_add_co_u32 v14, s5, s19, v9
	v_add_co_u32 v9, s4, s4, v0
	s_delay_alu instid0(VALU_DEP_1) | instskip(SKIP_3) | instid1(VALU_DEP_3)
	v_add_co_ci_u32_e64 v10, null, 0, 0, s4
	v_add_co_u32 v13, s4, v0, s2
	v_add_co_u32 v5, vcc_lo, s6, v7
	v_add_co_ci_u32_e32 v6, vcc_lo, s7, v8, vcc_lo
	v_lshlrev_b32_e32 v21, 1, v13
	v_add_co_u32 v7, vcc_lo, s8, v7
	v_add_co_ci_u32_e64 v15, null, 0, 0, s5
	v_add_co_ci_u32_e32 v8, vcc_lo, s9, v8, vcc_lo
	v_add_co_u32 v17, s3, s3, v0
	v_add_co_u32 v11, vcc_lo, s6, v14
	v_add_co_ci_u32_e64 v18, null, 0, 0, s3
	v_add_co_u32 v19, s3, s6, v21
	v_add_co_ci_u32_e32 v12, vcc_lo, s7, v15, vcc_lo
	v_add_co_u32 v14, vcc_lo, s8, v14
	v_add_co_ci_u32_e64 v20, null, s7, 0, s3
	v_add_co_u32 v21, s3, s8, v21
	v_add_co_ci_u32_e32 v15, vcc_lo, s9, v15, vcc_lo
	v_add_co_ci_u32_e64 v16, null, 0, 0, s4
	v_add_co_ci_u32_e64 v22, null, s9, 0, s3
	s_lshl_b32 s20, s2, 3
	s_branch .LBB71_4
.LBB71_3:                               ;   in Loop: Header=BB71_4 Depth=1
	s_or_b32 exec_lo, exec_lo, s3
	v_add_co_u32 v1, vcc_lo, v1, s20
	v_add_co_ci_u32_e32 v2, vcc_lo, 0, v2, vcc_lo
	v_add_co_u32 v3, vcc_lo, v3, s20
	v_add_co_ci_u32_e32 v4, vcc_lo, 0, v4, vcc_lo
	;; [unrolled: 2-line block ×5, first 2 shown]
	s_add_u32 s16, s16, s19
	v_add_co_u32 v14, vcc_lo, v14, s20
	s_addc_u32 s17, s17, 0
	v_add_co_ci_u32_e32 v15, vcc_lo, 0, v15, vcc_lo
	v_cmp_lt_i64_e64 s2, s[16:17], s[10:11]
	v_cmp_gt_u64_e64 s3, 0x10000, s[16:17]
	v_add_co_u32 v19, vcc_lo, v19, s20
	v_add_co_ci_u32_e32 v20, vcc_lo, 0, v20, vcc_lo
	v_add_co_u32 v21, vcc_lo, v21, s20
	v_add_co_ci_u32_e32 v22, vcc_lo, 0, v22, vcc_lo
	s_and_b32 s2, s2, s3
	s_delay_alu instid0(SALU_CYCLE_1)
	s_and_b32 vcc_lo, exec_lo, s2
	s_cbranch_vccz .LBB71_20
.LBB71_4:                               ; =>This Inner Loop Header: Depth=1
	s_waitcnt vmcnt(0)
	v_add_co_u32 v23, s2, v0, s16
	s_delay_alu instid0(VALU_DEP_1) | instskip(SKIP_1) | instid1(VALU_DEP_2)
	v_add_co_ci_u32_e64 v24, null, 0, s17, s2
	v_mov_b32_e32 v26, 0
	v_cmp_gt_u64_e32 vcc_lo, s[14:15], v[23:24]
	s_and_saveexec_b32 s3, vcc_lo
	s_cbranch_execz .LBB71_6
; %bb.5:                                ;   in Loop: Header=BB71_4 Depth=1
	v_add_co_u32 v23, s2, v1, s12
	s_delay_alu instid0(VALU_DEP_1)
	v_add_co_ci_u32_e64 v24, s2, s13, v2, s2
	global_load_u16 v26, v[23:24], off
.LBB71_6:                               ;   in Loop: Header=BB71_4 Depth=1
	s_or_b32 exec_lo, exec_lo, s3
	v_add_co_u32 v23, s2, v13, s16
	s_delay_alu instid0(VALU_DEP_1) | instskip(SKIP_1) | instid1(VALU_DEP_2)
	v_add_co_ci_u32_e64 v24, s2, s17, v16, s2
	v_mov_b32_e32 v25, 0
	v_cmp_gt_u64_e64 s4, s[14:15], v[23:24]
	s_delay_alu instid0(VALU_DEP_1)
	s_and_saveexec_b32 s3, s4
	s_cbranch_execz .LBB71_8
; %bb.7:                                ;   in Loop: Header=BB71_4 Depth=1
	v_add_co_u32 v23, s2, v19, s12
	s_delay_alu instid0(VALU_DEP_1)
	v_add_co_ci_u32_e64 v24, s2, s13, v20, s2
	global_load_u16 v25, v[23:24], off
.LBB71_8:                               ;   in Loop: Header=BB71_4 Depth=1
	s_or_b32 exec_lo, exec_lo, s3
	v_add_co_u32 v23, s2, v17, s16
	s_delay_alu instid0(VALU_DEP_1) | instskip(NEXT) | instid1(VALU_DEP_1)
	v_add_co_ci_u32_e64 v24, s2, s17, v18, s2
	v_cmp_gt_u64_e64 s3, s[14:15], v[23:24]
	v_dual_mov_b32 v23, 0 :: v_dual_mov_b32 v24, 0
	s_delay_alu instid0(VALU_DEP_2)
	s_and_saveexec_b32 s5, s3
	s_cbranch_execz .LBB71_10
; %bb.9:                                ;   in Loop: Header=BB71_4 Depth=1
	v_add_co_u32 v27, s2, v11, s12
	s_delay_alu instid0(VALU_DEP_1)
	v_add_co_ci_u32_e64 v28, s2, s13, v12, s2
	global_load_u16 v24, v[27:28], off
.LBB71_10:                              ;   in Loop: Header=BB71_4 Depth=1
	s_or_b32 exec_lo, exec_lo, s5
	v_add_co_u32 v27, s2, v9, s16
	s_delay_alu instid0(VALU_DEP_1) | instskip(NEXT) | instid1(VALU_DEP_1)
	v_add_co_ci_u32_e64 v28, s2, s17, v10, s2
	v_cmp_gt_u64_e64 s2, s[14:15], v[27:28]
	s_delay_alu instid0(VALU_DEP_1)
	s_and_saveexec_b32 s21, s2
	s_cbranch_execnz .LBB71_15
; %bb.11:                               ;   in Loop: Header=BB71_4 Depth=1
	s_or_b32 exec_lo, exec_lo, s21
	s_and_saveexec_b32 s5, vcc_lo
	s_cbranch_execnz .LBB71_16
.LBB71_12:                              ;   in Loop: Header=BB71_4 Depth=1
	s_or_b32 exec_lo, exec_lo, s5
	s_and_saveexec_b32 s5, s4
	s_cbranch_execnz .LBB71_17
.LBB71_13:                              ;   in Loop: Header=BB71_4 Depth=1
	s_or_b32 exec_lo, exec_lo, s5
	s_and_saveexec_b32 s4, s3
	s_cbranch_execnz .LBB71_18
.LBB71_14:                              ;   in Loop: Header=BB71_4 Depth=1
	s_or_b32 exec_lo, exec_lo, s4
	s_and_saveexec_b32 s3, s2
	s_cbranch_execz .LBB71_3
	s_branch .LBB71_19
.LBB71_15:                              ;   in Loop: Header=BB71_4 Depth=1
	v_add_co_u32 v27, s5, v5, s12
	s_delay_alu instid0(VALU_DEP_1)
	v_add_co_ci_u32_e64 v28, s5, s13, v6, s5
	global_load_u16 v23, v[27:28], off
	s_or_b32 exec_lo, exec_lo, s21
	s_and_saveexec_b32 s5, vcc_lo
	s_cbranch_execz .LBB71_12
.LBB71_16:                              ;   in Loop: Header=BB71_4 Depth=1
	s_waitcnt vmcnt(0)
	v_lshlrev_b32_e32 v26, 16, v26
	s_delay_alu instid0(VALU_DEP_1) | instskip(SKIP_1) | instid1(VALU_DEP_2)
	v_div_scale_f32 v27, null, s18, s18, v26
	v_div_scale_f32 v30, vcc_lo, v26, s18, v26
	v_rcp_f32_e32 v28, v27
	s_waitcnt_depctr 0xfff
	v_fma_f32 v29, -v27, v28, 1.0
	s_delay_alu instid0(VALU_DEP_1) | instskip(NEXT) | instid1(VALU_DEP_1)
	v_fmac_f32_e32 v28, v29, v28
	v_mul_f32_e32 v29, v30, v28
	s_delay_alu instid0(VALU_DEP_1) | instskip(NEXT) | instid1(VALU_DEP_1)
	v_fma_f32 v31, -v27, v29, v30
	v_fmac_f32_e32 v29, v31, v28
	s_delay_alu instid0(VALU_DEP_1) | instskip(NEXT) | instid1(VALU_DEP_1)
	v_fma_f32 v27, -v27, v29, v30
	v_div_fmas_f32 v27, v27, v28, v29
	s_delay_alu instid0(VALU_DEP_1) | instskip(NEXT) | instid1(VALU_DEP_1)
	v_div_fixup_f32 v28, v27, s18, v26
	v_bfe_u32 v26, v28, 16, 1
	s_delay_alu instid0(VALU_DEP_1) | instskip(NEXT) | instid1(VALU_DEP_1)
	v_add3_u32 v26, v28, v26, 0x7fff
	v_lshrrev_b32_e32 v29, 16, v26
	v_add_co_u32 v26, vcc_lo, v3, s12
	v_add_co_ci_u32_e32 v27, vcc_lo, s13, v4, vcc_lo
	v_cmp_o_f32_e32 vcc_lo, v28, v28
	s_delay_alu instid0(VALU_DEP_4)
	v_cndmask_b32_e32 v28, 0x7fc0, v29, vcc_lo
	global_store_b16 v[26:27], v28, off
	s_or_b32 exec_lo, exec_lo, s5
	s_and_saveexec_b32 s5, s4
	s_cbranch_execz .LBB71_13
.LBB71_17:                              ;   in Loop: Header=BB71_4 Depth=1
	s_waitcnt vmcnt(0)
	v_lshlrev_b32_e32 v25, 16, v25
	s_delay_alu instid0(VALU_DEP_1) | instskip(SKIP_1) | instid1(VALU_DEP_2)
	v_div_scale_f32 v26, null, s18, s18, v25
	v_div_scale_f32 v29, vcc_lo, v25, s18, v25
	v_rcp_f32_e32 v27, v26
	s_waitcnt_depctr 0xfff
	v_fma_f32 v28, -v26, v27, 1.0
	s_delay_alu instid0(VALU_DEP_1) | instskip(NEXT) | instid1(VALU_DEP_1)
	v_fmac_f32_e32 v27, v28, v27
	v_mul_f32_e32 v28, v29, v27
	s_delay_alu instid0(VALU_DEP_1) | instskip(NEXT) | instid1(VALU_DEP_1)
	v_fma_f32 v30, -v26, v28, v29
	v_fmac_f32_e32 v28, v30, v27
	s_delay_alu instid0(VALU_DEP_1) | instskip(NEXT) | instid1(VALU_DEP_1)
	v_fma_f32 v26, -v26, v28, v29
	v_div_fmas_f32 v26, v26, v27, v28
	s_delay_alu instid0(VALU_DEP_1) | instskip(NEXT) | instid1(VALU_DEP_1)
	v_div_fixup_f32 v25, v26, s18, v25
	v_bfe_u32 v26, v25, 16, 1
	v_cmp_o_f32_e32 vcc_lo, v25, v25
	s_delay_alu instid0(VALU_DEP_2) | instskip(NEXT) | instid1(VALU_DEP_1)
	v_add3_u32 v26, v25, v26, 0x7fff
	v_lshrrev_b32_e32 v26, 16, v26
	s_delay_alu instid0(VALU_DEP_1)
	v_cndmask_b32_e32 v27, 0x7fc0, v26, vcc_lo
	v_add_co_u32 v25, vcc_lo, v21, s12
	v_add_co_ci_u32_e32 v26, vcc_lo, s13, v22, vcc_lo
	global_store_b16 v[25:26], v27, off
	s_or_b32 exec_lo, exec_lo, s5
	s_and_saveexec_b32 s4, s3
	s_cbranch_execz .LBB71_14
.LBB71_18:                              ;   in Loop: Header=BB71_4 Depth=1
	s_waitcnt vmcnt(0)
	v_lshlrev_b32_e32 v24, 16, v24
	s_delay_alu instid0(VALU_DEP_1) | instskip(SKIP_1) | instid1(VALU_DEP_2)
	v_div_scale_f32 v25, null, s18, s18, v24
	v_div_scale_f32 v28, vcc_lo, v24, s18, v24
	v_rcp_f32_e32 v26, v25
	s_waitcnt_depctr 0xfff
	v_fma_f32 v27, -v25, v26, 1.0
	s_delay_alu instid0(VALU_DEP_1) | instskip(NEXT) | instid1(VALU_DEP_1)
	v_fmac_f32_e32 v26, v27, v26
	v_mul_f32_e32 v27, v28, v26
	s_delay_alu instid0(VALU_DEP_1) | instskip(NEXT) | instid1(VALU_DEP_1)
	v_fma_f32 v29, -v25, v27, v28
	v_fmac_f32_e32 v27, v29, v26
	s_delay_alu instid0(VALU_DEP_1) | instskip(NEXT) | instid1(VALU_DEP_1)
	v_fma_f32 v25, -v25, v27, v28
	v_div_fmas_f32 v25, v25, v26, v27
	s_delay_alu instid0(VALU_DEP_1) | instskip(NEXT) | instid1(VALU_DEP_1)
	v_div_fixup_f32 v24, v25, s18, v24
	v_bfe_u32 v25, v24, 16, 1
	v_cmp_o_f32_e32 vcc_lo, v24, v24
	s_delay_alu instid0(VALU_DEP_2) | instskip(NEXT) | instid1(VALU_DEP_1)
	v_add3_u32 v25, v24, v25, 0x7fff
	v_lshrrev_b32_e32 v25, 16, v25
	s_delay_alu instid0(VALU_DEP_1)
	v_cndmask_b32_e32 v26, 0x7fc0, v25, vcc_lo
	v_add_co_u32 v24, vcc_lo, v14, s12
	v_add_co_ci_u32_e32 v25, vcc_lo, s13, v15, vcc_lo
	global_store_b16 v[24:25], v26, off
	s_or_b32 exec_lo, exec_lo, s4
	s_and_saveexec_b32 s3, s2
	s_cbranch_execz .LBB71_3
.LBB71_19:                              ;   in Loop: Header=BB71_4 Depth=1
	s_waitcnt vmcnt(0)
	v_lshlrev_b32_e32 v23, 16, v23
	s_delay_alu instid0(VALU_DEP_1) | instskip(SKIP_1) | instid1(VALU_DEP_2)
	v_div_scale_f32 v24, null, s18, s18, v23
	v_div_scale_f32 v27, vcc_lo, v23, s18, v23
	v_rcp_f32_e32 v25, v24
	s_waitcnt_depctr 0xfff
	v_fma_f32 v26, -v24, v25, 1.0
	s_delay_alu instid0(VALU_DEP_1) | instskip(NEXT) | instid1(VALU_DEP_1)
	v_fmac_f32_e32 v25, v26, v25
	v_mul_f32_e32 v26, v27, v25
	s_delay_alu instid0(VALU_DEP_1) | instskip(NEXT) | instid1(VALU_DEP_1)
	v_fma_f32 v28, -v24, v26, v27
	v_fmac_f32_e32 v26, v28, v25
	s_delay_alu instid0(VALU_DEP_1) | instskip(NEXT) | instid1(VALU_DEP_1)
	v_fma_f32 v24, -v24, v26, v27
	v_div_fmas_f32 v24, v24, v25, v26
	s_delay_alu instid0(VALU_DEP_1) | instskip(NEXT) | instid1(VALU_DEP_1)
	v_div_fixup_f32 v23, v24, s18, v23
	v_bfe_u32 v24, v23, 16, 1
	v_cmp_o_f32_e32 vcc_lo, v23, v23
	s_delay_alu instid0(VALU_DEP_2) | instskip(NEXT) | instid1(VALU_DEP_1)
	v_add3_u32 v24, v23, v24, 0x7fff
	v_lshrrev_b32_e32 v24, 16, v24
	s_delay_alu instid0(VALU_DEP_1)
	v_cndmask_b32_e32 v25, 0x7fc0, v24, vcc_lo
	v_add_co_u32 v23, vcc_lo, v7, s12
	v_add_co_ci_u32_e32 v24, vcc_lo, s13, v8, vcc_lo
	global_store_b16 v[23:24], v25, off
	s_branch .LBB71_3
.LBB71_20:
	s_mov_b32 s2, 0
.LBB71_21:
	s_delay_alu instid0(SALU_CYCLE_1)
	s_and_not1_b32 vcc_lo, exec_lo, s2
	s_cbranch_vccnz .LBB71_25
; %bb.22:
	v_dual_mov_b32 v2, 0 :: v_dual_lshlrev_b32 v1, 2, v0
	s_mov_b32 s14, 0
	s_mov_b32 s2, exec_lo
	s_delay_alu instid0(VALU_DEP_1)
	v_cmpx_gt_i64_e64 s[10:11], v[1:2]
	s_cbranch_execz .LBB71_25
; %bb.23:
	s_load_b32 s0, s[0:1], 0xd54
	v_lshlrev_b32_e32 v1, 3, v0
	s_delay_alu instid0(VALU_DEP_1) | instskip(NEXT) | instid1(VALU_DEP_1)
	v_add_co_u32 v3, s1, s12, v1
	v_add_co_ci_u32_e64 v4, null, s13, 0, s1
	s_waitcnt lgkmcnt(0)
	s_and_b32 s0, s0, 0xffff
	s_delay_alu instid0(SALU_CYCLE_1)
	v_add_lshl_u32 v1, v0, s0, 2
	s_lshl_b32 s12, s0, 3
	s_lshl_b32 s13, s0, 2
.LBB71_24:                              ; =>This Inner Loop Header: Depth=1
	v_add_co_u32 v5, vcc_lo, s6, v3
	v_add_co_ci_u32_e32 v6, vcc_lo, s7, v4, vcc_lo
	v_add_co_u32 v7, vcc_lo, s8, v3
	v_add_co_ci_u32_e32 v8, vcc_lo, s9, v4, vcc_lo
	global_load_b64 v[5:6], v[5:6], off
	v_add_co_u32 v3, vcc_lo, v3, s12
	v_add_co_ci_u32_e32 v4, vcc_lo, 0, v4, vcc_lo
	v_cmp_le_i64_e64 s0, s[10:11], v[1:2]
	v_cmp_lt_u64_e64 s1, 0xffff, v[1:2]
	v_add_co_u32 v1, s2, v1, s13
	s_delay_alu instid0(VALU_DEP_2) | instskip(NEXT) | instid1(SALU_CYCLE_1)
	s_or_b32 s0, s0, s1
	s_and_b32 s0, exec_lo, s0
	s_delay_alu instid0(SALU_CYCLE_1)
	s_or_b32 s14, s0, s14
	s_waitcnt vmcnt(0)
	v_lshlrev_b32_e32 v0, 16, v5
	v_and_b32_e32 v9, 0xffff0000, v5
	v_alignbit_b32 v5, v6, v5, 16
	v_and_b32_e32 v6, 0xffff0000, v6
	s_delay_alu instid0(VALU_DEP_1) | instskip(NEXT) | instid1(VALU_DEP_1)
	v_div_scale_f32 v14, null, s18, s18, v6
	v_rcp_f32_e32 v19, v14
	s_waitcnt_depctr 0xfff
	v_fma_f32 v24, -v14, v19, 1.0
	s_delay_alu instid0(VALU_DEP_1) | instskip(SKIP_2) | instid1(VALU_DEP_2)
	v_fmac_f32_e32 v19, v24, v19
	v_div_scale_f32 v10, null, s18, s18, v0
	v_div_scale_f32 v11, vcc_lo, v0, s18, v0
	v_rcp_f32_e32 v16, v10
	s_waitcnt_depctr 0xfff
	v_fma_f32 v22, -v10, v16, 1.0
	s_delay_alu instid0(VALU_DEP_1) | instskip(SKIP_2) | instid1(VALU_DEP_2)
	v_fmac_f32_e32 v16, v22, v16
	v_div_scale_f32 v12, null, s18, s18, v9
	v_div_scale_f32 v13, s3, v9, s18, v9
	v_rcp_f32_e32 v17, v12
	s_waitcnt_depctr 0xfff
	v_fma_f32 v23, -v12, v17, 1.0
	s_delay_alu instid0(VALU_DEP_1) | instskip(SKIP_2) | instid1(VALU_DEP_3)
	v_fmac_f32_e32 v17, v23, v17
	v_div_scale_f32 v15, s4, v6, s18, v6
	v_and_b32_e32 v5, 0xffff0000, v5
	v_dual_mul_f32 v23, v11, v16 :: v_dual_mul_f32 v24, v13, v17
	s_delay_alu instid0(VALU_DEP_2) | instskip(NEXT) | instid1(VALU_DEP_2)
	v_div_scale_f32 v18, null, s18, s18, v5
	v_fma_f32 v25, -v10, v23, v11
	s_delay_alu instid0(VALU_DEP_3) | instskip(NEXT) | instid1(VALU_DEP_3)
	v_fma_f32 v26, -v12, v24, v13
	v_rcp_f32_e32 v21, v18
	s_delay_alu instid0(VALU_DEP_1) | instskip(NEXT) | instid1(VALU_DEP_1)
	v_dual_fmac_f32 v23, v25, v16 :: v_dual_fmac_f32 v24, v26, v17
	v_fma_f32 v10, -v10, v23, v11
	s_delay_alu instid0(VALU_DEP_2) | instskip(SKIP_4) | instid1(VALU_DEP_2)
	v_fma_f32 v11, -v12, v24, v13
	s_waitcnt_depctr 0xfff
	v_fma_f32 v22, -v18, v21, 1.0
	v_div_fmas_f32 v10, v10, v16, v23
	s_mov_b32 vcc_lo, s3
	v_dual_fmac_f32 v21, v22, v21 :: v_dual_mul_f32 v22, v15, v19
	v_div_scale_f32 v20, s5, v5, s18, v5
	v_div_fmas_f32 v11, v11, v17, v24
	s_mov_b32 vcc_lo, s5
	s_delay_alu instid0(VALU_DEP_3) | instskip(SKIP_1) | instid1(VALU_DEP_3)
	v_fma_f32 v28, -v14, v22, v15
	v_div_fixup_f32 v0, v10, s18, v0
	v_div_fixup_f32 v9, v11, s18, v9
	s_delay_alu instid0(VALU_DEP_3) | instskip(SKIP_1) | instid1(VALU_DEP_4)
	v_fmac_f32_e32 v22, v28, v19
	v_mul_f32_e32 v27, v20, v21
	v_bfe_u32 v11, v0, 16, 1
	s_delay_alu instid0(VALU_DEP_4) | instskip(NEXT) | instid1(VALU_DEP_4)
	v_cmp_o_f32_e64 s3, v9, v9
	v_fma_f32 v12, -v14, v22, v15
	s_delay_alu instid0(VALU_DEP_4) | instskip(NEXT) | instid1(VALU_DEP_4)
	v_fma_f32 v25, -v18, v27, v20
	v_add3_u32 v11, v0, v11, 0x7fff
	s_delay_alu instid0(VALU_DEP_2) | instskip(NEXT) | instid1(VALU_DEP_2)
	v_fmac_f32_e32 v27, v25, v21
	v_lshrrev_b32_e32 v11, 16, v11
	s_delay_alu instid0(VALU_DEP_2) | instskip(NEXT) | instid1(VALU_DEP_1)
	v_fma_f32 v13, -v18, v27, v20
	v_div_fmas_f32 v10, v13, v21, v27
	s_mov_b32 vcc_lo, s4
	v_div_fmas_f32 v12, v12, v19, v22
	v_cmp_o_f32_e32 vcc_lo, v0, v0
	s_delay_alu instid0(VALU_DEP_3) | instskip(SKIP_1) | instid1(VALU_DEP_4)
	v_div_fixup_f32 v5, v10, s18, v5
	v_bfe_u32 v10, v9, 16, 1
	v_div_fixup_f32 v6, v12, s18, v6
	v_cndmask_b32_e32 v11, 0x7fc0, v11, vcc_lo
	s_delay_alu instid0(VALU_DEP_4) | instskip(NEXT) | instid1(VALU_DEP_4)
	v_bfe_u32 v12, v5, 16, 1
	v_add3_u32 v10, v9, v10, 0x7fff
	v_cmp_o_f32_e32 vcc_lo, v5, v5
	v_bfe_u32 v13, v6, 16, 1
	s_delay_alu instid0(VALU_DEP_4) | instskip(NEXT) | instid1(VALU_DEP_4)
	v_add3_u32 v12, v5, v12, 0x7fff
	v_and_b32_e32 v10, 0xffff0000, v10
	s_delay_alu instid0(VALU_DEP_3) | instskip(NEXT) | instid1(VALU_DEP_3)
	v_add3_u32 v0, v6, v13, 0x7fff
	v_lshrrev_b32_e32 v9, 16, v12
	s_delay_alu instid0(VALU_DEP_3) | instskip(SKIP_1) | instid1(VALU_DEP_4)
	v_cndmask_b32_e64 v10, 0x7fc00000, v10, s3
	v_cmp_o_f32_e64 s3, v6, v6
	v_and_b32_e32 v0, 0xffff0000, v0
	s_delay_alu instid0(VALU_DEP_4) | instskip(NEXT) | instid1(VALU_DEP_4)
	v_cndmask_b32_e32 v5, 0x7fc0, v9, vcc_lo
	v_or_b32_e32 v9, v11, v10
	v_add_co_ci_u32_e64 v2, vcc_lo, 0, v2, s2
	s_delay_alu instid0(VALU_DEP_4) | instskip(NEXT) | instid1(VALU_DEP_1)
	v_cndmask_b32_e64 v0, 0x7fc00000, v0, s3
	v_or3_b32 v6, 0, v5, v0
	s_delay_alu instid0(VALU_DEP_4)
	v_or3_b32 v5, v9, 0, 0
	global_store_b64 v[7:8], v[5:6], off
	s_and_not1_b32 exec_lo, exec_lo, s14
	s_cbranch_execnz .LBB71_24
.LBB71_25:
	s_nop 0
	s_sendmsg sendmsg(MSG_DEALLOC_VGPRS)
	s_endpgm
	.section	.rodata,"a",@progbits
	.p2align	6, 0x0
	.amdhsa_kernel _ZN2at6native12_GLOBAL__N_125multi_tensor_apply_kernelINS1_28TensorListScalarListMetadataIfLi2EEENS1_25BinaryOpScalarListFunctorIN3c108BFloat16ELi2ELi1ELi1EEEJSt7dividesIfEEEEvT_T0_DpT1_
		.amdhsa_group_segment_fixed_size 0
		.amdhsa_private_segment_fixed_size 0
		.amdhsa_kernarg_size 3656
		.amdhsa_user_sgpr_count 15
		.amdhsa_user_sgpr_dispatch_ptr 0
		.amdhsa_user_sgpr_queue_ptr 0
		.amdhsa_user_sgpr_kernarg_segment_ptr 1
		.amdhsa_user_sgpr_dispatch_id 0
		.amdhsa_user_sgpr_private_segment_size 0
		.amdhsa_wavefront_size32 1
		.amdhsa_uses_dynamic_stack 0
		.amdhsa_enable_private_segment 0
		.amdhsa_system_sgpr_workgroup_id_x 1
		.amdhsa_system_sgpr_workgroup_id_y 0
		.amdhsa_system_sgpr_workgroup_id_z 0
		.amdhsa_system_sgpr_workgroup_info 0
		.amdhsa_system_vgpr_workitem_id 0
		.amdhsa_next_free_vgpr 32
		.amdhsa_next_free_sgpr 22
		.amdhsa_reserve_vcc 1
		.amdhsa_float_round_mode_32 0
		.amdhsa_float_round_mode_16_64 0
		.amdhsa_float_denorm_mode_32 3
		.amdhsa_float_denorm_mode_16_64 3
		.amdhsa_dx10_clamp 1
		.amdhsa_ieee_mode 1
		.amdhsa_fp16_overflow 0
		.amdhsa_workgroup_processor_mode 1
		.amdhsa_memory_ordered 1
		.amdhsa_forward_progress 0
		.amdhsa_shared_vgpr_count 0
		.amdhsa_exception_fp_ieee_invalid_op 0
		.amdhsa_exception_fp_denorm_src 0
		.amdhsa_exception_fp_ieee_div_zero 0
		.amdhsa_exception_fp_ieee_overflow 0
		.amdhsa_exception_fp_ieee_underflow 0
		.amdhsa_exception_fp_ieee_inexact 0
		.amdhsa_exception_int_div_zero 0
	.end_amdhsa_kernel
	.section	.text._ZN2at6native12_GLOBAL__N_125multi_tensor_apply_kernelINS1_28TensorListScalarListMetadataIfLi2EEENS1_25BinaryOpScalarListFunctorIN3c108BFloat16ELi2ELi1ELi1EEEJSt7dividesIfEEEEvT_T0_DpT1_,"axG",@progbits,_ZN2at6native12_GLOBAL__N_125multi_tensor_apply_kernelINS1_28TensorListScalarListMetadataIfLi2EEENS1_25BinaryOpScalarListFunctorIN3c108BFloat16ELi2ELi1ELi1EEEJSt7dividesIfEEEEvT_T0_DpT1_,comdat
.Lfunc_end71:
	.size	_ZN2at6native12_GLOBAL__N_125multi_tensor_apply_kernelINS1_28TensorListScalarListMetadataIfLi2EEENS1_25BinaryOpScalarListFunctorIN3c108BFloat16ELi2ELi1ELi1EEEJSt7dividesIfEEEEvT_T0_DpT1_, .Lfunc_end71-_ZN2at6native12_GLOBAL__N_125multi_tensor_apply_kernelINS1_28TensorListScalarListMetadataIfLi2EEENS1_25BinaryOpScalarListFunctorIN3c108BFloat16ELi2ELi1ELi1EEEJSt7dividesIfEEEEvT_T0_DpT1_
                                        ; -- End function
	.section	.AMDGPU.csdata,"",@progbits
; Kernel info:
; codeLenInByte = 2592
; NumSgprs: 24
; NumVgprs: 32
; ScratchSize: 0
; MemoryBound: 0
; FloatMode: 240
; IeeeMode: 1
; LDSByteSize: 0 bytes/workgroup (compile time only)
; SGPRBlocks: 2
; VGPRBlocks: 3
; NumSGPRsForWavesPerEU: 24
; NumVGPRsForWavesPerEU: 32
; Occupancy: 16
; WaveLimiterHint : 0
; COMPUTE_PGM_RSRC2:SCRATCH_EN: 0
; COMPUTE_PGM_RSRC2:USER_SGPR: 15
; COMPUTE_PGM_RSRC2:TRAP_HANDLER: 0
; COMPUTE_PGM_RSRC2:TGID_X_EN: 1
; COMPUTE_PGM_RSRC2:TGID_Y_EN: 0
; COMPUTE_PGM_RSRC2:TGID_Z_EN: 0
; COMPUTE_PGM_RSRC2:TIDIG_COMP_CNT: 0
	.section	.text._ZN2at6native12_GLOBAL__N_125multi_tensor_apply_kernelINS1_28TensorListScalarListMetadataIhLi1EEENS1_25BinaryOpScalarListFunctorIhLi1ELi1ELi0EEEJNS1_13power_functorIhEEEEEvT_T0_DpT1_,"axG",@progbits,_ZN2at6native12_GLOBAL__N_125multi_tensor_apply_kernelINS1_28TensorListScalarListMetadataIhLi1EEENS1_25BinaryOpScalarListFunctorIhLi1ELi1ELi0EEEJNS1_13power_functorIhEEEEEvT_T0_DpT1_,comdat
	.globl	_ZN2at6native12_GLOBAL__N_125multi_tensor_apply_kernelINS1_28TensorListScalarListMetadataIhLi1EEENS1_25BinaryOpScalarListFunctorIhLi1ELi1ELi0EEEJNS1_13power_functorIhEEEEEvT_T0_DpT1_ ; -- Begin function _ZN2at6native12_GLOBAL__N_125multi_tensor_apply_kernelINS1_28TensorListScalarListMetadataIhLi1EEENS1_25BinaryOpScalarListFunctorIhLi1ELi1ELi0EEEJNS1_13power_functorIhEEEEEvT_T0_DpT1_
	.p2align	8
	.type	_ZN2at6native12_GLOBAL__N_125multi_tensor_apply_kernelINS1_28TensorListScalarListMetadataIhLi1EEENS1_25BinaryOpScalarListFunctorIhLi1ELi1ELi0EEEJNS1_13power_functorIhEEEEEvT_T0_DpT1_,@function
_ZN2at6native12_GLOBAL__N_125multi_tensor_apply_kernelINS1_28TensorListScalarListMetadataIhLi1EEENS1_25BinaryOpScalarListFunctorIhLi1ELi1ELi0EEEJNS1_13power_functorIhEEEEEvT_T0_DpT1_: ; @_ZN2at6native12_GLOBAL__N_125multi_tensor_apply_kernelINS1_28TensorListScalarListMetadataIhLi1EEENS1_25BinaryOpScalarListFunctorIhLi1ELi1ELi0EEEJNS1_13power_functorIhEEEEEvT_T0_DpT1_
; %bb.0:
	v_mov_b32_e32 v1, s15
	s_mul_i32 s3, s15, 3
	s_mul_hi_u32 s4, s15, 3
	global_load_u8 v3, v1, s[0:1] offset:1632
	s_waitcnt vmcnt(0)
	v_add_co_u32 v1, s2, s0, v3
	s_delay_alu instid0(VALU_DEP_1)
	v_add_co_ci_u32_e64 v2, null, s1, 0, s2
	s_add_u32 s2, s0, s15
	s_addc_u32 s5, s1, 0
	s_add_u32 s2, s2, s3
	global_load_u8 v1, v[1:2], off offset:1536
	v_readfirstlane_b32 s6, v3
	s_addc_u32 s3, s5, s4
	s_load_b32 s2, s[2:3], 0x7a0
	s_delay_alu instid0(VALU_DEP_1)
	s_lshl_b32 s3, s6, 3
	s_clause 0x1
	s_load_b64 s[4:5], s[0:1], s3 offset:0x0
	s_load_b64 s[10:11], s[0:1], s3 offset:0x300
	s_waitcnt lgkmcnt(0)
	s_ashr_i32 s3, s2, 31
	s_delay_alu instid0(SALU_CYCLE_1) | instskip(NEXT) | instid1(SALU_CYCLE_1)
	s_lshl_b64 s[2:3], s[2:3], 16
	s_add_u32 s7, s4, s2
	s_addc_u32 s14, s5, s3
	s_sub_u32 s8, s10, s2
	s_subb_u32 s9, s11, s3
	s_or_b32 s2, s10, s7
	s_delay_alu instid0(SALU_CYCLE_1) | instskip(NEXT) | instid1(SALU_CYCLE_1)
	s_and_b32 s2, s2, 3
	s_cmp_eq_u32 s2, 0
	s_waitcnt vmcnt(0)
	v_readfirstlane_b32 s15, v1
	s_cbranch_scc1 .LBB72_32
; %bb.1:
	v_cmp_lt_i64_e64 s2, s[8:9], 1
	s_delay_alu instid0(VALU_DEP_1)
	s_and_b32 vcc_lo, exec_lo, s2
	s_cbranch_vccnz .LBB72_31
; %bb.2:
	s_load_b32 s3, s[0:1], 0xcb4
	v_and_b32_e64 v1, 0xff, s15
	v_cmp_gt_u64_e64 s4, 0x10000, s[8:9]
	s_mov_b64 s[12:13], 0
	s_delay_alu instid0(VALU_DEP_2) | instskip(SKIP_2) | instid1(VALU_DEP_2)
	v_cmp_ne_u16_e64 s2, 0, v1
	s_waitcnt lgkmcnt(0)
	s_and_b32 s16, s3, 0xffff
	s_and_b32 s3, s4, exec_lo
	s_cselect_b32 s11, s9, 0
	s_cselect_b32 s10, s8, 0x10000
	s_lshl_b32 s17, s16, 1
	s_mul_i32 s18, s16, 3
	s_lshl_b32 s19, s16, 2
	s_branch .LBB72_4
.LBB72_3:                               ;   in Loop: Header=BB72_4 Depth=1
	s_or_b32 exec_lo, exec_lo, s3
	s_add_u32 s12, s12, s19
	s_addc_u32 s13, s13, 0
	s_delay_alu instid0(SALU_CYCLE_1) | instskip(SKIP_1) | instid1(VALU_DEP_1)
	v_cmp_ge_i64_e64 s3, s[12:13], s[8:9]
	v_cmp_lt_u64_e64 s4, 0xffff, s[12:13]
	s_or_b32 s3, s3, s4
	s_delay_alu instid0(SALU_CYCLE_1)
	s_and_b32 vcc_lo, exec_lo, s3
	s_cbranch_vccnz .LBB72_31
.LBB72_4:                               ; =>This Loop Header: Depth=1
                                        ;     Child Loop BB72_14 Depth 2
                                        ;     Child Loop BB72_17 Depth 2
	;; [unrolled: 1-line block ×4, first 2 shown]
	v_add_co_u32 v1, s3, s12, v0
	s_delay_alu instid0(VALU_DEP_1) | instskip(SKIP_1) | instid1(VALU_DEP_2)
	v_add_co_ci_u32_e64 v2, null, s13, 0, s3
	v_mov_b32_e32 v12, 0
	v_cmp_gt_u64_e64 s3, s[10:11], v[1:2]
	s_delay_alu instid0(VALU_DEP_1)
	s_and_saveexec_b32 s4, s3
	s_cbranch_execz .LBB72_6
; %bb.5:                                ;   in Loop: Header=BB72_4 Depth=1
	v_add_co_u32 v3, vcc_lo, s7, v1
	v_add_co_ci_u32_e32 v4, vcc_lo, s14, v2, vcc_lo
	global_load_u8 v12, v[3:4], off
.LBB72_6:                               ;   in Loop: Header=BB72_4 Depth=1
	s_or_b32 exec_lo, exec_lo, s4
	v_add_co_u32 v3, vcc_lo, v1, s16
	v_add_co_ci_u32_e32 v4, vcc_lo, 0, v2, vcc_lo
	v_mov_b32_e32 v13, 0
	s_delay_alu instid0(VALU_DEP_2) | instskip(NEXT) | instid1(VALU_DEP_1)
	v_cmp_gt_u64_e64 s4, s[10:11], v[3:4]
	s_and_saveexec_b32 s5, s4
	s_cbranch_execz .LBB72_8
; %bb.7:                                ;   in Loop: Header=BB72_4 Depth=1
	v_add_co_u32 v5, vcc_lo, s7, v3
	v_add_co_ci_u32_e32 v6, vcc_lo, s14, v4, vcc_lo
	global_load_u8 v13, v[5:6], off
.LBB72_8:                               ;   in Loop: Header=BB72_4 Depth=1
	s_or_b32 exec_lo, exec_lo, s5
	v_add_co_u32 v5, vcc_lo, v1, s17
	v_add_co_ci_u32_e32 v6, vcc_lo, 0, v2, vcc_lo
	v_mov_b32_e32 v9, 0
	v_mov_b32_e32 v11, 0
	s_delay_alu instid0(VALU_DEP_3) | instskip(NEXT) | instid1(VALU_DEP_1)
	v_cmp_gt_u64_e64 s5, s[10:11], v[5:6]
	s_and_saveexec_b32 s6, s5
	s_cbranch_execz .LBB72_10
; %bb.9:                                ;   in Loop: Header=BB72_4 Depth=1
	v_add_co_u32 v7, vcc_lo, s7, v5
	v_add_co_ci_u32_e32 v8, vcc_lo, s14, v6, vcc_lo
	global_load_u8 v11, v[7:8], off
.LBB72_10:                              ;   in Loop: Header=BB72_4 Depth=1
	s_or_b32 exec_lo, exec_lo, s6
	v_add_co_u32 v7, vcc_lo, v1, s18
	v_add_co_ci_u32_e32 v8, vcc_lo, 0, v2, vcc_lo
	s_delay_alu instid0(VALU_DEP_1) | instskip(NEXT) | instid1(VALU_DEP_1)
	v_cmp_gt_u64_e64 s6, s[10:11], v[7:8]
	s_and_saveexec_b32 s20, s6
	s_cbranch_execz .LBB72_12
; %bb.11:                               ;   in Loop: Header=BB72_4 Depth=1
	v_add_co_u32 v9, vcc_lo, s7, v7
	v_add_co_ci_u32_e32 v10, vcc_lo, s14, v8, vcc_lo
	global_load_u8 v9, v[9:10], off
.LBB72_12:                              ;   in Loop: Header=BB72_4 Depth=1
	s_or_b32 exec_lo, exec_lo, s20
	v_mov_b32_e32 v10, 1
	s_and_not1_b32 vcc_lo, exec_lo, s2
	s_cbranch_vccnz .LBB72_15
; %bb.13:                               ;   in Loop: Header=BB72_4 Depth=1
	s_mov_b32 s20, s15
.LBB72_14:                              ;   Parent Loop BB72_4 Depth=1
                                        ; =>  This Inner Loop Header: Depth=2
	s_delay_alu instid0(SALU_CYCLE_1)
	s_bitcmp1_b32 s20, 0
	v_and_b32_e64 v14, 0xff, s20
	s_cselect_b32 vcc_lo, -1, 0
	s_bfe_u32 s20, s20, 0x70001
	s_waitcnt vmcnt(0)
	v_cndmask_b32_e32 v15, 1, v12, vcc_lo
	v_mul_lo_u16 v12, v12, v12
	v_cmp_lt_u16_e32 vcc_lo, 1, v14
	s_delay_alu instid0(VALU_DEP_3)
	v_mul_lo_u16 v10, v15, v10
	s_cbranch_vccnz .LBB72_14
.LBB72_15:                              ;   in Loop: Header=BB72_4 Depth=1
	v_mov_b32_e32 v14, 1
	s_waitcnt vmcnt(0)
	v_mov_b32_e32 v12, 1
	s_and_not1_b32 vcc_lo, exec_lo, s2
	s_cbranch_vccnz .LBB72_20
; %bb.16:                               ;   in Loop: Header=BB72_4 Depth=1
	v_mov_b32_e32 v12, 1
	s_mov_b32 s20, s15
.LBB72_17:                              ;   Parent Loop BB72_4 Depth=1
                                        ; =>  This Inner Loop Header: Depth=2
	s_delay_alu instid0(SALU_CYCLE_1)
	s_bitcmp1_b32 s20, 0
	v_and_b32_e64 v14, 0xff, s20
	s_cselect_b32 vcc_lo, -1, 0
	s_bfe_u32 s20, s20, 0x70001
	v_cndmask_b32_e32 v15, 1, v13, vcc_lo
	v_mul_lo_u16 v13, v13, v13
	v_cmp_lt_u16_e32 vcc_lo, 1, v14
	s_delay_alu instid0(VALU_DEP_3)
	v_mul_lo_u16 v12, v15, v12
	s_cbranch_vccnz .LBB72_17
; %bb.18:                               ;   in Loop: Header=BB72_4 Depth=1
	v_mov_b32_e32 v14, 1
	s_mov_b32 s20, s15
.LBB72_19:                              ;   Parent Loop BB72_4 Depth=1
                                        ; =>  This Inner Loop Header: Depth=2
	s_delay_alu instid0(SALU_CYCLE_1)
	s_bitcmp1_b32 s20, 0
	v_and_b32_e64 v13, 0xff, s20
	s_cselect_b32 vcc_lo, -1, 0
	s_bfe_u32 s20, s20, 0x70001
	v_cndmask_b32_e32 v15, 1, v11, vcc_lo
	v_mul_lo_u16 v11, v11, v11
	v_cmp_lt_u16_e32 vcc_lo, 1, v13
	s_delay_alu instid0(VALU_DEP_3)
	v_mul_lo_u16 v14, v15, v14
	s_cbranch_vccnz .LBB72_19
.LBB72_20:                              ;   in Loop: Header=BB72_4 Depth=1
	v_mov_b32_e32 v11, 1
	s_and_not1_b32 vcc_lo, exec_lo, s2
	s_cbranch_vccnz .LBB72_23
; %bb.21:                               ;   in Loop: Header=BB72_4 Depth=1
	s_mov_b32 s20, s15
.LBB72_22:                              ;   Parent Loop BB72_4 Depth=1
                                        ; =>  This Inner Loop Header: Depth=2
	s_delay_alu instid0(SALU_CYCLE_1)
	s_bitcmp1_b32 s20, 0
	v_and_b32_e64 v13, 0xff, s20
	s_cselect_b32 vcc_lo, -1, 0
	s_bfe_u32 s20, s20, 0x70001
	v_cndmask_b32_e32 v15, 1, v9, vcc_lo
	v_mul_lo_u16 v9, v9, v9
	v_cmp_lt_u16_e32 vcc_lo, 1, v13
	s_delay_alu instid0(VALU_DEP_3)
	v_mul_lo_u16 v11, v15, v11
	s_cbranch_vccnz .LBB72_22
.LBB72_23:                              ;   in Loop: Header=BB72_4 Depth=1
	s_and_saveexec_b32 s20, s3
	s_delay_alu instid0(SALU_CYCLE_1)
	s_xor_b32 s3, exec_lo, s20
	s_cbranch_execnz .LBB72_27
; %bb.24:                               ;   in Loop: Header=BB72_4 Depth=1
	s_or_b32 exec_lo, exec_lo, s3
	s_and_saveexec_b32 s3, s4
	s_cbranch_execnz .LBB72_28
.LBB72_25:                              ;   in Loop: Header=BB72_4 Depth=1
	s_or_b32 exec_lo, exec_lo, s3
	s_and_saveexec_b32 s3, s5
	s_cbranch_execnz .LBB72_29
.LBB72_26:                              ;   in Loop: Header=BB72_4 Depth=1
	s_or_b32 exec_lo, exec_lo, s3
	s_and_saveexec_b32 s3, s6
	s_cbranch_execz .LBB72_3
	s_branch .LBB72_30
.LBB72_27:                              ;   in Loop: Header=BB72_4 Depth=1
	v_add_co_u32 v1, vcc_lo, s7, v1
	v_add_co_ci_u32_e32 v2, vcc_lo, s14, v2, vcc_lo
	global_store_b8 v[1:2], v10, off
	s_or_b32 exec_lo, exec_lo, s3
	s_and_saveexec_b32 s3, s4
	s_cbranch_execz .LBB72_25
.LBB72_28:                              ;   in Loop: Header=BB72_4 Depth=1
	v_add_co_u32 v1, vcc_lo, s7, v3
	v_add_co_ci_u32_e32 v2, vcc_lo, s14, v4, vcc_lo
	global_store_b8 v[1:2], v12, off
	s_or_b32 exec_lo, exec_lo, s3
	s_and_saveexec_b32 s3, s5
	s_cbranch_execz .LBB72_26
.LBB72_29:                              ;   in Loop: Header=BB72_4 Depth=1
	v_add_co_u32 v1, vcc_lo, s7, v5
	v_add_co_ci_u32_e32 v2, vcc_lo, s14, v6, vcc_lo
	global_store_b8 v[1:2], v14, off
	s_or_b32 exec_lo, exec_lo, s3
	s_and_saveexec_b32 s3, s6
	s_cbranch_execz .LBB72_3
.LBB72_30:                              ;   in Loop: Header=BB72_4 Depth=1
	v_add_co_u32 v1, vcc_lo, s7, v7
	v_add_co_ci_u32_e32 v2, vcc_lo, s14, v8, vcc_lo
	global_store_b8 v[1:2], v11, off
	s_branch .LBB72_3
.LBB72_31:
	s_cbranch_execz .LBB72_33
	s_branch .LBB72_46
.LBB72_32:
.LBB72_33:
	v_dual_mov_b32 v2, 0 :: v_dual_lshlrev_b32 v1, 2, v0
	s_mov_b32 s2, 0
	s_mov_b32 s3, exec_lo
	s_delay_alu instid0(VALU_DEP_1)
	v_cmpx_gt_i64_e64 s[8:9], v[1:2]
	s_cbranch_execz .LBB72_46
; %bb.34:
	s_load_b32 s1, s[0:1], 0xcb4
	v_and_b32_e64 v3, 0xff, s15
	v_mov_b32_e32 v1, v2
	s_delay_alu instid0(VALU_DEP_2)
	v_cmp_ne_u16_e64 s0, 0, v3
	s_waitcnt lgkmcnt(0)
	s_and_b32 s3, s1, 0xffff
	s_branch .LBB72_36
.LBB72_35:                              ;   in Loop: Header=BB72_36 Depth=1
	v_add_co_u32 v0, vcc_lo, v0, s3
	v_add_co_ci_u32_e32 v1, vcc_lo, 0, v1, vcc_lo
	v_and_b32_e32 v9, 0xff, v7
	v_and_b32_e32 v5, 0xff, v5
	;; [unrolled: 1-line block ×3, first 2 shown]
	s_waitcnt vmcnt(0)
	v_lshlrev_b64 v[6:7], 2, v[0:1]
	v_lshlrev_b32_e32 v9, 16, v9
	v_lshlrev_b32_e32 v5, 8, v5
	s_delay_alu instid0(VALU_DEP_3) | instskip(SKIP_1) | instid1(VALU_DEP_4)
	v_cmp_le_i64_e32 vcc_lo, s[8:9], v[6:7]
	v_cmp_lt_u64_e64 s1, 0xffff, v[6:7]
	v_lshl_or_b32 v8, v8, 24, v9
	s_delay_alu instid0(VALU_DEP_1) | instskip(NEXT) | instid1(VALU_DEP_3)
	v_or3_b32 v4, v8, v5, v4
	s_or_b32 s1, vcc_lo, s1
	s_delay_alu instid0(SALU_CYCLE_1) | instskip(NEXT) | instid1(SALU_CYCLE_1)
	s_and_b32 s1, exec_lo, s1
	s_or_b32 s2, s1, s2
	global_store_b32 v[2:3], v4, off
	s_and_not1_b32 exec_lo, exec_lo, s2
	s_cbranch_execz .LBB72_46
.LBB72_36:                              ; =>This Loop Header: Depth=1
                                        ;     Child Loop BB72_38 Depth 2
                                        ;     Child Loop BB72_40 Depth 2
	;; [unrolled: 1-line block ×4, first 2 shown]
	v_lshlrev_b64 v[2:3], 2, v[0:1]
	v_dual_mov_b32 v5, 1 :: v_dual_mov_b32 v4, 1
	s_delay_alu instid0(VALU_DEP_2) | instskip(NEXT) | instid1(VALU_DEP_3)
	v_add_co_u32 v2, vcc_lo, s7, v2
	v_add_co_ci_u32_e32 v3, vcc_lo, s14, v3, vcc_lo
	s_and_not1_b32 vcc_lo, exec_lo, s0
	global_load_b32 v6, v[2:3], off
	s_cbranch_vccnz .LBB72_41
; %bb.37:                               ;   in Loop: Header=BB72_36 Depth=1
	s_waitcnt vmcnt(0)
	v_dual_mov_b32 v4, 1 :: v_dual_mov_b32 v5, v6
	s_mov_b32 s1, s15
.LBB72_38:                              ;   Parent Loop BB72_36 Depth=1
                                        ; =>  This Inner Loop Header: Depth=2
	s_delay_alu instid0(SALU_CYCLE_1)
	s_bitcmp1_b32 s1, 0
	v_and_b32_e64 v7, 0xff, s1
	s_cselect_b32 vcc_lo, -1, 0
	s_bfe_u32 s1, s1, 0x70001
	v_cndmask_b32_e32 v8, 1, v5, vcc_lo
	v_mul_lo_u16 v5, v5, v5
	v_cmp_lt_u16_e32 vcc_lo, 1, v7
	s_delay_alu instid0(VALU_DEP_3)
	v_mul_lo_u16 v4, v8, v4
	s_cbranch_vccnz .LBB72_38
; %bb.39:                               ;   in Loop: Header=BB72_36 Depth=1
	v_lshrrev_b32_e32 v7, 8, v6
	v_mov_b32_e32 v5, 1
	s_mov_b32 s1, s15
.LBB72_40:                              ;   Parent Loop BB72_36 Depth=1
                                        ; =>  This Inner Loop Header: Depth=2
	s_delay_alu instid0(SALU_CYCLE_1)
	s_bitcmp1_b32 s1, 0
	v_and_b32_e64 v8, 0xff, s1
	s_cselect_b32 vcc_lo, -1, 0
	s_bfe_u32 s1, s1, 0x70001
	v_cndmask_b32_e32 v9, 1, v7, vcc_lo
	v_mul_lo_u16 v7, v7, v7
	v_cmp_lt_u16_e32 vcc_lo, 1, v8
	s_delay_alu instid0(VALU_DEP_3)
	v_mul_lo_u16 v5, v9, v5
	s_cbranch_vccnz .LBB72_40
.LBB72_41:                              ;   in Loop: Header=BB72_36 Depth=1
	v_dual_mov_b32 v8, 1 :: v_dual_mov_b32 v7, 1
	s_and_not1_b32 vcc_lo, exec_lo, s0
	s_cbranch_vccnz .LBB72_35
; %bb.42:                               ;   in Loop: Header=BB72_36 Depth=1
	s_waitcnt vmcnt(0)
	v_lshrrev_b32_e32 v8, 16, v6
	v_mov_b32_e32 v7, 1
	s_mov_b32 s1, s15
.LBB72_43:                              ;   Parent Loop BB72_36 Depth=1
                                        ; =>  This Inner Loop Header: Depth=2
	s_delay_alu instid0(SALU_CYCLE_1)
	s_bitcmp1_b32 s1, 0
	v_and_b32_e64 v9, 0xff, s1
	s_cselect_b32 vcc_lo, -1, 0
	s_bfe_u32 s1, s1, 0x70001
	v_cndmask_b32_e32 v10, 1, v8, vcc_lo
	v_mul_lo_u16 v8, v8, v8
	v_cmp_lt_u16_e32 vcc_lo, 1, v9
	s_delay_alu instid0(VALU_DEP_3)
	v_mul_lo_u16 v7, v10, v7
	s_cbranch_vccnz .LBB72_43
; %bb.44:                               ;   in Loop: Header=BB72_36 Depth=1
	v_lshrrev_b32_e32 v6, 24, v6
	v_mov_b32_e32 v8, 1
	s_mov_b32 s1, s15
.LBB72_45:                              ;   Parent Loop BB72_36 Depth=1
                                        ; =>  This Inner Loop Header: Depth=2
	s_delay_alu instid0(SALU_CYCLE_1)
	s_bitcmp1_b32 s1, 0
	v_and_b32_e64 v9, 0xff, s1
	s_cselect_b32 vcc_lo, -1, 0
	s_bfe_u32 s1, s1, 0x70001
	v_cndmask_b32_e32 v10, 1, v6, vcc_lo
	v_mul_lo_u16 v6, v6, v6
	v_cmp_lt_u16_e32 vcc_lo, 1, v9
	s_delay_alu instid0(VALU_DEP_3)
	v_mul_lo_u16 v8, v10, v8
	s_cbranch_vccnz .LBB72_45
	s_branch .LBB72_35
.LBB72_46:
	s_nop 0
	s_sendmsg sendmsg(MSG_DEALLOC_VGPRS)
	s_endpgm
	.section	.rodata,"a",@progbits
	.p2align	6, 0x0
	.amdhsa_kernel _ZN2at6native12_GLOBAL__N_125multi_tensor_apply_kernelINS1_28TensorListScalarListMetadataIhLi1EEENS1_25BinaryOpScalarListFunctorIhLi1ELi1ELi0EEEJNS1_13power_functorIhEEEEEvT_T0_DpT1_
		.amdhsa_group_segment_fixed_size 0
		.amdhsa_private_segment_fixed_size 0
		.amdhsa_kernarg_size 3496
		.amdhsa_user_sgpr_count 15
		.amdhsa_user_sgpr_dispatch_ptr 0
		.amdhsa_user_sgpr_queue_ptr 0
		.amdhsa_user_sgpr_kernarg_segment_ptr 1
		.amdhsa_user_sgpr_dispatch_id 0
		.amdhsa_user_sgpr_private_segment_size 0
		.amdhsa_wavefront_size32 1
		.amdhsa_uses_dynamic_stack 0
		.amdhsa_enable_private_segment 0
		.amdhsa_system_sgpr_workgroup_id_x 1
		.amdhsa_system_sgpr_workgroup_id_y 0
		.amdhsa_system_sgpr_workgroup_id_z 0
		.amdhsa_system_sgpr_workgroup_info 0
		.amdhsa_system_vgpr_workitem_id 0
		.amdhsa_next_free_vgpr 16
		.amdhsa_next_free_sgpr 21
		.amdhsa_reserve_vcc 1
		.amdhsa_float_round_mode_32 0
		.amdhsa_float_round_mode_16_64 0
		.amdhsa_float_denorm_mode_32 3
		.amdhsa_float_denorm_mode_16_64 3
		.amdhsa_dx10_clamp 1
		.amdhsa_ieee_mode 1
		.amdhsa_fp16_overflow 0
		.amdhsa_workgroup_processor_mode 1
		.amdhsa_memory_ordered 1
		.amdhsa_forward_progress 0
		.amdhsa_shared_vgpr_count 0
		.amdhsa_exception_fp_ieee_invalid_op 0
		.amdhsa_exception_fp_denorm_src 0
		.amdhsa_exception_fp_ieee_div_zero 0
		.amdhsa_exception_fp_ieee_overflow 0
		.amdhsa_exception_fp_ieee_underflow 0
		.amdhsa_exception_fp_ieee_inexact 0
		.amdhsa_exception_int_div_zero 0
	.end_amdhsa_kernel
	.section	.text._ZN2at6native12_GLOBAL__N_125multi_tensor_apply_kernelINS1_28TensorListScalarListMetadataIhLi1EEENS1_25BinaryOpScalarListFunctorIhLi1ELi1ELi0EEEJNS1_13power_functorIhEEEEEvT_T0_DpT1_,"axG",@progbits,_ZN2at6native12_GLOBAL__N_125multi_tensor_apply_kernelINS1_28TensorListScalarListMetadataIhLi1EEENS1_25BinaryOpScalarListFunctorIhLi1ELi1ELi0EEEJNS1_13power_functorIhEEEEEvT_T0_DpT1_,comdat
.Lfunc_end72:
	.size	_ZN2at6native12_GLOBAL__N_125multi_tensor_apply_kernelINS1_28TensorListScalarListMetadataIhLi1EEENS1_25BinaryOpScalarListFunctorIhLi1ELi1ELi0EEEJNS1_13power_functorIhEEEEEvT_T0_DpT1_, .Lfunc_end72-_ZN2at6native12_GLOBAL__N_125multi_tensor_apply_kernelINS1_28TensorListScalarListMetadataIhLi1EEENS1_25BinaryOpScalarListFunctorIhLi1ELi1ELi0EEEJNS1_13power_functorIhEEEEEvT_T0_DpT1_
                                        ; -- End function
	.section	.AMDGPU.csdata,"",@progbits
; Kernel info:
; codeLenInByte = 1696
; NumSgprs: 23
; NumVgprs: 16
; ScratchSize: 0
; MemoryBound: 0
; FloatMode: 240
; IeeeMode: 1
; LDSByteSize: 0 bytes/workgroup (compile time only)
; SGPRBlocks: 2
; VGPRBlocks: 1
; NumSGPRsForWavesPerEU: 23
; NumVGPRsForWavesPerEU: 16
; Occupancy: 16
; WaveLimiterHint : 0
; COMPUTE_PGM_RSRC2:SCRATCH_EN: 0
; COMPUTE_PGM_RSRC2:USER_SGPR: 15
; COMPUTE_PGM_RSRC2:TRAP_HANDLER: 0
; COMPUTE_PGM_RSRC2:TGID_X_EN: 1
; COMPUTE_PGM_RSRC2:TGID_Y_EN: 0
; COMPUTE_PGM_RSRC2:TGID_Z_EN: 0
; COMPUTE_PGM_RSRC2:TIDIG_COMP_CNT: 0
	.section	.text._ZN2at6native12_GLOBAL__N_125multi_tensor_apply_kernelINS1_28TensorListScalarListMetadataIaLi1EEENS1_25BinaryOpScalarListFunctorIaLi1ELi1ELi0EEEJNS1_13power_functorIaEEEEEvT_T0_DpT1_,"axG",@progbits,_ZN2at6native12_GLOBAL__N_125multi_tensor_apply_kernelINS1_28TensorListScalarListMetadataIaLi1EEENS1_25BinaryOpScalarListFunctorIaLi1ELi1ELi0EEEJNS1_13power_functorIaEEEEEvT_T0_DpT1_,comdat
	.globl	_ZN2at6native12_GLOBAL__N_125multi_tensor_apply_kernelINS1_28TensorListScalarListMetadataIaLi1EEENS1_25BinaryOpScalarListFunctorIaLi1ELi1ELi0EEEJNS1_13power_functorIaEEEEEvT_T0_DpT1_ ; -- Begin function _ZN2at6native12_GLOBAL__N_125multi_tensor_apply_kernelINS1_28TensorListScalarListMetadataIaLi1EEENS1_25BinaryOpScalarListFunctorIaLi1ELi1ELi0EEEJNS1_13power_functorIaEEEEEvT_T0_DpT1_
	.p2align	8
	.type	_ZN2at6native12_GLOBAL__N_125multi_tensor_apply_kernelINS1_28TensorListScalarListMetadataIaLi1EEENS1_25BinaryOpScalarListFunctorIaLi1ELi1ELi0EEEJNS1_13power_functorIaEEEEEvT_T0_DpT1_,@function
_ZN2at6native12_GLOBAL__N_125multi_tensor_apply_kernelINS1_28TensorListScalarListMetadataIaLi1EEENS1_25BinaryOpScalarListFunctorIaLi1ELi1ELi0EEEJNS1_13power_functorIaEEEEEvT_T0_DpT1_: ; @_ZN2at6native12_GLOBAL__N_125multi_tensor_apply_kernelINS1_28TensorListScalarListMetadataIaLi1EEENS1_25BinaryOpScalarListFunctorIaLi1ELi1ELi0EEEJNS1_13power_functorIaEEEEEvT_T0_DpT1_
; %bb.0:
	v_mov_b32_e32 v1, s15
	s_mul_i32 s3, s15, 3
	s_mul_hi_u32 s4, s15, 3
	global_load_u8 v3, v1, s[0:1] offset:1632
	s_waitcnt vmcnt(0)
	v_add_co_u32 v1, s2, s0, v3
	s_delay_alu instid0(VALU_DEP_1)
	v_add_co_ci_u32_e64 v2, null, s1, 0, s2
	s_add_u32 s2, s0, s15
	s_addc_u32 s5, s1, 0
	s_add_u32 s2, s2, s3
	global_load_u8 v1, v[1:2], off offset:1536
	v_readfirstlane_b32 s6, v3
	s_addc_u32 s3, s5, s4
	s_load_b32 s2, s[2:3], 0x7a0
	s_delay_alu instid0(VALU_DEP_1)
	s_lshl_b32 s3, s6, 3
	s_clause 0x1
	s_load_b64 s[4:5], s[0:1], s3 offset:0x0
	s_load_b64 s[6:7], s[0:1], s3 offset:0x300
	s_waitcnt lgkmcnt(0)
	s_ashr_i32 s3, s2, 31
	s_delay_alu instid0(SALU_CYCLE_1) | instskip(NEXT) | instid1(SALU_CYCLE_1)
	s_lshl_b64 s[2:3], s[2:3], 16
	s_add_u32 s14, s4, s2
	s_addc_u32 s15, s5, s3
	s_sub_u32 s8, s6, s2
	s_subb_u32 s9, s7, s3
	s_or_b32 s2, s6, s14
	s_delay_alu instid0(SALU_CYCLE_1) | instskip(NEXT) | instid1(SALU_CYCLE_1)
	s_and_b32 s2, s2, 3
	s_cmp_eq_u32 s2, 0
	s_waitcnt vmcnt(0)
	v_readfirstlane_b32 s16, v1
	s_cbranch_scc1 .LBB73_77
; %bb.1:
	v_cmp_lt_i64_e64 s2, s[8:9], 1
	s_delay_alu instid0(VALU_DEP_1)
	s_and_b32 vcc_lo, exec_lo, s2
	s_cbranch_vccnz .LBB73_76
; %bb.2:
	s_load_b32 s3, s[0:1], 0xcb4
	v_and_b32_e64 v2, 0xff, s16
	v_and_b32_e64 v1, s16, 1
	v_cmp_gt_u64_e64 s4, 0x10000, s[8:9]
	s_sext_i32_i8 s5, s16
	s_mov_b64 s[12:13], 0
	v_cmp_ne_u16_e64 s2, 0, v2
	v_cmp_eq_u16_e32 vcc_lo, 0, v1
	s_delay_alu instid0(VALU_DEP_2)
	v_cndmask_b32_e64 v9, 0, 1, s2
	s_waitcnt lgkmcnt(0)
	s_and_b32 s17, s3, 0xffff
	s_and_b32 s3, s4, exec_lo
	s_cselect_b32 s11, s9, 0
	s_cselect_b32 s10, s8, 0x10000
	s_lshl_b32 s18, s17, 1
	s_cmp_gt_i32 s5, -1
	s_mul_i32 s19, s17, 3
	s_cselect_b32 s20, -1, 0
	s_and_b32 s3, vcc_lo, exec_lo
	s_cselect_b32 s21, 1, 0xff
	s_lshl_b32 s22, s17, 2
	s_branch .LBB73_4
.LBB73_3:                               ;   in Loop: Header=BB73_4 Depth=1
	s_or_b32 exec_lo, exec_lo, s3
	s_add_u32 s12, s12, s22
	s_addc_u32 s13, s13, 0
	s_delay_alu instid0(SALU_CYCLE_1) | instskip(SKIP_1) | instid1(VALU_DEP_1)
	v_cmp_ge_i64_e64 s3, s[12:13], s[8:9]
	v_cmp_lt_u64_e64 s4, 0xffff, s[12:13]
	s_or_b32 s3, s3, s4
	s_delay_alu instid0(SALU_CYCLE_1)
	s_and_b32 vcc_lo, exec_lo, s3
	s_cbranch_vccnz .LBB73_76
.LBB73_4:                               ; =>This Loop Header: Depth=1
                                        ;     Child Loop BB73_15 Depth 2
                                        ;     Child Loop BB73_20 Depth 2
	;; [unrolled: 1-line block ×4, first 2 shown]
	v_add_co_u32 v1, s3, s12, v0
	s_delay_alu instid0(VALU_DEP_1) | instskip(SKIP_2) | instid1(VALU_DEP_2)
	v_add_co_ci_u32_e64 v2, null, s13, 0, s3
	s_waitcnt vmcnt(0)
	v_mov_b32_e32 v12, 0
	v_cmp_gt_u64_e64 s3, s[10:11], v[1:2]
	s_delay_alu instid0(VALU_DEP_1)
	s_and_saveexec_b32 s4, s3
	s_cbranch_execz .LBB73_6
; %bb.5:                                ;   in Loop: Header=BB73_4 Depth=1
	v_add_co_u32 v3, vcc_lo, s14, v1
	v_add_co_ci_u32_e32 v4, vcc_lo, s15, v2, vcc_lo
	global_load_u8 v12, v[3:4], off
.LBB73_6:                               ;   in Loop: Header=BB73_4 Depth=1
	s_or_b32 exec_lo, exec_lo, s4
	v_add_co_u32 v3, vcc_lo, v1, s17
	v_add_co_ci_u32_e32 v4, vcc_lo, 0, v2, vcc_lo
	v_mov_b32_e32 v14, 0
	s_delay_alu instid0(VALU_DEP_2) | instskip(NEXT) | instid1(VALU_DEP_1)
	v_cmp_gt_u64_e64 s4, s[10:11], v[3:4]
	s_and_saveexec_b32 s5, s4
	s_cbranch_execz .LBB73_8
; %bb.7:                                ;   in Loop: Header=BB73_4 Depth=1
	v_add_co_u32 v5, vcc_lo, s14, v3
	v_add_co_ci_u32_e32 v6, vcc_lo, s15, v4, vcc_lo
	global_load_u8 v14, v[5:6], off
.LBB73_8:                               ;   in Loop: Header=BB73_4 Depth=1
	s_or_b32 exec_lo, exec_lo, s5
	v_add_co_u32 v5, vcc_lo, v1, s18
	v_add_co_ci_u32_e32 v6, vcc_lo, 0, v2, vcc_lo
	v_dual_mov_b32 v10, 0 :: v_dual_mov_b32 v13, 0
	s_delay_alu instid0(VALU_DEP_2) | instskip(NEXT) | instid1(VALU_DEP_1)
	v_cmp_gt_u64_e64 s5, s[10:11], v[5:6]
	s_and_saveexec_b32 s6, s5
	s_cbranch_execz .LBB73_10
; %bb.9:                                ;   in Loop: Header=BB73_4 Depth=1
	v_add_co_u32 v7, vcc_lo, s14, v5
	v_add_co_ci_u32_e32 v8, vcc_lo, s15, v6, vcc_lo
	global_load_u8 v13, v[7:8], off
.LBB73_10:                              ;   in Loop: Header=BB73_4 Depth=1
	s_or_b32 exec_lo, exec_lo, s6
	v_add_co_u32 v7, vcc_lo, v1, s19
	v_add_co_ci_u32_e32 v8, vcc_lo, 0, v2, vcc_lo
	s_delay_alu instid0(VALU_DEP_1) | instskip(NEXT) | instid1(VALU_DEP_1)
	v_cmp_gt_u64_e64 s6, s[10:11], v[7:8]
	s_and_saveexec_b32 s7, s6
	s_cbranch_execz .LBB73_12
; %bb.11:                               ;   in Loop: Header=BB73_4 Depth=1
	v_add_co_u32 v10, vcc_lo, s14, v7
	v_add_co_ci_u32_e32 v11, vcc_lo, s15, v8, vcc_lo
	global_load_u8 v10, v[10:11], off
.LBB73_12:                              ;   in Loop: Header=BB73_4 Depth=1
	s_or_b32 exec_lo, exec_lo, s7
	v_cmp_ne_u32_e64 s7, 1, v9
	s_and_b32 vcc_lo, exec_lo, s20
	s_cbranch_vccz .LBB73_16
; %bb.13:                               ;   in Loop: Header=BB73_4 Depth=1
	s_delay_alu instid0(VALU_DEP_1)
	s_and_b32 vcc_lo, exec_lo, s7
	s_cbranch_vccnz .LBB73_21
; %bb.14:                               ;   in Loop: Header=BB73_4 Depth=1
	v_dual_mov_b32 v16, s16 :: v_dual_mov_b32 v11, 1
	s_waitcnt vmcnt(0)
	v_mov_b32_e32 v15, v12
	.p2align	6
.LBB73_15:                              ;   Parent Loop BB73_4 Depth=1
                                        ; =>  This Inner Loop Header: Depth=2
	s_delay_alu instid0(VALU_DEP_1) | instskip(SKIP_1) | instid1(VALU_DEP_2)
	v_lshrrev_b16 v17, 7, v16
	v_add_nc_u16 v18, v16, 1
	v_and_b32_e32 v17, 1, v17
	s_delay_alu instid0(VALU_DEP_2) | instskip(NEXT) | instid1(VALU_DEP_2)
	v_and_b32_e32 v18, 0xff, v18
	v_add_nc_u16 v17, v16, v17
	v_and_b32_e32 v16, 1, v16
	s_delay_alu instid0(VALU_DEP_2) | instskip(NEXT) | instid1(VALU_DEP_2)
	v_bfe_i32 v17, v17, 0, 8
	v_cmp_eq_u32_e32 vcc_lo, 1, v16
	s_delay_alu instid0(VALU_DEP_2) | instskip(SKIP_3) | instid1(VALU_DEP_3)
	v_ashrrev_i16 v17, 1, v17
	v_cndmask_b32_e32 v16, 1, v15, vcc_lo
	v_cmp_lt_u16_e32 vcc_lo, 2, v18
	v_mul_lo_u16 v15, v15, v15
	v_mul_lo_u16 v11, v16, v11
	v_mov_b32_e32 v16, v17
	s_cbranch_vccnz .LBB73_15
	s_branch .LBB73_22
.LBB73_16:                              ;   in Loop: Header=BB73_4 Depth=1
                                        ; implicit-def: $vgpr11
	s_branch .LBB73_23
.LBB73_17:                              ;   in Loop: Header=BB73_4 Depth=1
	s_and_not1_b32 vcc_lo, exec_lo, s20
	s_cbranch_vccnz .LBB73_30
.LBB73_18:                              ;   in Loop: Header=BB73_4 Depth=1
	s_and_not1_b32 vcc_lo, exec_lo, s2
	s_cbranch_vccnz .LBB73_35
; %bb.19:                               ;   in Loop: Header=BB73_4 Depth=1
	s_waitcnt vmcnt(0)
	v_dual_mov_b32 v16, s16 :: v_dual_mov_b32 v15, v14
	v_mov_b32_e32 v12, 1
	.p2align	6
.LBB73_20:                              ;   Parent Loop BB73_4 Depth=1
                                        ; =>  This Inner Loop Header: Depth=2
	s_delay_alu instid0(VALU_DEP_1) | instskip(SKIP_1) | instid1(VALU_DEP_2)
	v_lshrrev_b16 v17, 7, v16
	v_add_nc_u16 v18, v16, 1
	v_and_b32_e32 v17, 1, v17
	s_delay_alu instid0(VALU_DEP_2) | instskip(NEXT) | instid1(VALU_DEP_2)
	v_and_b32_e32 v18, 0xff, v18
	v_add_nc_u16 v17, v16, v17
	v_and_b32_e32 v16, 1, v16
	s_delay_alu instid0(VALU_DEP_2) | instskip(NEXT) | instid1(VALU_DEP_2)
	v_bfe_i32 v17, v17, 0, 8
	v_cmp_eq_u32_e32 vcc_lo, 1, v16
	s_delay_alu instid0(VALU_DEP_2) | instskip(SKIP_3) | instid1(VALU_DEP_3)
	v_ashrrev_i16 v17, 1, v17
	v_cndmask_b32_e32 v16, 1, v15, vcc_lo
	v_cmp_gt_u16_e32 vcc_lo, 3, v18
	v_mul_lo_u16 v15, v15, v15
	v_mul_lo_u16 v12, v16, v12
	v_mov_b32_e32 v16, v17
	s_cbranch_vccz .LBB73_20
	s_branch .LBB73_36
.LBB73_21:                              ;   in Loop: Header=BB73_4 Depth=1
	v_mov_b32_e32 v11, 1
.LBB73_22:                              ;   in Loop: Header=BB73_4 Depth=1
	s_cbranch_execnz .LBB73_17
.LBB73_23:                              ;   in Loop: Header=BB73_4 Depth=1
	s_waitcnt vmcnt(0)
	v_and_b32_e32 v12, 0xff, v12
	s_mov_b32 s7, exec_lo
	s_delay_alu instid0(VALU_DEP_1)
	v_cmpx_lt_i16_e32 0xfe, v12
	s_xor_b32 s7, exec_lo, s7
; %bb.24:                               ;   in Loop: Header=BB73_4 Depth=1
                                        ; implicit-def: $vgpr12
; %bb.25:                               ;   in Loop: Header=BB73_4 Depth=1
	s_delay_alu instid0(SALU_CYCLE_1)
	s_or_saveexec_b32 s7, s7
	v_mov_b32_e32 v11, s21
	s_xor_b32 exec_lo, exec_lo, s7
	s_cbranch_execz .LBB73_29
; %bb.26:                               ;   in Loop: Header=BB73_4 Depth=1
	v_mov_b32_e32 v11, 1
	s_mov_b32 s23, exec_lo
	v_cmpx_ne_u16_e32 1, v12
; %bb.27:                               ;   in Loop: Header=BB73_4 Depth=1
	v_mov_b32_e32 v11, 0
; %bb.28:                               ;   in Loop: Header=BB73_4 Depth=1
	s_or_b32 exec_lo, exec_lo, s23
.LBB73_29:                              ;   in Loop: Header=BB73_4 Depth=1
	s_delay_alu instid0(SALU_CYCLE_1) | instskip(NEXT) | instid1(SALU_CYCLE_1)
	s_or_b32 exec_lo, exec_lo, s7
	s_and_not1_b32 vcc_lo, exec_lo, s20
	s_cbranch_vccz .LBB73_18
.LBB73_30:                              ;   in Loop: Header=BB73_4 Depth=1
                                        ; implicit-def: $vgpr12
	s_branch .LBB73_37
.LBB73_31:                              ;   in Loop: Header=BB73_4 Depth=1
	s_and_not1_b32 vcc_lo, exec_lo, s20
	s_cbranch_vccnz .LBB73_44
.LBB73_32:                              ;   in Loop: Header=BB73_4 Depth=1
	s_and_not1_b32 vcc_lo, exec_lo, s2
	s_cbranch_vccnz .LBB73_49
; %bb.33:                               ;   in Loop: Header=BB73_4 Depth=1
	s_waitcnt vmcnt(0)
	v_dual_mov_b32 v16, s16 :: v_dual_mov_b32 v15, v13
	v_mov_b32_e32 v14, 1
	.p2align	6
.LBB73_34:                              ;   Parent Loop BB73_4 Depth=1
                                        ; =>  This Inner Loop Header: Depth=2
	s_delay_alu instid0(VALU_DEP_1) | instskip(SKIP_1) | instid1(VALU_DEP_2)
	v_lshrrev_b16 v17, 7, v16
	v_add_nc_u16 v18, v16, 1
	v_and_b32_e32 v17, 1, v17
	s_delay_alu instid0(VALU_DEP_2) | instskip(NEXT) | instid1(VALU_DEP_2)
	v_and_b32_e32 v18, 0xff, v18
	v_add_nc_u16 v17, v16, v17
	v_and_b32_e32 v16, 1, v16
	s_delay_alu instid0(VALU_DEP_2) | instskip(NEXT) | instid1(VALU_DEP_2)
	v_bfe_i32 v17, v17, 0, 8
	v_cmp_eq_u32_e32 vcc_lo, 1, v16
	s_delay_alu instid0(VALU_DEP_2) | instskip(SKIP_3) | instid1(VALU_DEP_3)
	v_ashrrev_i16 v17, 1, v17
	v_cndmask_b32_e32 v16, 1, v15, vcc_lo
	v_cmp_gt_u16_e32 vcc_lo, 3, v18
	v_mul_lo_u16 v15, v15, v15
	v_mul_lo_u16 v14, v16, v14
	v_mov_b32_e32 v16, v17
	s_cbranch_vccz .LBB73_34
	s_branch .LBB73_50
.LBB73_35:                              ;   in Loop: Header=BB73_4 Depth=1
	s_waitcnt vmcnt(0)
	v_mov_b32_e32 v12, 1
.LBB73_36:                              ;   in Loop: Header=BB73_4 Depth=1
	s_cbranch_execnz .LBB73_31
.LBB73_37:                              ;   in Loop: Header=BB73_4 Depth=1
	s_waitcnt vmcnt(0)
	v_and_b32_e32 v14, 0xff, v14
	s_mov_b32 s7, exec_lo
	s_delay_alu instid0(VALU_DEP_1)
	v_cmpx_lt_i16_e32 0xfe, v14
	s_xor_b32 s7, exec_lo, s7
; %bb.38:                               ;   in Loop: Header=BB73_4 Depth=1
                                        ; implicit-def: $vgpr14
; %bb.39:                               ;   in Loop: Header=BB73_4 Depth=1
	s_delay_alu instid0(SALU_CYCLE_1)
	s_or_saveexec_b32 s7, s7
	v_mov_b32_e32 v12, s21
	s_xor_b32 exec_lo, exec_lo, s7
	s_cbranch_execz .LBB73_43
; %bb.40:                               ;   in Loop: Header=BB73_4 Depth=1
	v_mov_b32_e32 v12, 1
	s_mov_b32 s23, exec_lo
	v_cmpx_ne_u16_e32 1, v14
; %bb.41:                               ;   in Loop: Header=BB73_4 Depth=1
	v_mov_b32_e32 v12, 0
; %bb.42:                               ;   in Loop: Header=BB73_4 Depth=1
	s_or_b32 exec_lo, exec_lo, s23
.LBB73_43:                              ;   in Loop: Header=BB73_4 Depth=1
	s_delay_alu instid0(SALU_CYCLE_1) | instskip(NEXT) | instid1(SALU_CYCLE_1)
	s_or_b32 exec_lo, exec_lo, s7
	s_and_not1_b32 vcc_lo, exec_lo, s20
	s_cbranch_vccz .LBB73_32
.LBB73_44:                              ;   in Loop: Header=BB73_4 Depth=1
                                        ; implicit-def: $vgpr14
	s_branch .LBB73_51
.LBB73_45:                              ;   in Loop: Header=BB73_4 Depth=1
	s_and_not1_b32 vcc_lo, exec_lo, s20
	s_cbranch_vccnz .LBB73_58
.LBB73_46:                              ;   in Loop: Header=BB73_4 Depth=1
	s_and_not1_b32 vcc_lo, exec_lo, s2
	s_cbranch_vccnz .LBB73_59
; %bb.47:                               ;   in Loop: Header=BB73_4 Depth=1
	s_waitcnt vmcnt(0)
	v_dual_mov_b32 v16, s16 :: v_dual_mov_b32 v13, 1
	v_mov_b32_e32 v15, v10
	.p2align	6
.LBB73_48:                              ;   Parent Loop BB73_4 Depth=1
                                        ; =>  This Inner Loop Header: Depth=2
	s_delay_alu instid0(VALU_DEP_1) | instskip(SKIP_1) | instid1(VALU_DEP_2)
	v_lshrrev_b16 v17, 7, v16
	v_add_nc_u16 v18, v16, 1
	v_and_b32_e32 v17, 1, v17
	s_delay_alu instid0(VALU_DEP_2) | instskip(NEXT) | instid1(VALU_DEP_2)
	v_and_b32_e32 v18, 0xff, v18
	v_add_nc_u16 v17, v16, v17
	v_and_b32_e32 v16, 1, v16
	s_delay_alu instid0(VALU_DEP_2) | instskip(NEXT) | instid1(VALU_DEP_2)
	v_bfe_i32 v17, v17, 0, 8
	v_cmp_eq_u32_e32 vcc_lo, 1, v16
	s_delay_alu instid0(VALU_DEP_2) | instskip(SKIP_3) | instid1(VALU_DEP_3)
	v_ashrrev_i16 v17, 1, v17
	v_cndmask_b32_e32 v16, 1, v15, vcc_lo
	v_cmp_gt_u16_e32 vcc_lo, 3, v18
	v_mul_lo_u16 v15, v15, v15
	v_mul_lo_u16 v13, v16, v13
	v_mov_b32_e32 v16, v17
	s_cbranch_vccz .LBB73_48
	s_branch .LBB73_60
.LBB73_49:                              ;   in Loop: Header=BB73_4 Depth=1
	s_waitcnt vmcnt(0)
	v_mov_b32_e32 v14, 1
.LBB73_50:                              ;   in Loop: Header=BB73_4 Depth=1
	s_cbranch_execnz .LBB73_45
.LBB73_51:                              ;   in Loop: Header=BB73_4 Depth=1
	s_waitcnt vmcnt(0)
	v_and_b32_e32 v13, 0xff, v13
	s_mov_b32 s7, exec_lo
	s_delay_alu instid0(VALU_DEP_1)
	v_cmpx_lt_i16_e32 0xfe, v13
	s_xor_b32 s7, exec_lo, s7
; %bb.52:                               ;   in Loop: Header=BB73_4 Depth=1
                                        ; implicit-def: $vgpr13
; %bb.53:                               ;   in Loop: Header=BB73_4 Depth=1
	s_delay_alu instid0(SALU_CYCLE_1)
	s_or_saveexec_b32 s7, s7
	v_mov_b32_e32 v14, s21
	s_xor_b32 exec_lo, exec_lo, s7
	s_cbranch_execz .LBB73_57
; %bb.54:                               ;   in Loop: Header=BB73_4 Depth=1
	v_mov_b32_e32 v14, 1
	s_mov_b32 s23, exec_lo
	v_cmpx_ne_u16_e32 1, v13
; %bb.55:                               ;   in Loop: Header=BB73_4 Depth=1
	v_mov_b32_e32 v14, 0
; %bb.56:                               ;   in Loop: Header=BB73_4 Depth=1
	s_or_b32 exec_lo, exec_lo, s23
.LBB73_57:                              ;   in Loop: Header=BB73_4 Depth=1
	s_delay_alu instid0(SALU_CYCLE_1) | instskip(NEXT) | instid1(SALU_CYCLE_1)
	s_or_b32 exec_lo, exec_lo, s7
	s_and_not1_b32 vcc_lo, exec_lo, s20
	s_cbranch_vccz .LBB73_46
.LBB73_58:                              ;   in Loop: Header=BB73_4 Depth=1
                                        ; implicit-def: $vgpr13
	s_branch .LBB73_61
.LBB73_59:                              ;   in Loop: Header=BB73_4 Depth=1
	s_waitcnt vmcnt(0)
	v_mov_b32_e32 v13, 1
.LBB73_60:                              ;   in Loop: Header=BB73_4 Depth=1
	s_cbranch_execnz .LBB73_68
.LBB73_61:                              ;   in Loop: Header=BB73_4 Depth=1
	s_waitcnt vmcnt(0)
	v_and_b32_e32 v10, 0xff, v10
	s_mov_b32 s7, exec_lo
	s_delay_alu instid0(VALU_DEP_1)
	v_cmpx_lt_i16_e32 0xfe, v10
	s_xor_b32 s7, exec_lo, s7
; %bb.62:                               ;   in Loop: Header=BB73_4 Depth=1
                                        ; implicit-def: $vgpr10
; %bb.63:                               ;   in Loop: Header=BB73_4 Depth=1
	s_delay_alu instid0(SALU_CYCLE_1)
	s_or_saveexec_b32 s7, s7
	v_mov_b32_e32 v13, s21
	s_xor_b32 exec_lo, exec_lo, s7
	s_cbranch_execz .LBB73_67
; %bb.64:                               ;   in Loop: Header=BB73_4 Depth=1
	v_mov_b32_e32 v13, 1
	s_mov_b32 s23, exec_lo
	v_cmpx_ne_u16_e32 1, v10
; %bb.65:                               ;   in Loop: Header=BB73_4 Depth=1
	v_mov_b32_e32 v13, 0
; %bb.66:                               ;   in Loop: Header=BB73_4 Depth=1
	s_or_b32 exec_lo, exec_lo, s23
.LBB73_67:                              ;   in Loop: Header=BB73_4 Depth=1
	s_delay_alu instid0(SALU_CYCLE_1)
	s_or_b32 exec_lo, exec_lo, s7
.LBB73_68:                              ;   in Loop: Header=BB73_4 Depth=1
	s_and_saveexec_b32 s7, s3
	s_delay_alu instid0(SALU_CYCLE_1)
	s_xor_b32 s3, exec_lo, s7
	s_cbranch_execnz .LBB73_72
; %bb.69:                               ;   in Loop: Header=BB73_4 Depth=1
	s_or_b32 exec_lo, exec_lo, s3
	s_and_saveexec_b32 s3, s4
	s_cbranch_execnz .LBB73_73
.LBB73_70:                              ;   in Loop: Header=BB73_4 Depth=1
	s_or_b32 exec_lo, exec_lo, s3
	s_and_saveexec_b32 s3, s5
	s_cbranch_execnz .LBB73_74
.LBB73_71:                              ;   in Loop: Header=BB73_4 Depth=1
	s_or_b32 exec_lo, exec_lo, s3
	s_and_saveexec_b32 s3, s6
	s_cbranch_execz .LBB73_3
	s_branch .LBB73_75
.LBB73_72:                              ;   in Loop: Header=BB73_4 Depth=1
	v_add_co_u32 v1, vcc_lo, s14, v1
	v_add_co_ci_u32_e32 v2, vcc_lo, s15, v2, vcc_lo
	global_store_b8 v[1:2], v11, off
	s_or_b32 exec_lo, exec_lo, s3
	s_and_saveexec_b32 s3, s4
	s_cbranch_execz .LBB73_70
.LBB73_73:                              ;   in Loop: Header=BB73_4 Depth=1
	v_add_co_u32 v1, vcc_lo, s14, v3
	v_add_co_ci_u32_e32 v2, vcc_lo, s15, v4, vcc_lo
	s_waitcnt vmcnt(0)
	global_store_b8 v[1:2], v12, off
	s_or_b32 exec_lo, exec_lo, s3
	s_and_saveexec_b32 s3, s5
	s_cbranch_execz .LBB73_71
.LBB73_74:                              ;   in Loop: Header=BB73_4 Depth=1
	v_add_co_u32 v1, vcc_lo, s14, v5
	v_add_co_ci_u32_e32 v2, vcc_lo, s15, v6, vcc_lo
	s_waitcnt vmcnt(0)
	global_store_b8 v[1:2], v14, off
	s_or_b32 exec_lo, exec_lo, s3
	s_and_saveexec_b32 s3, s6
	s_cbranch_execz .LBB73_3
.LBB73_75:                              ;   in Loop: Header=BB73_4 Depth=1
	v_add_co_u32 v1, vcc_lo, s14, v7
	v_add_co_ci_u32_e32 v2, vcc_lo, s15, v8, vcc_lo
	s_waitcnt vmcnt(0)
	global_store_b8 v[1:2], v13, off
	s_branch .LBB73_3
.LBB73_76:
	s_cbranch_execz .LBB73_78
	s_branch .LBB73_137
.LBB73_77:
.LBB73_78:
	v_dual_mov_b32 v2, 0 :: v_dual_lshlrev_b32 v1, 2, v0
	s_mov_b32 s2, 0
	s_mov_b32 s3, exec_lo
	s_delay_alu instid0(VALU_DEP_1)
	v_cmpx_gt_i64_e64 s[8:9], v[1:2]
	s_cbranch_execz .LBB73_137
; %bb.79:
	s_load_b32 s1, s[0:1], 0xcb4
	v_and_b32_e64 v4, 0xff, s16
	v_and_b32_e64 v3, s16, 1
	s_sext_i32_i8 s0, s16
	v_mov_b32_e32 v1, v2
	s_cmp_gt_i32 s0, -1
	v_cmp_ne_u16_e64 s0, 0, v4
	v_cmp_eq_u16_e32 vcc_lo, 0, v3
	s_cselect_b32 s3, -1, 0
	s_delay_alu instid0(VALU_DEP_2)
	v_cndmask_b32_e64 v4, 0, 1, s0
	s_and_b32 s4, vcc_lo, exec_lo
	s_cselect_b32 s4, 1, 0xff
	s_waitcnt lgkmcnt(0)
	s_and_b32 s5, s1, 0xffff
	s_branch .LBB73_83
.LBB73_80:                              ;   in Loop: Header=BB73_83 Depth=1
	s_or_b32 exec_lo, exec_lo, s6
.LBB73_81:                              ;   in Loop: Header=BB73_83 Depth=1
	s_delay_alu instid0(SALU_CYCLE_1)
	s_or_b32 exec_lo, exec_lo, s1
.LBB73_82:                              ;   in Loop: Header=BB73_83 Depth=1
	v_add_co_u32 v0, vcc_lo, v0, s5
	v_add_co_ci_u32_e32 v1, vcc_lo, 0, v1, vcc_lo
	v_and_b32_e32 v10, 0xff, v8
	v_and_b32_e32 v7, 0xff, v7
	;; [unrolled: 1-line block ×3, first 2 shown]
	s_delay_alu instid0(VALU_DEP_4) | instskip(NEXT) | instid1(VALU_DEP_4)
	v_lshlrev_b64 v[8:9], 2, v[0:1]
	v_lshlrev_b32_e32 v10, 16, v10
	s_delay_alu instid0(VALU_DEP_4) | instskip(NEXT) | instid1(VALU_DEP_3)
	v_lshlrev_b32_e32 v7, 8, v7
	v_cmp_le_i64_e32 vcc_lo, s[8:9], v[8:9]
	v_cmp_lt_u64_e64 s1, 0xffff, v[8:9]
	s_delay_alu instid0(VALU_DEP_4) | instskip(NEXT) | instid1(VALU_DEP_1)
	v_lshl_or_b32 v6, v6, 24, v10
	v_or3_b32 v5, v6, v7, v5
	s_delay_alu instid0(VALU_DEP_3) | instskip(NEXT) | instid1(SALU_CYCLE_1)
	s_or_b32 s1, vcc_lo, s1
	s_and_b32 s1, exec_lo, s1
	s_delay_alu instid0(SALU_CYCLE_1)
	s_or_b32 s2, s1, s2
	global_store_b32 v[2:3], v5, off
	s_and_not1_b32 exec_lo, exec_lo, s2
	s_cbranch_execz .LBB73_137
.LBB73_83:                              ; =>This Loop Header: Depth=1
                                        ;     Child Loop BB73_91 Depth 2
                                        ;     Child Loop BB73_88 Depth 2
                                        ;     Child Loop BB73_98 Depth 2
                                        ;     Child Loop BB73_119 Depth 2
	v_lshlrev_b64 v[2:3], 2, v[0:1]
	v_cmp_ne_u32_e64 s1, 1, v4
	s_mov_b32 s6, -1
                                        ; implicit-def: $vgpr5
	s_delay_alu instid0(VALU_DEP_2) | instskip(NEXT) | instid1(VALU_DEP_3)
	v_add_co_u32 v2, vcc_lo, s14, v2
	v_add_co_ci_u32_e32 v3, vcc_lo, s15, v3, vcc_lo
	s_and_b32 vcc_lo, exec_lo, s3
	global_load_b32 v6, v[2:3], off
	s_cbranch_vccnz .LBB73_89
; %bb.84:                               ;   in Loop: Header=BB73_83 Depth=1
	s_and_not1_b32 vcc_lo, exec_lo, s6
	s_cbranch_vccz .LBB73_100
.LBB73_85:                              ;   in Loop: Header=BB73_83 Depth=1
	s_waitcnt vmcnt(0)
	v_lshrrev_b32_e32 v8, 8, v6
	s_and_not1_b32 vcc_lo, exec_lo, s3
	s_cbranch_vccnz .LBB73_107
.LBB73_86:                              ;   in Loop: Header=BB73_83 Depth=1
	s_and_not1_b32 vcc_lo, exec_lo, s0
	s_cbranch_vccnz .LBB73_93
; %bb.87:                               ;   in Loop: Header=BB73_83 Depth=1
	v_dual_mov_b32 v10, s16 :: v_dual_mov_b32 v7, 1
	v_mov_b32_e32 v9, v8
	.p2align	6
.LBB73_88:                              ;   Parent Loop BB73_83 Depth=1
                                        ; =>  This Inner Loop Header: Depth=2
	s_delay_alu instid0(VALU_DEP_1) | instskip(SKIP_1) | instid1(VALU_DEP_2)
	v_lshrrev_b16 v11, 7, v10
	v_add_nc_u16 v12, v10, 1
	v_and_b32_e32 v11, 1, v11
	s_delay_alu instid0(VALU_DEP_2) | instskip(NEXT) | instid1(VALU_DEP_2)
	v_and_b32_e32 v12, 0xff, v12
	v_add_nc_u16 v11, v10, v11
	v_and_b32_e32 v10, 1, v10
	s_delay_alu instid0(VALU_DEP_2) | instskip(NEXT) | instid1(VALU_DEP_2)
	v_bfe_i32 v11, v11, 0, 8
	v_cmp_eq_u32_e32 vcc_lo, 1, v10
	s_delay_alu instid0(VALU_DEP_2) | instskip(SKIP_3) | instid1(VALU_DEP_3)
	v_ashrrev_i16 v11, 1, v11
	v_cndmask_b32_e32 v10, 1, v9, vcc_lo
	v_cmp_gt_u16_e32 vcc_lo, 3, v12
	v_mul_lo_u16 v9, v9, v9
	v_mul_lo_u16 v7, v10, v7
	v_mov_b32_e32 v10, v11
	s_cbranch_vccz .LBB73_88
	s_branch .LBB73_94
.LBB73_89:                              ;   in Loop: Header=BB73_83 Depth=1
	s_and_b32 vcc_lo, exec_lo, s1
	s_cbranch_vccnz .LBB73_99
; %bb.90:                               ;   in Loop: Header=BB73_83 Depth=1
	v_dual_mov_b32 v8, s16 :: v_dual_mov_b32 v5, 1
	s_waitcnt vmcnt(0)
	v_mov_b32_e32 v7, v6
	.p2align	6
.LBB73_91:                              ;   Parent Loop BB73_83 Depth=1
                                        ; =>  This Inner Loop Header: Depth=2
	s_delay_alu instid0(VALU_DEP_1) | instskip(SKIP_1) | instid1(VALU_DEP_2)
	v_lshrrev_b16 v9, 7, v8
	v_add_nc_u16 v10, v8, 1
	v_and_b32_e32 v9, 1, v9
	s_delay_alu instid0(VALU_DEP_2) | instskip(NEXT) | instid1(VALU_DEP_2)
	v_and_b32_e32 v10, 0xff, v10
	v_add_nc_u16 v9, v8, v9
	v_and_b32_e32 v8, 1, v8
	s_delay_alu instid0(VALU_DEP_2) | instskip(NEXT) | instid1(VALU_DEP_2)
	v_bfe_i32 v9, v9, 0, 8
	v_cmp_eq_u32_e32 vcc_lo, 1, v8
	s_delay_alu instid0(VALU_DEP_2) | instskip(SKIP_3) | instid1(VALU_DEP_3)
	v_ashrrev_i16 v9, 1, v9
	v_cndmask_b32_e32 v8, 1, v7, vcc_lo
	v_cmp_lt_u16_e32 vcc_lo, 2, v10
	v_mul_lo_u16 v7, v7, v7
	v_mul_lo_u16 v5, v8, v5
	v_mov_b32_e32 v8, v9
	s_cbranch_vccnz .LBB73_91
; %bb.92:                               ;   in Loop: Header=BB73_83 Depth=1
	s_cbranch_execnz .LBB73_85
	s_branch .LBB73_100
.LBB73_93:                              ;   in Loop: Header=BB73_83 Depth=1
	v_mov_b32_e32 v7, 1
.LBB73_94:                              ;   in Loop: Header=BB73_83 Depth=1
	s_cbranch_execz .LBB73_108
; %bb.95:                               ;   in Loop: Header=BB73_83 Depth=1
	v_lshrrev_b32_e32 v9, 16, v6
	s_and_not1_b32 vcc_lo, exec_lo, s3
	s_cbranch_vccnz .LBB73_115
.LBB73_96:                              ;   in Loop: Header=BB73_83 Depth=1
	s_and_not1_b32 vcc_lo, exec_lo, s0
	s_cbranch_vccnz .LBB73_120
; %bb.97:                               ;   in Loop: Header=BB73_83 Depth=1
	v_dual_mov_b32 v11, s16 :: v_dual_mov_b32 v8, 1
	v_mov_b32_e32 v10, v9
	.p2align	6
.LBB73_98:                              ;   Parent Loop BB73_83 Depth=1
                                        ; =>  This Inner Loop Header: Depth=2
	s_delay_alu instid0(VALU_DEP_1) | instskip(SKIP_1) | instid1(VALU_DEP_2)
	v_lshrrev_b16 v12, 7, v11
	v_add_nc_u16 v13, v11, 1
	v_and_b32_e32 v12, 1, v12
	s_delay_alu instid0(VALU_DEP_2) | instskip(NEXT) | instid1(VALU_DEP_2)
	v_and_b32_e32 v13, 0xff, v13
	v_add_nc_u16 v12, v11, v12
	v_and_b32_e32 v11, 1, v11
	s_delay_alu instid0(VALU_DEP_2) | instskip(NEXT) | instid1(VALU_DEP_2)
	v_bfe_i32 v12, v12, 0, 8
	v_cmp_eq_u32_e32 vcc_lo, 1, v11
	s_delay_alu instid0(VALU_DEP_2) | instskip(SKIP_3) | instid1(VALU_DEP_3)
	v_ashrrev_i16 v12, 1, v12
	v_cndmask_b32_e32 v11, 1, v10, vcc_lo
	v_cmp_gt_u16_e32 vcc_lo, 3, v13
	v_mul_lo_u16 v10, v10, v10
	v_mul_lo_u16 v8, v11, v8
	v_mov_b32_e32 v11, v12
	s_cbranch_vccz .LBB73_98
	s_branch .LBB73_121
.LBB73_99:                              ;   in Loop: Header=BB73_83 Depth=1
	v_mov_b32_e32 v5, 1
	s_cbranch_execnz .LBB73_85
.LBB73_100:                             ;   in Loop: Header=BB73_83 Depth=1
	s_waitcnt vmcnt(0)
	v_and_b32_e32 v7, 0xff, v6
	s_mov_b32 s1, exec_lo
	s_delay_alu instid0(VALU_DEP_1)
	v_cmpx_lt_i16_e32 0xfe, v7
	s_xor_b32 s1, exec_lo, s1
; %bb.101:                              ;   in Loop: Header=BB73_83 Depth=1
                                        ; implicit-def: $vgpr7
; %bb.102:                              ;   in Loop: Header=BB73_83 Depth=1
	s_delay_alu instid0(SALU_CYCLE_1)
	s_or_saveexec_b32 s1, s1
	v_mov_b32_e32 v5, s4
	s_xor_b32 exec_lo, exec_lo, s1
	s_cbranch_execz .LBB73_106
; %bb.103:                              ;   in Loop: Header=BB73_83 Depth=1
	v_mov_b32_e32 v5, 1
	s_mov_b32 s6, exec_lo
	v_cmpx_ne_u16_e32 1, v7
; %bb.104:                              ;   in Loop: Header=BB73_83 Depth=1
	v_mov_b32_e32 v5, 0
; %bb.105:                              ;   in Loop: Header=BB73_83 Depth=1
	s_or_b32 exec_lo, exec_lo, s6
.LBB73_106:                             ;   in Loop: Header=BB73_83 Depth=1
	s_delay_alu instid0(SALU_CYCLE_1)
	s_or_b32 exec_lo, exec_lo, s1
	v_lshrrev_b32_e32 v8, 8, v6
	s_and_not1_b32 vcc_lo, exec_lo, s3
	s_cbranch_vccz .LBB73_86
.LBB73_107:                             ;   in Loop: Header=BB73_83 Depth=1
                                        ; implicit-def: $vgpr7
.LBB73_108:                             ;   in Loop: Header=BB73_83 Depth=1
	s_delay_alu instid0(VALU_DEP_1) | instskip(SKIP_1) | instid1(VALU_DEP_1)
	v_and_b32_e32 v8, 0xff, v8
	s_mov_b32 s1, exec_lo
	v_cmpx_lt_i16_e32 0xfe, v8
	s_xor_b32 s1, exec_lo, s1
; %bb.109:                              ;   in Loop: Header=BB73_83 Depth=1
                                        ; implicit-def: $vgpr8
; %bb.110:                              ;   in Loop: Header=BB73_83 Depth=1
	s_delay_alu instid0(SALU_CYCLE_1)
	s_or_saveexec_b32 s1, s1
	v_mov_b32_e32 v7, s4
	s_xor_b32 exec_lo, exec_lo, s1
	s_cbranch_execz .LBB73_114
; %bb.111:                              ;   in Loop: Header=BB73_83 Depth=1
	v_mov_b32_e32 v7, 1
	s_mov_b32 s6, exec_lo
	v_cmpx_ne_u16_e32 1, v8
; %bb.112:                              ;   in Loop: Header=BB73_83 Depth=1
	v_mov_b32_e32 v7, 0
; %bb.113:                              ;   in Loop: Header=BB73_83 Depth=1
	s_or_b32 exec_lo, exec_lo, s6
.LBB73_114:                             ;   in Loop: Header=BB73_83 Depth=1
	s_delay_alu instid0(SALU_CYCLE_1)
	s_or_b32 exec_lo, exec_lo, s1
	v_lshrrev_b32_e32 v9, 16, v6
	s_and_not1_b32 vcc_lo, exec_lo, s3
	s_cbranch_vccz .LBB73_96
.LBB73_115:                             ;   in Loop: Header=BB73_83 Depth=1
                                        ; implicit-def: $vgpr8
	s_branch .LBB73_122
.LBB73_116:                             ;   in Loop: Header=BB73_83 Depth=1
	v_lshrrev_b32_e32 v9, 24, v6
	s_and_not1_b32 vcc_lo, exec_lo, s3
	s_cbranch_vccnz .LBB73_129
.LBB73_117:                             ;   in Loop: Header=BB73_83 Depth=1
	s_and_not1_b32 vcc_lo, exec_lo, s0
	s_cbranch_vccnz .LBB73_130
; %bb.118:                              ;   in Loop: Header=BB73_83 Depth=1
	v_dual_mov_b32 v11, s16 :: v_dual_mov_b32 v6, 1
	v_mov_b32_e32 v10, v9
	.p2align	6
.LBB73_119:                             ;   Parent Loop BB73_83 Depth=1
                                        ; =>  This Inner Loop Header: Depth=2
	s_delay_alu instid0(VALU_DEP_1) | instskip(SKIP_1) | instid1(VALU_DEP_2)
	v_lshrrev_b16 v12, 7, v11
	v_add_nc_u16 v13, v11, 1
	v_and_b32_e32 v12, 1, v12
	s_delay_alu instid0(VALU_DEP_2) | instskip(NEXT) | instid1(VALU_DEP_2)
	v_and_b32_e32 v13, 0xff, v13
	v_add_nc_u16 v12, v11, v12
	v_and_b32_e32 v11, 1, v11
	s_delay_alu instid0(VALU_DEP_2) | instskip(NEXT) | instid1(VALU_DEP_2)
	v_bfe_i32 v12, v12, 0, 8
	v_cmp_eq_u32_e32 vcc_lo, 1, v11
	s_delay_alu instid0(VALU_DEP_2) | instskip(SKIP_3) | instid1(VALU_DEP_3)
	v_ashrrev_i16 v12, 1, v12
	v_cndmask_b32_e32 v11, 1, v10, vcc_lo
	v_cmp_gt_u16_e32 vcc_lo, 3, v13
	v_mul_lo_u16 v10, v10, v10
	v_mul_lo_u16 v6, v11, v6
	v_mov_b32_e32 v11, v12
	s_cbranch_vccz .LBB73_119
	s_branch .LBB73_131
.LBB73_120:                             ;   in Loop: Header=BB73_83 Depth=1
	v_mov_b32_e32 v8, 1
.LBB73_121:                             ;   in Loop: Header=BB73_83 Depth=1
	s_cbranch_execnz .LBB73_116
.LBB73_122:                             ;   in Loop: Header=BB73_83 Depth=1
	s_delay_alu instid0(VALU_DEP_1) | instskip(SKIP_1) | instid1(VALU_DEP_1)
	v_and_b32_e32 v9, 0xff, v9
	s_mov_b32 s1, exec_lo
	v_cmpx_lt_i16_e32 0xfe, v9
	s_xor_b32 s1, exec_lo, s1
; %bb.123:                              ;   in Loop: Header=BB73_83 Depth=1
                                        ; implicit-def: $vgpr9
; %bb.124:                              ;   in Loop: Header=BB73_83 Depth=1
	s_delay_alu instid0(SALU_CYCLE_1)
	s_or_saveexec_b32 s1, s1
	v_mov_b32_e32 v8, s4
	s_xor_b32 exec_lo, exec_lo, s1
	s_cbranch_execz .LBB73_128
; %bb.125:                              ;   in Loop: Header=BB73_83 Depth=1
	v_mov_b32_e32 v8, 1
	s_mov_b32 s6, exec_lo
	v_cmpx_ne_u16_e32 1, v9
; %bb.126:                              ;   in Loop: Header=BB73_83 Depth=1
	v_mov_b32_e32 v8, 0
; %bb.127:                              ;   in Loop: Header=BB73_83 Depth=1
	s_or_b32 exec_lo, exec_lo, s6
.LBB73_128:                             ;   in Loop: Header=BB73_83 Depth=1
	s_delay_alu instid0(SALU_CYCLE_1)
	s_or_b32 exec_lo, exec_lo, s1
	v_lshrrev_b32_e32 v9, 24, v6
	s_and_not1_b32 vcc_lo, exec_lo, s3
	s_cbranch_vccz .LBB73_117
.LBB73_129:                             ;   in Loop: Header=BB73_83 Depth=1
                                        ; implicit-def: $vgpr6
	s_branch .LBB73_132
.LBB73_130:                             ;   in Loop: Header=BB73_83 Depth=1
	v_mov_b32_e32 v6, 1
.LBB73_131:                             ;   in Loop: Header=BB73_83 Depth=1
	s_cbranch_execnz .LBB73_82
.LBB73_132:                             ;   in Loop: Header=BB73_83 Depth=1
	s_mov_b32 s1, exec_lo
	v_cmpx_lt_i16_e32 0xfe, v9
	s_xor_b32 s1, exec_lo, s1
; %bb.133:                              ;   in Loop: Header=BB73_83 Depth=1
                                        ; implicit-def: $vgpr9
; %bb.134:                              ;   in Loop: Header=BB73_83 Depth=1
	s_delay_alu instid0(SALU_CYCLE_1)
	s_or_saveexec_b32 s1, s1
	v_mov_b32_e32 v6, s4
	s_xor_b32 exec_lo, exec_lo, s1
	s_cbranch_execz .LBB73_81
; %bb.135:                              ;   in Loop: Header=BB73_83 Depth=1
	v_mov_b32_e32 v6, 1
	s_mov_b32 s6, exec_lo
	v_cmpx_ne_u16_e32 1, v9
	s_cbranch_execz .LBB73_80
; %bb.136:                              ;   in Loop: Header=BB73_83 Depth=1
	v_mov_b32_e32 v6, 0
	s_branch .LBB73_80
.LBB73_137:
	s_nop 0
	s_sendmsg sendmsg(MSG_DEALLOC_VGPRS)
	s_endpgm
	.section	.rodata,"a",@progbits
	.p2align	6, 0x0
	.amdhsa_kernel _ZN2at6native12_GLOBAL__N_125multi_tensor_apply_kernelINS1_28TensorListScalarListMetadataIaLi1EEENS1_25BinaryOpScalarListFunctorIaLi1ELi1ELi0EEEJNS1_13power_functorIaEEEEEvT_T0_DpT1_
		.amdhsa_group_segment_fixed_size 0
		.amdhsa_private_segment_fixed_size 0
		.amdhsa_kernarg_size 3496
		.amdhsa_user_sgpr_count 15
		.amdhsa_user_sgpr_dispatch_ptr 0
		.amdhsa_user_sgpr_queue_ptr 0
		.amdhsa_user_sgpr_kernarg_segment_ptr 1
		.amdhsa_user_sgpr_dispatch_id 0
		.amdhsa_user_sgpr_private_segment_size 0
		.amdhsa_wavefront_size32 1
		.amdhsa_uses_dynamic_stack 0
		.amdhsa_enable_private_segment 0
		.amdhsa_system_sgpr_workgroup_id_x 1
		.amdhsa_system_sgpr_workgroup_id_y 0
		.amdhsa_system_sgpr_workgroup_id_z 0
		.amdhsa_system_sgpr_workgroup_info 0
		.amdhsa_system_vgpr_workitem_id 0
		.amdhsa_next_free_vgpr 19
		.amdhsa_next_free_sgpr 24
		.amdhsa_reserve_vcc 1
		.amdhsa_float_round_mode_32 0
		.amdhsa_float_round_mode_16_64 0
		.amdhsa_float_denorm_mode_32 3
		.amdhsa_float_denorm_mode_16_64 3
		.amdhsa_dx10_clamp 1
		.amdhsa_ieee_mode 1
		.amdhsa_fp16_overflow 0
		.amdhsa_workgroup_processor_mode 1
		.amdhsa_memory_ordered 1
		.amdhsa_forward_progress 0
		.amdhsa_shared_vgpr_count 0
		.amdhsa_exception_fp_ieee_invalid_op 0
		.amdhsa_exception_fp_denorm_src 0
		.amdhsa_exception_fp_ieee_div_zero 0
		.amdhsa_exception_fp_ieee_overflow 0
		.amdhsa_exception_fp_ieee_underflow 0
		.amdhsa_exception_fp_ieee_inexact 0
		.amdhsa_exception_int_div_zero 0
	.end_amdhsa_kernel
	.section	.text._ZN2at6native12_GLOBAL__N_125multi_tensor_apply_kernelINS1_28TensorListScalarListMetadataIaLi1EEENS1_25BinaryOpScalarListFunctorIaLi1ELi1ELi0EEEJNS1_13power_functorIaEEEEEvT_T0_DpT1_,"axG",@progbits,_ZN2at6native12_GLOBAL__N_125multi_tensor_apply_kernelINS1_28TensorListScalarListMetadataIaLi1EEENS1_25BinaryOpScalarListFunctorIaLi1ELi1ELi0EEEJNS1_13power_functorIaEEEEEvT_T0_DpT1_,comdat
.Lfunc_end73:
	.size	_ZN2at6native12_GLOBAL__N_125multi_tensor_apply_kernelINS1_28TensorListScalarListMetadataIaLi1EEENS1_25BinaryOpScalarListFunctorIaLi1ELi1ELi0EEEJNS1_13power_functorIaEEEEEvT_T0_DpT1_, .Lfunc_end73-_ZN2at6native12_GLOBAL__N_125multi_tensor_apply_kernelINS1_28TensorListScalarListMetadataIaLi1EEENS1_25BinaryOpScalarListFunctorIaLi1ELi1ELi0EEEJNS1_13power_functorIaEEEEEvT_T0_DpT1_
                                        ; -- End function
	.section	.AMDGPU.csdata,"",@progbits
; Kernel info:
; codeLenInByte = 3104
; NumSgprs: 26
; NumVgprs: 19
; ScratchSize: 0
; MemoryBound: 0
; FloatMode: 240
; IeeeMode: 1
; LDSByteSize: 0 bytes/workgroup (compile time only)
; SGPRBlocks: 3
; VGPRBlocks: 2
; NumSGPRsForWavesPerEU: 26
; NumVGPRsForWavesPerEU: 19
; Occupancy: 16
; WaveLimiterHint : 0
; COMPUTE_PGM_RSRC2:SCRATCH_EN: 0
; COMPUTE_PGM_RSRC2:USER_SGPR: 15
; COMPUTE_PGM_RSRC2:TRAP_HANDLER: 0
; COMPUTE_PGM_RSRC2:TGID_X_EN: 1
; COMPUTE_PGM_RSRC2:TGID_Y_EN: 0
; COMPUTE_PGM_RSRC2:TGID_Z_EN: 0
; COMPUTE_PGM_RSRC2:TIDIG_COMP_CNT: 0
	.section	.text._ZN2at6native12_GLOBAL__N_125multi_tensor_apply_kernelINS1_28TensorListScalarListMetadataIiLi1EEENS1_25BinaryOpScalarListFunctorIiLi1ELi1ELi0EEEJNS1_13power_functorIiEEEEEvT_T0_DpT1_,"axG",@progbits,_ZN2at6native12_GLOBAL__N_125multi_tensor_apply_kernelINS1_28TensorListScalarListMetadataIiLi1EEENS1_25BinaryOpScalarListFunctorIiLi1ELi1ELi0EEEJNS1_13power_functorIiEEEEEvT_T0_DpT1_,comdat
	.globl	_ZN2at6native12_GLOBAL__N_125multi_tensor_apply_kernelINS1_28TensorListScalarListMetadataIiLi1EEENS1_25BinaryOpScalarListFunctorIiLi1ELi1ELi0EEEJNS1_13power_functorIiEEEEEvT_T0_DpT1_ ; -- Begin function _ZN2at6native12_GLOBAL__N_125multi_tensor_apply_kernelINS1_28TensorListScalarListMetadataIiLi1EEENS1_25BinaryOpScalarListFunctorIiLi1ELi1ELi0EEEJNS1_13power_functorIiEEEEEvT_T0_DpT1_
	.p2align	8
	.type	_ZN2at6native12_GLOBAL__N_125multi_tensor_apply_kernelINS1_28TensorListScalarListMetadataIiLi1EEENS1_25BinaryOpScalarListFunctorIiLi1ELi1ELi0EEEJNS1_13power_functorIiEEEEEvT_T0_DpT1_,@function
_ZN2at6native12_GLOBAL__N_125multi_tensor_apply_kernelINS1_28TensorListScalarListMetadataIiLi1EEENS1_25BinaryOpScalarListFunctorIiLi1ELi1ELi0EEEJNS1_13power_functorIiEEEEEvT_T0_DpT1_: ; @_ZN2at6native12_GLOBAL__N_125multi_tensor_apply_kernelINS1_28TensorListScalarListMetadataIiLi1EEENS1_25BinaryOpScalarListFunctorIiLi1ELi1ELi0EEEJNS1_13power_functorIiEEEEEvT_T0_DpT1_
; %bb.0:
	v_mov_b32_e32 v1, s15
	s_add_u32 s2, s0, s15
	s_mul_i32 s3, s15, 3
	s_mul_hi_u32 s4, s15, 3
	s_addc_u32 s5, s1, 0
	global_load_u8 v1, v1, s[0:1] offset:1920
	s_add_u32 s2, s2, s3
	s_addc_u32 s3, s5, s4
	s_load_b32 s2, s[2:3], 0x8c0
	s_waitcnt lgkmcnt(0)
	s_ashr_i32 s3, s2, 31
	s_waitcnt vmcnt(0)
	v_readfirstlane_b32 s6, v1
	s_delay_alu instid0(VALU_DEP_1)
	s_lshl_b32 s7, s6, 3
	s_clause 0x1
	s_load_b64 s[4:5], s[0:1], s7 offset:0x0
	s_load_b64 s[10:11], s[0:1], s7 offset:0x300
	s_add_u32 s12, s0, s7
	s_addc_u32 s13, s1, 0
	s_lshl_b64 s[8:9], s[2:3], 18
	s_waitcnt lgkmcnt(0)
	s_add_u32 s7, s4, s8
	s_addc_u32 s14, s5, s9
	s_lshl_b32 s4, s6, 2
	s_and_b32 s6, s7, 15
	s_sub_u32 s4, s12, s4
	s_subb_u32 s5, s13, 0
	s_lshl_b64 s[2:3], s[2:3], 16
	s_load_b32 s15, s[4:5], 0x600
	s_sub_u32 s8, s10, s2
	s_subb_u32 s9, s11, s3
	s_and_b32 s2, s10, 3
	s_mov_b32 s3, 0
	s_or_b32 s2, s6, s2
	s_delay_alu instid0(SALU_CYCLE_1)
	s_cmp_eq_u64 s[2:3], 0
	s_cbranch_scc1 .LBB74_81
; %bb.1:
	v_cmp_lt_i64_e64 s2, s[8:9], 1
	s_delay_alu instid0(VALU_DEP_1)
	s_and_b32 vcc_lo, exec_lo, s2
	s_cbranch_vccnz .LBB74_80
; %bb.2:
	s_load_b32 s2, s[0:1], 0xdd4
	v_cmp_gt_u64_e64 s3, 0x10000, s[8:9]
	s_mov_b64 s[12:13], 0
	s_waitcnt lgkmcnt(0)
	s_and_b32 s16, s2, 0xffff
	s_delay_alu instid0(VALU_DEP_1)
	s_and_b32 s2, s3, exec_lo
	s_cselect_b32 s11, s9, 0
	s_cselect_b32 s10, s8, 0x10000
	s_lshl_b32 s17, s16, 1
	s_cmp_gt_i32 s15, -1
	s_mul_i32 s18, s16, 3
	s_cselect_b32 s19, -1, 0
	s_cmp_lg_u32 s15, 0
	s_cselect_b32 s20, -1, 0
	s_bitcmp0_b32 s15, 0
	v_cndmask_b32_e64 v9, 0, 1, s20
	s_cselect_b32 s21, 1, -1
	s_lshl_b32 s22, s16, 2
	s_branch .LBB74_4
.LBB74_3:                               ;   in Loop: Header=BB74_4 Depth=1
	s_or_b32 exec_lo, exec_lo, s2
	s_add_u32 s12, s12, s22
	s_addc_u32 s13, s13, 0
	s_delay_alu instid0(SALU_CYCLE_1) | instskip(SKIP_1) | instid1(VALU_DEP_1)
	v_cmp_ge_i64_e64 s2, s[12:13], s[8:9]
	v_cmp_lt_u64_e64 s3, 0xffff, s[12:13]
	s_or_b32 s2, s2, s3
	s_delay_alu instid0(SALU_CYCLE_1)
	s_and_b32 vcc_lo, exec_lo, s2
	s_cbranch_vccnz .LBB74_80
.LBB74_4:                               ; =>This Loop Header: Depth=1
                                        ;     Child Loop BB74_15 Depth 2
                                        ;     Child Loop BB74_20 Depth 2
	;; [unrolled: 1-line block ×4, first 2 shown]
	v_add_co_u32 v7, s2, s12, v0
	s_delay_alu instid0(VALU_DEP_1) | instskip(SKIP_2) | instid1(VALU_DEP_2)
	v_add_co_ci_u32_e64 v8, null, s13, 0, s2
	s_waitcnt vmcnt(0)
	v_mov_b32_e32 v13, 0
	v_cmp_gt_u64_e64 s2, s[10:11], v[7:8]
	v_lshlrev_b64 v[1:2], 2, v[7:8]
	s_delay_alu instid0(VALU_DEP_2)
	s_and_saveexec_b32 s3, s2
	s_cbranch_execz .LBB74_6
; %bb.5:                                ;   in Loop: Header=BB74_4 Depth=1
	s_delay_alu instid0(VALU_DEP_1) | instskip(NEXT) | instid1(VALU_DEP_2)
	v_add_co_u32 v3, vcc_lo, s7, v1
	v_add_co_ci_u32_e32 v4, vcc_lo, s14, v2, vcc_lo
	global_load_b32 v13, v[3:4], off
.LBB74_6:                               ;   in Loop: Header=BB74_4 Depth=1
	s_or_b32 exec_lo, exec_lo, s3
	v_add_co_u32 v3, vcc_lo, v7, s16
	v_add_co_ci_u32_e32 v4, vcc_lo, 0, v8, vcc_lo
	v_mov_b32_e32 v14, 0
	s_delay_alu instid0(VALU_DEP_2) | instskip(SKIP_1) | instid1(VALU_DEP_2)
	v_cmp_gt_u64_e64 s3, s[10:11], v[3:4]
	v_lshlrev_b64 v[3:4], 2, v[3:4]
	s_and_saveexec_b32 s4, s3
	s_cbranch_execz .LBB74_8
; %bb.7:                                ;   in Loop: Header=BB74_4 Depth=1
	s_delay_alu instid0(VALU_DEP_1) | instskip(NEXT) | instid1(VALU_DEP_2)
	v_add_co_u32 v5, vcc_lo, s7, v3
	v_add_co_ci_u32_e32 v6, vcc_lo, s14, v4, vcc_lo
	global_load_b32 v14, v[5:6], off
.LBB74_8:                               ;   in Loop: Header=BB74_4 Depth=1
	s_or_b32 exec_lo, exec_lo, s4
	v_add_co_u32 v5, vcc_lo, v7, s17
	v_add_co_ci_u32_e32 v6, vcc_lo, 0, v8, vcc_lo
	v_mov_b32_e32 v10, 0
	v_mov_b32_e32 v12, 0
	s_delay_alu instid0(VALU_DEP_3) | instskip(SKIP_1) | instid1(VALU_DEP_2)
	v_cmp_gt_u64_e64 s4, s[10:11], v[5:6]
	v_lshlrev_b64 v[5:6], 2, v[5:6]
	s_and_saveexec_b32 s5, s4
	s_cbranch_execz .LBB74_10
; %bb.9:                                ;   in Loop: Header=BB74_4 Depth=1
	s_delay_alu instid0(VALU_DEP_1) | instskip(NEXT) | instid1(VALU_DEP_2)
	v_add_co_u32 v11, vcc_lo, s7, v5
	v_add_co_ci_u32_e32 v12, vcc_lo, s14, v6, vcc_lo
	global_load_b32 v12, v[11:12], off
.LBB74_10:                              ;   in Loop: Header=BB74_4 Depth=1
	s_or_b32 exec_lo, exec_lo, s5
	v_add_co_u32 v7, vcc_lo, v7, s18
	v_add_co_ci_u32_e32 v8, vcc_lo, 0, v8, vcc_lo
	s_delay_alu instid0(VALU_DEP_1) | instskip(SKIP_1) | instid1(VALU_DEP_2)
	v_cmp_gt_u64_e64 s5, s[10:11], v[7:8]
	v_lshlrev_b64 v[7:8], 2, v[7:8]
	s_and_saveexec_b32 s6, s5
	s_cbranch_execz .LBB74_12
; %bb.11:                               ;   in Loop: Header=BB74_4 Depth=1
	s_delay_alu instid0(VALU_DEP_1) | instskip(NEXT) | instid1(VALU_DEP_2)
	v_add_co_u32 v10, vcc_lo, s7, v7
	v_add_co_ci_u32_e32 v11, vcc_lo, s14, v8, vcc_lo
	global_load_b32 v10, v[10:11], off
.LBB74_12:                              ;   in Loop: Header=BB74_4 Depth=1
	s_or_b32 exec_lo, exec_lo, s6
	v_cmp_ne_u32_e64 s6, 1, v9
	s_and_b32 vcc_lo, exec_lo, s19
	s_cbranch_vccz .LBB74_32
; %bb.13:                               ;   in Loop: Header=BB74_4 Depth=1
	v_mov_b32_e32 v11, 1
	s_delay_alu instid0(VALU_DEP_2)
	s_and_b32 vcc_lo, exec_lo, s6
	s_cbranch_vccnz .LBB74_16
; %bb.14:                               ;   in Loop: Header=BB74_4 Depth=1
	v_mov_b32_e32 v11, 1
	s_waitcnt vmcnt(0)
	v_mov_b32_e32 v15, v13
	s_mov_b32 s6, s15
.LBB74_15:                              ;   Parent Loop BB74_4 Depth=1
                                        ; =>  This Inner Loop Header: Depth=2
	s_delay_alu instid0(SALU_CYCLE_1)
	s_bitcmp1_b32 s6, 0
	s_cselect_b32 vcc_lo, -1, 0
	s_lshr_b32 s23, s6, 1
	v_cndmask_b32_e32 v16, 1, v15, vcc_lo
	v_mul_lo_u32 v15, v15, v15
	s_cmp_gt_u32 s6, 1
	s_mov_b32 s6, s23
	s_delay_alu instid0(VALU_DEP_2)
	v_mul_lo_u32 v11, v16, v11
	s_cbranch_scc1 .LBB74_15
.LBB74_16:                              ;   in Loop: Header=BB74_4 Depth=1
	s_cbranch_execz .LBB74_33
; %bb.17:                               ;   in Loop: Header=BB74_4 Depth=1
	s_and_not1_b32 vcc_lo, exec_lo, s19
	s_cbranch_vccnz .LBB74_39
.LBB74_18:                              ;   in Loop: Header=BB74_4 Depth=1
	s_waitcnt vmcnt(0)
	v_mov_b32_e32 v13, 1
	s_and_not1_b32 vcc_lo, exec_lo, s20
	s_cbranch_vccnz .LBB74_21
; %bb.19:                               ;   in Loop: Header=BB74_4 Depth=1
	v_mov_b32_e32 v13, 1
	v_mov_b32_e32 v15, v14
	s_mov_b32 s6, s15
.LBB74_20:                              ;   Parent Loop BB74_4 Depth=1
                                        ; =>  This Inner Loop Header: Depth=2
	s_delay_alu instid0(SALU_CYCLE_1)
	s_bitcmp1_b32 s6, 0
	s_cselect_b32 vcc_lo, -1, 0
	s_lshr_b32 s23, s6, 1
	v_cndmask_b32_e32 v16, 1, v15, vcc_lo
	v_mul_lo_u32 v15, v15, v15
	s_cmp_lt_u32 s6, 2
	s_mov_b32 s6, s23
	s_delay_alu instid0(VALU_DEP_2)
	v_mul_lo_u32 v13, v16, v13
	s_cbranch_scc0 .LBB74_20
.LBB74_21:                              ;   in Loop: Header=BB74_4 Depth=1
	s_cbranch_execz .LBB74_40
; %bb.22:                               ;   in Loop: Header=BB74_4 Depth=1
	s_and_not1_b32 vcc_lo, exec_lo, s19
	s_cbranch_vccnz .LBB74_46
.LBB74_23:                              ;   in Loop: Header=BB74_4 Depth=1
	s_waitcnt vmcnt(0)
	v_mov_b32_e32 v14, 1
	s_and_not1_b32 vcc_lo, exec_lo, s20
	s_cbranch_vccnz .LBB74_26
; %bb.24:                               ;   in Loop: Header=BB74_4 Depth=1
	v_dual_mov_b32 v14, 1 :: v_dual_mov_b32 v15, v12
	s_mov_b32 s6, s15
.LBB74_25:                              ;   Parent Loop BB74_4 Depth=1
                                        ; =>  This Inner Loop Header: Depth=2
	s_delay_alu instid0(SALU_CYCLE_1)
	s_bitcmp1_b32 s6, 0
	s_cselect_b32 vcc_lo, -1, 0
	s_lshr_b32 s23, s6, 1
	v_cndmask_b32_e32 v16, 1, v15, vcc_lo
	v_mul_lo_u32 v15, v15, v15
	s_cmp_lt_u32 s6, 2
	s_mov_b32 s6, s23
	s_delay_alu instid0(VALU_DEP_2)
	v_mul_lo_u32 v14, v16, v14
	s_cbranch_scc0 .LBB74_25
.LBB74_26:                              ;   in Loop: Header=BB74_4 Depth=1
	s_cbranch_execz .LBB74_47
; %bb.27:                               ;   in Loop: Header=BB74_4 Depth=1
	s_and_not1_b32 vcc_lo, exec_lo, s19
	s_cbranch_vccnz .LBB74_53
.LBB74_28:                              ;   in Loop: Header=BB74_4 Depth=1
	s_waitcnt vmcnt(0)
	v_mov_b32_e32 v12, 1
	s_and_not1_b32 vcc_lo, exec_lo, s20
	s_cbranch_vccnz .LBB74_31
; %bb.29:                               ;   in Loop: Header=BB74_4 Depth=1
	v_dual_mov_b32 v12, 1 :: v_dual_mov_b32 v15, v10
	s_mov_b32 s6, s15
.LBB74_30:                              ;   Parent Loop BB74_4 Depth=1
                                        ; =>  This Inner Loop Header: Depth=2
	s_delay_alu instid0(SALU_CYCLE_1)
	s_bitcmp1_b32 s6, 0
	s_cselect_b32 vcc_lo, -1, 0
	s_lshr_b32 s23, s6, 1
	v_cndmask_b32_e32 v16, 1, v15, vcc_lo
	v_mul_lo_u32 v15, v15, v15
	s_cmp_lt_u32 s6, 2
	s_mov_b32 s6, s23
	s_delay_alu instid0(VALU_DEP_2)
	v_mul_lo_u32 v12, v16, v12
	s_cbranch_scc0 .LBB74_30
.LBB74_31:                              ;   in Loop: Header=BB74_4 Depth=1
	s_cbranch_execz .LBB74_54
	s_branch .LBB74_60
.LBB74_32:                              ;   in Loop: Header=BB74_4 Depth=1
                                        ; implicit-def: $vgpr11
.LBB74_33:                              ;   in Loop: Header=BB74_4 Depth=1
	s_mov_b32 s6, 0
	s_mov_b32 s23, 0
	s_mov_b32 s24, exec_lo
	s_waitcnt vmcnt(0)
	v_cmpx_lt_i32_e32 0, v13
	s_xor_b32 s24, exec_lo, s24
	s_cbranch_execnz .LBB74_68
; %bb.34:                               ;   in Loop: Header=BB74_4 Depth=1
	s_and_not1_saveexec_b32 s24, s24
	s_cbranch_execnz .LBB74_69
.LBB74_35:                              ;   in Loop: Header=BB74_4 Depth=1
	s_or_b32 exec_lo, exec_lo, s24
	s_and_saveexec_b32 s24, s23
	s_delay_alu instid0(SALU_CYCLE_1)
	s_xor_b32 s23, exec_lo, s24
	s_cbranch_execnz .LBB74_70
.LBB74_36:                              ;   in Loop: Header=BB74_4 Depth=1
	s_or_b32 exec_lo, exec_lo, s23
	s_and_saveexec_b32 s23, s6
.LBB74_37:                              ;   in Loop: Header=BB74_4 Depth=1
	v_mov_b32_e32 v13, s21
.LBB74_38:                              ;   in Loop: Header=BB74_4 Depth=1
	s_or_b32 exec_lo, exec_lo, s23
	s_delay_alu instid0(VALU_DEP_1)
	v_mov_b32_e32 v11, v13
	s_and_not1_b32 vcc_lo, exec_lo, s19
	s_cbranch_vccz .LBB74_18
.LBB74_39:                              ;   in Loop: Header=BB74_4 Depth=1
                                        ; implicit-def: $vgpr13
.LBB74_40:                              ;   in Loop: Header=BB74_4 Depth=1
	s_mov_b32 s6, 0
	s_mov_b32 s23, 0
	s_mov_b32 s24, exec_lo
	s_waitcnt vmcnt(0)
	v_cmpx_lt_i32_e32 0, v14
	s_xor_b32 s24, exec_lo, s24
	s_cbranch_execnz .LBB74_71
; %bb.41:                               ;   in Loop: Header=BB74_4 Depth=1
	s_and_not1_saveexec_b32 s24, s24
	s_cbranch_execnz .LBB74_72
.LBB74_42:                              ;   in Loop: Header=BB74_4 Depth=1
	s_or_b32 exec_lo, exec_lo, s24
	s_and_saveexec_b32 s24, s23
	s_delay_alu instid0(SALU_CYCLE_1)
	s_xor_b32 s23, exec_lo, s24
	s_cbranch_execnz .LBB74_73
.LBB74_43:                              ;   in Loop: Header=BB74_4 Depth=1
	s_or_b32 exec_lo, exec_lo, s23
	s_and_saveexec_b32 s23, s6
.LBB74_44:                              ;   in Loop: Header=BB74_4 Depth=1
	v_mov_b32_e32 v14, s21
.LBB74_45:                              ;   in Loop: Header=BB74_4 Depth=1
	s_or_b32 exec_lo, exec_lo, s23
	s_delay_alu instid0(VALU_DEP_1)
	v_mov_b32_e32 v13, v14
	s_and_not1_b32 vcc_lo, exec_lo, s19
	s_cbranch_vccz .LBB74_23
.LBB74_46:                              ;   in Loop: Header=BB74_4 Depth=1
                                        ; implicit-def: $vgpr14
.LBB74_47:                              ;   in Loop: Header=BB74_4 Depth=1
	s_mov_b32 s6, 0
	s_mov_b32 s23, 0
	s_mov_b32 s24, exec_lo
	s_waitcnt vmcnt(0)
	v_cmpx_lt_i32_e32 0, v12
	s_xor_b32 s24, exec_lo, s24
	s_cbranch_execnz .LBB74_74
; %bb.48:                               ;   in Loop: Header=BB74_4 Depth=1
	s_and_not1_saveexec_b32 s24, s24
	s_cbranch_execnz .LBB74_75
.LBB74_49:                              ;   in Loop: Header=BB74_4 Depth=1
	s_or_b32 exec_lo, exec_lo, s24
	s_and_saveexec_b32 s24, s23
	s_delay_alu instid0(SALU_CYCLE_1)
	s_xor_b32 s23, exec_lo, s24
	s_cbranch_execnz .LBB74_76
.LBB74_50:                              ;   in Loop: Header=BB74_4 Depth=1
	s_or_b32 exec_lo, exec_lo, s23
	s_and_saveexec_b32 s23, s6
.LBB74_51:                              ;   in Loop: Header=BB74_4 Depth=1
	v_mov_b32_e32 v12, s21
.LBB74_52:                              ;   in Loop: Header=BB74_4 Depth=1
	s_or_b32 exec_lo, exec_lo, s23
	s_delay_alu instid0(VALU_DEP_1)
	v_mov_b32_e32 v14, v12
	s_and_not1_b32 vcc_lo, exec_lo, s19
	s_cbranch_vccz .LBB74_28
.LBB74_53:                              ;   in Loop: Header=BB74_4 Depth=1
                                        ; implicit-def: $vgpr12
.LBB74_54:                              ;   in Loop: Header=BB74_4 Depth=1
	s_mov_b32 s6, 0
	s_mov_b32 s23, 0
	s_mov_b32 s24, exec_lo
	s_waitcnt vmcnt(0)
	v_cmpx_lt_i32_e32 0, v10
	s_xor_b32 s24, exec_lo, s24
	s_cbranch_execnz .LBB74_77
; %bb.55:                               ;   in Loop: Header=BB74_4 Depth=1
	s_and_not1_saveexec_b32 s24, s24
	s_cbranch_execnz .LBB74_78
.LBB74_56:                              ;   in Loop: Header=BB74_4 Depth=1
	s_or_b32 exec_lo, exec_lo, s24
	s_and_saveexec_b32 s24, s23
	s_delay_alu instid0(SALU_CYCLE_1)
	s_xor_b32 s23, exec_lo, s24
	s_cbranch_execnz .LBB74_79
.LBB74_57:                              ;   in Loop: Header=BB74_4 Depth=1
	s_or_b32 exec_lo, exec_lo, s23
	s_and_saveexec_b32 s23, s6
.LBB74_58:                              ;   in Loop: Header=BB74_4 Depth=1
	v_mov_b32_e32 v10, s21
.LBB74_59:                              ;   in Loop: Header=BB74_4 Depth=1
	s_or_b32 exec_lo, exec_lo, s23
	s_delay_alu instid0(VALU_DEP_1)
	v_mov_b32_e32 v12, v10
.LBB74_60:                              ;   in Loop: Header=BB74_4 Depth=1
	s_and_saveexec_b32 s6, s2
	s_delay_alu instid0(SALU_CYCLE_1)
	s_xor_b32 s2, exec_lo, s6
	s_cbranch_execnz .LBB74_64
; %bb.61:                               ;   in Loop: Header=BB74_4 Depth=1
	s_or_b32 exec_lo, exec_lo, s2
	s_and_saveexec_b32 s2, s3
	s_cbranch_execnz .LBB74_65
.LBB74_62:                              ;   in Loop: Header=BB74_4 Depth=1
	s_or_b32 exec_lo, exec_lo, s2
	s_and_saveexec_b32 s2, s4
	s_cbranch_execnz .LBB74_66
.LBB74_63:                              ;   in Loop: Header=BB74_4 Depth=1
	s_or_b32 exec_lo, exec_lo, s2
	s_and_saveexec_b32 s2, s5
	s_cbranch_execz .LBB74_3
	s_branch .LBB74_67
.LBB74_64:                              ;   in Loop: Header=BB74_4 Depth=1
	v_add_co_u32 v1, vcc_lo, s7, v1
	v_add_co_ci_u32_e32 v2, vcc_lo, s14, v2, vcc_lo
	global_store_b32 v[1:2], v11, off
	s_or_b32 exec_lo, exec_lo, s2
	s_and_saveexec_b32 s2, s3
	s_cbranch_execz .LBB74_62
.LBB74_65:                              ;   in Loop: Header=BB74_4 Depth=1
	v_add_co_u32 v1, vcc_lo, s7, v3
	v_add_co_ci_u32_e32 v2, vcc_lo, s14, v4, vcc_lo
	s_waitcnt vmcnt(0)
	global_store_b32 v[1:2], v13, off
	s_or_b32 exec_lo, exec_lo, s2
	s_and_saveexec_b32 s2, s4
	s_cbranch_execz .LBB74_63
.LBB74_66:                              ;   in Loop: Header=BB74_4 Depth=1
	v_add_co_u32 v1, vcc_lo, s7, v5
	v_add_co_ci_u32_e32 v2, vcc_lo, s14, v6, vcc_lo
	s_waitcnt vmcnt(0)
	global_store_b32 v[1:2], v14, off
	s_or_b32 exec_lo, exec_lo, s2
	s_and_saveexec_b32 s2, s5
	s_cbranch_execz .LBB74_3
.LBB74_67:                              ;   in Loop: Header=BB74_4 Depth=1
	v_add_co_u32 v1, vcc_lo, s7, v7
	v_add_co_ci_u32_e32 v2, vcc_lo, s14, v8, vcc_lo
	s_waitcnt vmcnt(0)
	global_store_b32 v[1:2], v12, off
	s_branch .LBB74_3
.LBB74_68:                              ;   in Loop: Header=BB74_4 Depth=1
	v_cmp_ne_u32_e32 vcc_lo, 1, v13
	s_and_b32 s23, vcc_lo, exec_lo
	s_and_not1_saveexec_b32 s24, s24
	s_cbranch_execz .LBB74_35
.LBB74_69:                              ;   in Loop: Header=BB74_4 Depth=1
	v_cmp_ne_u32_e32 vcc_lo, -1, v13
	s_and_not1_b32 s23, s23, exec_lo
	s_mov_b32 s6, exec_lo
                                        ; implicit-def: $vgpr13
	s_and_b32 s25, vcc_lo, exec_lo
	s_delay_alu instid0(SALU_CYCLE_1) | instskip(SKIP_2) | instid1(SALU_CYCLE_1)
	s_or_b32 s23, s23, s25
	s_or_b32 exec_lo, exec_lo, s24
	s_and_saveexec_b32 s24, s23
	s_xor_b32 s23, exec_lo, s24
	s_cbranch_execz .LBB74_36
.LBB74_70:                              ;   in Loop: Header=BB74_4 Depth=1
	v_mov_b32_e32 v13, 0
	s_and_not1_b32 s6, s6, exec_lo
	s_or_b32 exec_lo, exec_lo, s23
	s_and_saveexec_b32 s23, s6
	s_cbranch_execnz .LBB74_37
	s_branch .LBB74_38
.LBB74_71:                              ;   in Loop: Header=BB74_4 Depth=1
	v_cmp_ne_u32_e32 vcc_lo, 1, v14
	s_and_b32 s23, vcc_lo, exec_lo
	s_and_not1_saveexec_b32 s24, s24
	s_cbranch_execz .LBB74_42
.LBB74_72:                              ;   in Loop: Header=BB74_4 Depth=1
	v_cmp_ne_u32_e32 vcc_lo, -1, v14
	s_and_not1_b32 s23, s23, exec_lo
	s_mov_b32 s6, exec_lo
                                        ; implicit-def: $vgpr14
	s_and_b32 s25, vcc_lo, exec_lo
	s_delay_alu instid0(SALU_CYCLE_1) | instskip(SKIP_2) | instid1(SALU_CYCLE_1)
	s_or_b32 s23, s23, s25
	s_or_b32 exec_lo, exec_lo, s24
	s_and_saveexec_b32 s24, s23
	s_xor_b32 s23, exec_lo, s24
	s_cbranch_execz .LBB74_43
.LBB74_73:                              ;   in Loop: Header=BB74_4 Depth=1
	v_mov_b32_e32 v14, 0
	s_and_not1_b32 s6, s6, exec_lo
	s_or_b32 exec_lo, exec_lo, s23
	s_and_saveexec_b32 s23, s6
	s_cbranch_execnz .LBB74_44
	s_branch .LBB74_45
.LBB74_74:                              ;   in Loop: Header=BB74_4 Depth=1
	v_cmp_ne_u32_e32 vcc_lo, 1, v12
	s_and_b32 s23, vcc_lo, exec_lo
	s_and_not1_saveexec_b32 s24, s24
	s_cbranch_execz .LBB74_49
.LBB74_75:                              ;   in Loop: Header=BB74_4 Depth=1
	v_cmp_ne_u32_e32 vcc_lo, -1, v12
	s_and_not1_b32 s23, s23, exec_lo
	s_mov_b32 s6, exec_lo
                                        ; implicit-def: $vgpr12
	s_and_b32 s25, vcc_lo, exec_lo
	s_delay_alu instid0(SALU_CYCLE_1) | instskip(SKIP_2) | instid1(SALU_CYCLE_1)
	s_or_b32 s23, s23, s25
	s_or_b32 exec_lo, exec_lo, s24
	s_and_saveexec_b32 s24, s23
	s_xor_b32 s23, exec_lo, s24
	s_cbranch_execz .LBB74_50
.LBB74_76:                              ;   in Loop: Header=BB74_4 Depth=1
	v_mov_b32_e32 v12, 0
	s_and_not1_b32 s6, s6, exec_lo
	s_or_b32 exec_lo, exec_lo, s23
	s_and_saveexec_b32 s23, s6
	s_cbranch_execnz .LBB74_51
	s_branch .LBB74_52
.LBB74_77:                              ;   in Loop: Header=BB74_4 Depth=1
	v_cmp_ne_u32_e32 vcc_lo, 1, v10
	s_and_b32 s23, vcc_lo, exec_lo
	s_and_not1_saveexec_b32 s24, s24
	s_cbranch_execz .LBB74_56
.LBB74_78:                              ;   in Loop: Header=BB74_4 Depth=1
	v_cmp_ne_u32_e32 vcc_lo, -1, v10
	s_and_not1_b32 s23, s23, exec_lo
	s_mov_b32 s6, exec_lo
                                        ; implicit-def: $vgpr10
	s_and_b32 s25, vcc_lo, exec_lo
	s_delay_alu instid0(SALU_CYCLE_1) | instskip(SKIP_2) | instid1(SALU_CYCLE_1)
	s_or_b32 s23, s23, s25
	s_or_b32 exec_lo, exec_lo, s24
	s_and_saveexec_b32 s24, s23
	s_xor_b32 s23, exec_lo, s24
	s_cbranch_execz .LBB74_57
.LBB74_79:                              ;   in Loop: Header=BB74_4 Depth=1
	v_mov_b32_e32 v10, 0
	s_and_not1_b32 s6, s6, exec_lo
	s_or_b32 exec_lo, exec_lo, s23
	s_and_saveexec_b32 s23, s6
	s_cbranch_execnz .LBB74_58
	s_branch .LBB74_59
.LBB74_80:
	s_cbranch_execz .LBB74_82
	s_branch .LBB74_145
.LBB74_81:
.LBB74_82:
	v_dual_mov_b32 v2, 0 :: v_dual_lshlrev_b32 v1, 2, v0
	s_mov_b32 s2, 0
	s_mov_b32 s3, exec_lo
	s_delay_alu instid0(VALU_DEP_1)
	v_cmpx_gt_i64_e64 s[8:9], v[1:2]
	s_cbranch_execz .LBB74_145
; %bb.83:
	s_load_b32 s0, s[0:1], 0xdd4
	s_waitcnt lgkmcnt(0)
	s_cmp_gt_i32 s15, -1
	v_mov_b32_e32 v1, v2
	s_cselect_b32 s1, -1, 0
	s_cmp_lg_u32 s15, 0
	s_cselect_b32 s3, -1, 0
	s_bitcmp0_b32 s15, 0
	s_waitcnt vmcnt(0)
	v_cndmask_b32_e64 v12, 0, 1, s3
	s_cselect_b32 s4, 1, -1
	s_and_b32 s5, s0, 0xffff
	s_branch .LBB74_86
.LBB74_84:                              ;   in Loop: Header=BB74_86 Depth=1
	s_or_b32 exec_lo, exec_lo, s6
	s_delay_alu instid0(VALU_DEP_1)
	v_mov_b32_e32 v9, v5
.LBB74_85:                              ;   in Loop: Header=BB74_86 Depth=1
	v_add_co_u32 v0, vcc_lo, v0, s5
	v_add_co_ci_u32_e32 v1, vcc_lo, 0, v1, vcc_lo
	global_store_b128 v[10:11], v[6:9], off
	s_waitcnt vmcnt(0)
	v_lshlrev_b64 v[2:3], 2, v[0:1]
	s_delay_alu instid0(VALU_DEP_1) | instskip(SKIP_1) | instid1(VALU_DEP_1)
	v_cmp_le_i64_e32 vcc_lo, s[8:9], v[2:3]
	v_cmp_lt_u64_e64 s0, 0xffff, v[2:3]
	s_or_b32 s0, vcc_lo, s0
	s_delay_alu instid0(SALU_CYCLE_1) | instskip(NEXT) | instid1(SALU_CYCLE_1)
	s_and_b32 s0, exec_lo, s0
	s_or_b32 s2, s0, s2
	s_delay_alu instid0(SALU_CYCLE_1)
	s_and_not1_b32 exec_lo, exec_lo, s2
	s_cbranch_execz .LBB74_145
.LBB74_86:                              ; =>This Loop Header: Depth=1
                                        ;     Child Loop BB74_105 Depth 2
                                        ;     Child Loop BB74_91 Depth 2
	;; [unrolled: 1-line block ×4, first 2 shown]
	v_lshlrev_b64 v[2:3], 4, v[0:1]
	v_cmp_ne_u32_e64 s0, 1, v12
	s_mov_b32 s6, -1
                                        ; implicit-def: $vgpr6
	s_delay_alu instid0(VALU_DEP_2) | instskip(NEXT) | instid1(VALU_DEP_3)
	v_add_co_u32 v10, vcc_lo, s7, v2
	v_add_co_ci_u32_e32 v11, vcc_lo, s14, v3, vcc_lo
	s_and_b32 vcc_lo, exec_lo, s1
	global_load_b128 v[2:5], v[10:11], off
	s_cbranch_vccnz .LBB74_103
; %bb.87:                               ;   in Loop: Header=BB74_86 Depth=1
	s_and_not1_b32 vcc_lo, exec_lo, s6
	s_cbranch_vccz .LBB74_107
.LBB74_88:                              ;   in Loop: Header=BB74_86 Depth=1
	s_and_not1_b32 vcc_lo, exec_lo, s1
	s_cbranch_vccnz .LBB74_113
.LBB74_89:                              ;   in Loop: Header=BB74_86 Depth=1
	v_mov_b32_e32 v7, 1
	s_and_not1_b32 vcc_lo, exec_lo, s3
	s_cbranch_vccnz .LBB74_92
; %bb.90:                               ;   in Loop: Header=BB74_86 Depth=1
	s_waitcnt vmcnt(0)
	v_dual_mov_b32 v7, 1 :: v_dual_mov_b32 v2, v3
	s_mov_b32 s0, s15
.LBB74_91:                              ;   Parent Loop BB74_86 Depth=1
                                        ; =>  This Inner Loop Header: Depth=2
	s_delay_alu instid0(SALU_CYCLE_1)
	s_bitcmp1_b32 s0, 0
	s_cselect_b32 vcc_lo, -1, 0
	s_lshr_b32 s6, s0, 1
	v_cndmask_b32_e32 v8, 1, v2, vcc_lo
	v_mul_lo_u32 v2, v2, v2
	s_cmp_lt_u32 s0, 2
	s_mov_b32 s0, s6
	s_delay_alu instid0(VALU_DEP_2)
	v_mul_lo_u32 v7, v8, v7
	s_cbranch_scc0 .LBB74_91
.LBB74_92:                              ;   in Loop: Header=BB74_86 Depth=1
	s_cbranch_execz .LBB74_114
; %bb.93:                               ;   in Loop: Header=BB74_86 Depth=1
	s_and_not1_b32 vcc_lo, exec_lo, s1
	s_cbranch_vccnz .LBB74_120
.LBB74_94:                              ;   in Loop: Header=BB74_86 Depth=1
	v_mov_b32_e32 v8, 1
	s_and_not1_b32 vcc_lo, exec_lo, s3
	s_cbranch_vccnz .LBB74_97
; %bb.95:                               ;   in Loop: Header=BB74_86 Depth=1
	v_mov_b32_e32 v8, 1
	s_waitcnt vmcnt(0)
	v_mov_b32_e32 v2, v4
	s_mov_b32 s0, s15
.LBB74_96:                              ;   Parent Loop BB74_86 Depth=1
                                        ; =>  This Inner Loop Header: Depth=2
	s_delay_alu instid0(SALU_CYCLE_1)
	s_bitcmp1_b32 s0, 0
	s_cselect_b32 vcc_lo, -1, 0
	s_lshr_b32 s6, s0, 1
	v_cndmask_b32_e32 v3, 1, v2, vcc_lo
	v_mul_lo_u32 v2, v2, v2
	s_cmp_lt_u32 s0, 2
	s_mov_b32 s0, s6
	s_delay_alu instid0(VALU_DEP_2)
	v_mul_lo_u32 v8, v3, v8
	s_cbranch_scc0 .LBB74_96
.LBB74_97:                              ;   in Loop: Header=BB74_86 Depth=1
	s_cbranch_execz .LBB74_121
; %bb.98:                               ;   in Loop: Header=BB74_86 Depth=1
	s_and_not1_b32 vcc_lo, exec_lo, s1
	s_cbranch_vccnz .LBB74_127
.LBB74_99:                              ;   in Loop: Header=BB74_86 Depth=1
	v_mov_b32_e32 v9, 1
	s_and_not1_b32 vcc_lo, exec_lo, s3
	s_cbranch_vccnz .LBB74_102
; %bb.100:                              ;   in Loop: Header=BB74_86 Depth=1
	s_waitcnt vmcnt(0)
	v_dual_mov_b32 v9, 1 :: v_dual_mov_b32 v2, v5
	s_mov_b32 s0, s15
.LBB74_101:                             ;   Parent Loop BB74_86 Depth=1
                                        ; =>  This Inner Loop Header: Depth=2
	s_delay_alu instid0(SALU_CYCLE_1)
	s_bitcmp1_b32 s0, 0
	s_cselect_b32 vcc_lo, -1, 0
	s_lshr_b32 s6, s0, 1
	v_cndmask_b32_e32 v3, 1, v2, vcc_lo
	v_mul_lo_u32 v2, v2, v2
	s_cmp_lt_u32 s0, 2
	s_mov_b32 s0, s6
	s_delay_alu instid0(VALU_DEP_2)
	v_mul_lo_u32 v9, v3, v9
	s_cbranch_scc0 .LBB74_101
.LBB74_102:                             ;   in Loop: Header=BB74_86 Depth=1
	s_cbranch_execnz .LBB74_85
	s_branch .LBB74_128
.LBB74_103:                             ;   in Loop: Header=BB74_86 Depth=1
	v_mov_b32_e32 v6, 1
	s_and_b32 vcc_lo, exec_lo, s0
	s_cbranch_vccnz .LBB74_106
; %bb.104:                              ;   in Loop: Header=BB74_86 Depth=1
	s_waitcnt vmcnt(0)
	v_dual_mov_b32 v6, 1 :: v_dual_mov_b32 v7, v2
	s_mov_b32 s0, s15
.LBB74_105:                             ;   Parent Loop BB74_86 Depth=1
                                        ; =>  This Inner Loop Header: Depth=2
	s_delay_alu instid0(SALU_CYCLE_1)
	s_bitcmp1_b32 s0, 0
	s_cselect_b32 vcc_lo, -1, 0
	s_lshr_b32 s6, s0, 1
	v_cndmask_b32_e32 v8, 1, v7, vcc_lo
	v_mul_lo_u32 v7, v7, v7
	s_cmp_gt_u32 s0, 1
	s_mov_b32 s0, s6
	s_delay_alu instid0(VALU_DEP_2)
	v_mul_lo_u32 v6, v8, v6
	s_cbranch_scc1 .LBB74_105
.LBB74_106:                             ;   in Loop: Header=BB74_86 Depth=1
	s_cbranch_execnz .LBB74_88
.LBB74_107:                             ;   in Loop: Header=BB74_86 Depth=1
	s_mov_b32 s0, 0
	s_mov_b32 s6, 0
	s_mov_b32 s10, exec_lo
	s_waitcnt vmcnt(0)
	v_cmpx_lt_i32_e32 0, v2
	s_xor_b32 s10, exec_lo, s10
	s_cbranch_execnz .LBB74_132
; %bb.108:                              ;   in Loop: Header=BB74_86 Depth=1
	s_and_not1_saveexec_b32 s10, s10
	s_cbranch_execnz .LBB74_133
.LBB74_109:                             ;   in Loop: Header=BB74_86 Depth=1
	s_or_b32 exec_lo, exec_lo, s10
	s_and_saveexec_b32 s10, s6
	s_delay_alu instid0(SALU_CYCLE_1)
	s_xor_b32 s6, exec_lo, s10
	s_cbranch_execnz .LBB74_134
.LBB74_110:                             ;   in Loop: Header=BB74_86 Depth=1
	s_or_b32 exec_lo, exec_lo, s6
	s_and_saveexec_b32 s6, s0
.LBB74_111:                             ;   in Loop: Header=BB74_86 Depth=1
	v_mov_b32_e32 v2, s4
.LBB74_112:                             ;   in Loop: Header=BB74_86 Depth=1
	s_or_b32 exec_lo, exec_lo, s6
	s_delay_alu instid0(VALU_DEP_1)
	v_mov_b32_e32 v6, v2
	s_and_not1_b32 vcc_lo, exec_lo, s1
	s_cbranch_vccz .LBB74_89
.LBB74_113:                             ;   in Loop: Header=BB74_86 Depth=1
.LBB74_114:                             ;   in Loop: Header=BB74_86 Depth=1
	s_mov_b32 s0, 0
	s_mov_b32 s6, 0
	s_mov_b32 s10, exec_lo
	s_waitcnt vmcnt(0)
	v_cmpx_lt_i32_e32 0, v3
	s_xor_b32 s10, exec_lo, s10
	s_cbranch_execnz .LBB74_135
; %bb.115:                              ;   in Loop: Header=BB74_86 Depth=1
	s_and_not1_saveexec_b32 s10, s10
	s_cbranch_execnz .LBB74_136
.LBB74_116:                             ;   in Loop: Header=BB74_86 Depth=1
	s_or_b32 exec_lo, exec_lo, s10
	s_and_saveexec_b32 s10, s6
	s_delay_alu instid0(SALU_CYCLE_1)
	s_xor_b32 s6, exec_lo, s10
	s_cbranch_execnz .LBB74_137
.LBB74_117:                             ;   in Loop: Header=BB74_86 Depth=1
	s_or_b32 exec_lo, exec_lo, s6
	s_and_saveexec_b32 s6, s0
.LBB74_118:                             ;   in Loop: Header=BB74_86 Depth=1
	v_mov_b32_e32 v3, s4
.LBB74_119:                             ;   in Loop: Header=BB74_86 Depth=1
	s_or_b32 exec_lo, exec_lo, s6
	s_delay_alu instid0(VALU_DEP_1)
	v_mov_b32_e32 v7, v3
	s_and_not1_b32 vcc_lo, exec_lo, s1
	s_cbranch_vccz .LBB74_94
.LBB74_120:                             ;   in Loop: Header=BB74_86 Depth=1
.LBB74_121:                             ;   in Loop: Header=BB74_86 Depth=1
	s_mov_b32 s0, 0
	s_mov_b32 s6, 0
	s_mov_b32 s10, exec_lo
	s_waitcnt vmcnt(0)
	v_cmpx_lt_i32_e32 0, v4
	s_xor_b32 s10, exec_lo, s10
	s_cbranch_execnz .LBB74_138
; %bb.122:                              ;   in Loop: Header=BB74_86 Depth=1
	s_and_not1_saveexec_b32 s10, s10
	s_cbranch_execnz .LBB74_139
.LBB74_123:                             ;   in Loop: Header=BB74_86 Depth=1
	s_or_b32 exec_lo, exec_lo, s10
	s_and_saveexec_b32 s10, s6
	s_delay_alu instid0(SALU_CYCLE_1)
	s_xor_b32 s6, exec_lo, s10
	s_cbranch_execnz .LBB74_140
.LBB74_124:                             ;   in Loop: Header=BB74_86 Depth=1
	s_or_b32 exec_lo, exec_lo, s6
	s_and_saveexec_b32 s6, s0
.LBB74_125:                             ;   in Loop: Header=BB74_86 Depth=1
	v_mov_b32_e32 v4, s4
.LBB74_126:                             ;   in Loop: Header=BB74_86 Depth=1
	s_or_b32 exec_lo, exec_lo, s6
	s_delay_alu instid0(VALU_DEP_1)
	v_mov_b32_e32 v8, v4
	s_and_not1_b32 vcc_lo, exec_lo, s1
	s_cbranch_vccz .LBB74_99
.LBB74_127:                             ;   in Loop: Header=BB74_86 Depth=1
.LBB74_128:                             ;   in Loop: Header=BB74_86 Depth=1
	s_mov_b32 s0, 0
	s_mov_b32 s6, 0
	s_mov_b32 s10, exec_lo
	s_waitcnt vmcnt(0)
	v_cmpx_lt_i32_e32 0, v5
	s_xor_b32 s10, exec_lo, s10
	s_cbranch_execnz .LBB74_141
; %bb.129:                              ;   in Loop: Header=BB74_86 Depth=1
	s_and_not1_saveexec_b32 s10, s10
	s_cbranch_execnz .LBB74_142
.LBB74_130:                             ;   in Loop: Header=BB74_86 Depth=1
	s_or_b32 exec_lo, exec_lo, s10
	s_and_saveexec_b32 s10, s6
	s_delay_alu instid0(SALU_CYCLE_1)
	s_xor_b32 s6, exec_lo, s10
	s_cbranch_execnz .LBB74_143
.LBB74_131:                             ;   in Loop: Header=BB74_86 Depth=1
	s_or_b32 exec_lo, exec_lo, s6
	s_and_saveexec_b32 s6, s0
	s_cbranch_execz .LBB74_84
	s_branch .LBB74_144
.LBB74_132:                             ;   in Loop: Header=BB74_86 Depth=1
	v_cmp_ne_u32_e32 vcc_lo, 1, v2
	s_and_b32 s6, vcc_lo, exec_lo
	s_and_not1_saveexec_b32 s10, s10
	s_cbranch_execz .LBB74_109
.LBB74_133:                             ;   in Loop: Header=BB74_86 Depth=1
	v_cmp_ne_u32_e32 vcc_lo, -1, v2
	s_and_not1_b32 s6, s6, exec_lo
	s_mov_b32 s0, exec_lo
	s_and_b32 s11, vcc_lo, exec_lo
	s_delay_alu instid0(SALU_CYCLE_1) | instskip(SKIP_2) | instid1(SALU_CYCLE_1)
	s_or_b32 s6, s6, s11
	s_or_b32 exec_lo, exec_lo, s10
	s_and_saveexec_b32 s10, s6
	s_xor_b32 s6, exec_lo, s10
	s_cbranch_execz .LBB74_110
.LBB74_134:                             ;   in Loop: Header=BB74_86 Depth=1
	v_mov_b32_e32 v2, 0
	s_and_not1_b32 s0, s0, exec_lo
	s_or_b32 exec_lo, exec_lo, s6
	s_and_saveexec_b32 s6, s0
	s_cbranch_execnz .LBB74_111
	s_branch .LBB74_112
.LBB74_135:                             ;   in Loop: Header=BB74_86 Depth=1
	v_cmp_ne_u32_e32 vcc_lo, 1, v3
	s_and_b32 s6, vcc_lo, exec_lo
	s_and_not1_saveexec_b32 s10, s10
	s_cbranch_execz .LBB74_116
.LBB74_136:                             ;   in Loop: Header=BB74_86 Depth=1
	v_cmp_ne_u32_e32 vcc_lo, -1, v3
	s_and_not1_b32 s6, s6, exec_lo
	s_mov_b32 s0, exec_lo
	s_and_b32 s11, vcc_lo, exec_lo
	s_delay_alu instid0(SALU_CYCLE_1) | instskip(SKIP_2) | instid1(SALU_CYCLE_1)
	s_or_b32 s6, s6, s11
	s_or_b32 exec_lo, exec_lo, s10
	s_and_saveexec_b32 s10, s6
	s_xor_b32 s6, exec_lo, s10
	s_cbranch_execz .LBB74_117
.LBB74_137:                             ;   in Loop: Header=BB74_86 Depth=1
	v_mov_b32_e32 v3, 0
	s_and_not1_b32 s0, s0, exec_lo
	s_or_b32 exec_lo, exec_lo, s6
	s_and_saveexec_b32 s6, s0
	s_cbranch_execnz .LBB74_118
	s_branch .LBB74_119
.LBB74_138:                             ;   in Loop: Header=BB74_86 Depth=1
	v_cmp_ne_u32_e32 vcc_lo, 1, v4
	s_and_b32 s6, vcc_lo, exec_lo
	s_and_not1_saveexec_b32 s10, s10
	s_cbranch_execz .LBB74_123
.LBB74_139:                             ;   in Loop: Header=BB74_86 Depth=1
	v_cmp_ne_u32_e32 vcc_lo, -1, v4
	s_and_not1_b32 s6, s6, exec_lo
	s_mov_b32 s0, exec_lo
	s_and_b32 s11, vcc_lo, exec_lo
	s_delay_alu instid0(SALU_CYCLE_1) | instskip(SKIP_2) | instid1(SALU_CYCLE_1)
	s_or_b32 s6, s6, s11
	s_or_b32 exec_lo, exec_lo, s10
	s_and_saveexec_b32 s10, s6
	s_xor_b32 s6, exec_lo, s10
	s_cbranch_execz .LBB74_124
.LBB74_140:                             ;   in Loop: Header=BB74_86 Depth=1
	v_mov_b32_e32 v4, 0
	s_and_not1_b32 s0, s0, exec_lo
	s_or_b32 exec_lo, exec_lo, s6
	s_and_saveexec_b32 s6, s0
	s_cbranch_execnz .LBB74_125
	s_branch .LBB74_126
.LBB74_141:                             ;   in Loop: Header=BB74_86 Depth=1
	v_cmp_ne_u32_e32 vcc_lo, 1, v5
	s_and_b32 s6, vcc_lo, exec_lo
	s_and_not1_saveexec_b32 s10, s10
	s_cbranch_execz .LBB74_130
.LBB74_142:                             ;   in Loop: Header=BB74_86 Depth=1
	v_cmp_ne_u32_e32 vcc_lo, -1, v5
	s_and_not1_b32 s6, s6, exec_lo
	s_mov_b32 s0, exec_lo
                                        ; implicit-def: $vgpr5
	s_and_b32 s11, vcc_lo, exec_lo
	s_delay_alu instid0(SALU_CYCLE_1) | instskip(SKIP_2) | instid1(SALU_CYCLE_1)
	s_or_b32 s6, s6, s11
	s_or_b32 exec_lo, exec_lo, s10
	s_and_saveexec_b32 s10, s6
	s_xor_b32 s6, exec_lo, s10
	s_cbranch_execz .LBB74_131
.LBB74_143:                             ;   in Loop: Header=BB74_86 Depth=1
	v_mov_b32_e32 v5, 0
	s_and_not1_b32 s0, s0, exec_lo
	s_or_b32 exec_lo, exec_lo, s6
	s_and_saveexec_b32 s6, s0
	s_cbranch_execz .LBB74_84
.LBB74_144:                             ;   in Loop: Header=BB74_86 Depth=1
	v_mov_b32_e32 v5, s4
	s_branch .LBB74_84
.LBB74_145:
	s_nop 0
	s_sendmsg sendmsg(MSG_DEALLOC_VGPRS)
	s_endpgm
	.section	.rodata,"a",@progbits
	.p2align	6, 0x0
	.amdhsa_kernel _ZN2at6native12_GLOBAL__N_125multi_tensor_apply_kernelINS1_28TensorListScalarListMetadataIiLi1EEENS1_25BinaryOpScalarListFunctorIiLi1ELi1ELi0EEEJNS1_13power_functorIiEEEEEvT_T0_DpT1_
		.amdhsa_group_segment_fixed_size 0
		.amdhsa_private_segment_fixed_size 0
		.amdhsa_kernarg_size 3784
		.amdhsa_user_sgpr_count 15
		.amdhsa_user_sgpr_dispatch_ptr 0
		.amdhsa_user_sgpr_queue_ptr 0
		.amdhsa_user_sgpr_kernarg_segment_ptr 1
		.amdhsa_user_sgpr_dispatch_id 0
		.amdhsa_user_sgpr_private_segment_size 0
		.amdhsa_wavefront_size32 1
		.amdhsa_uses_dynamic_stack 0
		.amdhsa_enable_private_segment 0
		.amdhsa_system_sgpr_workgroup_id_x 1
		.amdhsa_system_sgpr_workgroup_id_y 0
		.amdhsa_system_sgpr_workgroup_id_z 0
		.amdhsa_system_sgpr_workgroup_info 0
		.amdhsa_system_vgpr_workitem_id 0
		.amdhsa_next_free_vgpr 17
		.amdhsa_next_free_sgpr 26
		.amdhsa_reserve_vcc 1
		.amdhsa_float_round_mode_32 0
		.amdhsa_float_round_mode_16_64 0
		.amdhsa_float_denorm_mode_32 3
		.amdhsa_float_denorm_mode_16_64 3
		.amdhsa_dx10_clamp 1
		.amdhsa_ieee_mode 1
		.amdhsa_fp16_overflow 0
		.amdhsa_workgroup_processor_mode 1
		.amdhsa_memory_ordered 1
		.amdhsa_forward_progress 0
		.amdhsa_shared_vgpr_count 0
		.amdhsa_exception_fp_ieee_invalid_op 0
		.amdhsa_exception_fp_denorm_src 0
		.amdhsa_exception_fp_ieee_div_zero 0
		.amdhsa_exception_fp_ieee_overflow 0
		.amdhsa_exception_fp_ieee_underflow 0
		.amdhsa_exception_fp_ieee_inexact 0
		.amdhsa_exception_int_div_zero 0
	.end_amdhsa_kernel
	.section	.text._ZN2at6native12_GLOBAL__N_125multi_tensor_apply_kernelINS1_28TensorListScalarListMetadataIiLi1EEENS1_25BinaryOpScalarListFunctorIiLi1ELi1ELi0EEEJNS1_13power_functorIiEEEEEvT_T0_DpT1_,"axG",@progbits,_ZN2at6native12_GLOBAL__N_125multi_tensor_apply_kernelINS1_28TensorListScalarListMetadataIiLi1EEENS1_25BinaryOpScalarListFunctorIiLi1ELi1ELi0EEEJNS1_13power_functorIiEEEEEvT_T0_DpT1_,comdat
.Lfunc_end74:
	.size	_ZN2at6native12_GLOBAL__N_125multi_tensor_apply_kernelINS1_28TensorListScalarListMetadataIiLi1EEENS1_25BinaryOpScalarListFunctorIiLi1ELi1ELi0EEEJNS1_13power_functorIiEEEEEvT_T0_DpT1_, .Lfunc_end74-_ZN2at6native12_GLOBAL__N_125multi_tensor_apply_kernelINS1_28TensorListScalarListMetadataIiLi1EEENS1_25BinaryOpScalarListFunctorIiLi1ELi1ELi0EEEJNS1_13power_functorIiEEEEEvT_T0_DpT1_
                                        ; -- End function
	.section	.AMDGPU.csdata,"",@progbits
; Kernel info:
; codeLenInByte = 3176
; NumSgprs: 28
; NumVgprs: 17
; ScratchSize: 0
; MemoryBound: 1
; FloatMode: 240
; IeeeMode: 1
; LDSByteSize: 0 bytes/workgroup (compile time only)
; SGPRBlocks: 3
; VGPRBlocks: 2
; NumSGPRsForWavesPerEU: 28
; NumVGPRsForWavesPerEU: 17
; Occupancy: 16
; WaveLimiterHint : 0
; COMPUTE_PGM_RSRC2:SCRATCH_EN: 0
; COMPUTE_PGM_RSRC2:USER_SGPR: 15
; COMPUTE_PGM_RSRC2:TRAP_HANDLER: 0
; COMPUTE_PGM_RSRC2:TGID_X_EN: 1
; COMPUTE_PGM_RSRC2:TGID_Y_EN: 0
; COMPUTE_PGM_RSRC2:TGID_Z_EN: 0
; COMPUTE_PGM_RSRC2:TIDIG_COMP_CNT: 0
	.section	.text._ZN2at6native12_GLOBAL__N_125multi_tensor_apply_kernelINS1_28TensorListScalarListMetadataIlLi1EEENS1_25BinaryOpScalarListFunctorIlLi1ELi1ELi0EEEJNS1_13power_functorIlEEEEEvT_T0_DpT1_,"axG",@progbits,_ZN2at6native12_GLOBAL__N_125multi_tensor_apply_kernelINS1_28TensorListScalarListMetadataIlLi1EEENS1_25BinaryOpScalarListFunctorIlLi1ELi1ELi0EEEJNS1_13power_functorIlEEEEEvT_T0_DpT1_,comdat
	.globl	_ZN2at6native12_GLOBAL__N_125multi_tensor_apply_kernelINS1_28TensorListScalarListMetadataIlLi1EEENS1_25BinaryOpScalarListFunctorIlLi1ELi1ELi0EEEJNS1_13power_functorIlEEEEEvT_T0_DpT1_ ; -- Begin function _ZN2at6native12_GLOBAL__N_125multi_tensor_apply_kernelINS1_28TensorListScalarListMetadataIlLi1EEENS1_25BinaryOpScalarListFunctorIlLi1ELi1ELi0EEEJNS1_13power_functorIlEEEEEvT_T0_DpT1_
	.p2align	8
	.type	_ZN2at6native12_GLOBAL__N_125multi_tensor_apply_kernelINS1_28TensorListScalarListMetadataIlLi1EEENS1_25BinaryOpScalarListFunctorIlLi1ELi1ELi0EEEJNS1_13power_functorIlEEEEEvT_T0_DpT1_,@function
_ZN2at6native12_GLOBAL__N_125multi_tensor_apply_kernelINS1_28TensorListScalarListMetadataIlLi1EEENS1_25BinaryOpScalarListFunctorIlLi1ELi1ELi0EEEJNS1_13power_functorIlEEEEEvT_T0_DpT1_: ; @_ZN2at6native12_GLOBAL__N_125multi_tensor_apply_kernelINS1_28TensorListScalarListMetadataIlLi1EEENS1_25BinaryOpScalarListFunctorIlLi1ELi1ELi0EEEJNS1_13power_functorIlEEEEEvT_T0_DpT1_
; %bb.0:
	v_mov_b32_e32 v1, s15
	s_add_u32 s2, s0, s15
	s_mul_hi_u32 s3, s15, 3
	s_mul_i32 s15, s15, 3
	s_addc_u32 s4, s1, 0
	global_load_u8 v1, v1, s[0:1] offset:2304
	s_add_u32 s2, s2, s15
	s_addc_u32 s3, s4, s3
	s_mov_b32 s13, 0
	s_load_b32 s2, s[2:3], 0xa40
	s_waitcnt vmcnt(0)
	v_readfirstlane_b32 s5, v1
	s_delay_alu instid0(VALU_DEP_1)
	s_lshl_b32 s3, s5, 3
	s_clause 0x2
	s_load_b64 s[8:9], s[0:1], s3 offset:0x600
	s_load_b64 s[4:5], s[0:1], s3 offset:0x0
	;; [unrolled: 1-line block ×3, first 2 shown]
	s_waitcnt lgkmcnt(0)
	s_ashr_i32 s3, s2, 31
	s_delay_alu instid0(SALU_CYCLE_1) | instskip(NEXT) | instid1(SALU_CYCLE_1)
	s_lshl_b64 s[10:11], s[2:3], 19
	s_add_u32 s18, s4, s10
	s_addc_u32 s19, s5, s11
	s_lshl_b64 s[2:3], s[2:3], 16
	s_and_b32 s12, s18, 31
	s_sub_u32 s10, s6, s2
	s_subb_u32 s11, s7, s3
	s_and_b32 s2, s6, 3
	s_mov_b32 s3, s13
	s_delay_alu instid0(SALU_CYCLE_1) | instskip(NEXT) | instid1(SALU_CYCLE_1)
	s_or_b64 s[2:3], s[12:13], s[2:3]
	s_cmp_eq_u64 s[2:3], 0
	s_cbranch_scc1 .LBB75_85
; %bb.1:
	v_cmp_lt_i64_e64 s2, s[10:11], 1
	s_delay_alu instid0(VALU_DEP_1)
	s_and_b32 vcc_lo, exec_lo, s2
	s_cbranch_vccnz .LBB75_84
; %bb.2:
	s_load_b32 s2, s[0:1], 0xf54
	v_cmp_gt_u64_e64 s4, 0x10000, s[10:11]
	s_mov_b32 s3, 0
	v_cmp_gt_i64_e64 s22, s[8:9], -1
	s_mov_b64 s[12:13], 0
	s_waitcnt lgkmcnt(0)
	s_and_b32 s20, s2, 0xffff
	s_and_b32 s2, s4, exec_lo
	s_cselect_b32 s15, s11, 0
	s_cselect_b32 s14, s10, 0x10000
	s_lshl_b32 s21, s20, 1
	s_cmp_lg_u64 s[8:9], 0
	s_mul_i32 s24, s20, 3
	s_cselect_b32 s23, -1, 0
	s_and_b32 s2, s8, 1
	v_cndmask_b32_e64 v23, 0, 1, s23
	s_cmp_eq_u64 s[2:3], 0
	s_cselect_b32 s17, 0, -1
	s_cselect_b32 s16, 1, -1
	s_lshl_b32 s25, s20, 2
	s_branch .LBB75_4
.LBB75_3:                               ;   in Loop: Header=BB75_4 Depth=1
	s_or_b32 exec_lo, exec_lo, s2
	s_add_u32 s12, s12, s25
	s_addc_u32 s13, s13, 0
	s_delay_alu instid0(SALU_CYCLE_1) | instskip(SKIP_1) | instid1(VALU_DEP_1)
	v_cmp_ge_i64_e64 s2, s[12:13], s[10:11]
	v_cmp_lt_u64_e64 s3, 0xffff, s[12:13]
	s_or_b32 s2, s2, s3
	s_delay_alu instid0(SALU_CYCLE_1)
	s_and_b32 vcc_lo, exec_lo, s2
	s_cbranch_vccnz .LBB75_84
.LBB75_4:                               ; =>This Loop Header: Depth=1
                                        ;     Child Loop BB75_15 Depth 2
                                        ;     Child Loop BB75_20 Depth 2
	;; [unrolled: 1-line block ×4, first 2 shown]
	v_add_co_u32 v7, s2, s12, v0
	s_delay_alu instid0(VALU_DEP_1) | instskip(SKIP_3) | instid1(VALU_DEP_2)
	v_add_co_ci_u32_e64 v8, null, s13, 0, s2
	s_waitcnt vmcnt(0)
	v_mov_b32_e32 v17, 0
	v_mov_b32_e32 v18, 0
	;; [unrolled: 1-line block ×3, first 2 shown]
	v_cmp_gt_u64_e64 s2, s[14:15], v[7:8]
	v_lshlrev_b64 v[1:2], 3, v[7:8]
	s_delay_alu instid0(VALU_DEP_4) | instskip(NEXT) | instid1(VALU_DEP_3)
	v_mov_b32_e32 v16, v18
	s_and_saveexec_b32 s3, s2
	s_cbranch_execz .LBB75_6
; %bb.5:                                ;   in Loop: Header=BB75_4 Depth=1
	s_delay_alu instid0(VALU_DEP_2) | instskip(NEXT) | instid1(VALU_DEP_3)
	v_add_co_u32 v3, vcc_lo, s18, v1
	v_add_co_ci_u32_e32 v4, vcc_lo, s19, v2, vcc_lo
	global_load_b64 v[15:16], v[3:4], off
.LBB75_6:                               ;   in Loop: Header=BB75_4 Depth=1
	s_or_b32 exec_lo, exec_lo, s3
	v_add_co_u32 v3, vcc_lo, v7, s20
	v_add_co_ci_u32_e32 v4, vcc_lo, 0, v8, vcc_lo
	s_delay_alu instid0(VALU_DEP_1) | instskip(SKIP_1) | instid1(VALU_DEP_2)
	v_cmp_gt_u64_e64 s3, s[14:15], v[3:4]
	v_lshlrev_b64 v[3:4], 3, v[3:4]
	s_and_saveexec_b32 s4, s3
	s_cbranch_execz .LBB75_8
; %bb.7:                                ;   in Loop: Header=BB75_4 Depth=1
	s_delay_alu instid0(VALU_DEP_1) | instskip(NEXT) | instid1(VALU_DEP_2)
	v_add_co_u32 v5, vcc_lo, s18, v3
	v_add_co_ci_u32_e32 v6, vcc_lo, s19, v4, vcc_lo
	global_load_b64 v[17:18], v[5:6], off
.LBB75_8:                               ;   in Loop: Header=BB75_4 Depth=1
	s_or_b32 exec_lo, exec_lo, s4
	v_add_co_u32 v5, vcc_lo, v7, s21
	v_add_co_ci_u32_e32 v6, vcc_lo, 0, v8, vcc_lo
	v_mov_b32_e32 v9, 0
	v_mov_b32_e32 v10, 0
	s_delay_alu instid0(VALU_DEP_3) | instskip(SKIP_1) | instid1(VALU_DEP_3)
	v_cmp_gt_u64_e64 s4, s[14:15], v[5:6]
	v_lshlrev_b64 v[5:6], 3, v[5:6]
	v_dual_mov_b32 v14, v10 :: v_dual_mov_b32 v13, v9
	s_delay_alu instid0(VALU_DEP_3)
	s_and_saveexec_b32 s5, s4
	s_cbranch_execz .LBB75_10
; %bb.9:                                ;   in Loop: Header=BB75_4 Depth=1
	s_delay_alu instid0(VALU_DEP_2) | instskip(NEXT) | instid1(VALU_DEP_3)
	v_add_co_u32 v11, vcc_lo, s18, v5
	v_add_co_ci_u32_e32 v12, vcc_lo, s19, v6, vcc_lo
	global_load_b64 v[13:14], v[11:12], off
.LBB75_10:                              ;   in Loop: Header=BB75_4 Depth=1
	s_or_b32 exec_lo, exec_lo, s5
	v_add_co_u32 v7, vcc_lo, v7, s24
	v_add_co_ci_u32_e32 v8, vcc_lo, 0, v8, vcc_lo
	s_delay_alu instid0(VALU_DEP_1) | instskip(SKIP_1) | instid1(VALU_DEP_2)
	v_cmp_gt_u64_e64 s5, s[14:15], v[7:8]
	v_lshlrev_b64 v[7:8], 3, v[7:8]
	s_and_saveexec_b32 s6, s5
	s_cbranch_execz .LBB75_12
; %bb.11:                               ;   in Loop: Header=BB75_4 Depth=1
	s_delay_alu instid0(VALU_DEP_1) | instskip(NEXT) | instid1(VALU_DEP_2)
	v_add_co_u32 v9, vcc_lo, s18, v7
	v_add_co_ci_u32_e32 v10, vcc_lo, s19, v8, vcc_lo
	global_load_b64 v[9:10], v[9:10], off
.LBB75_12:                              ;   in Loop: Header=BB75_4 Depth=1
	s_or_b32 exec_lo, exec_lo, s6
	v_cmp_ne_u32_e64 s6, 1, v23
	s_and_b32 vcc_lo, exec_lo, s22
	s_cbranch_vccz .LBB75_16
; %bb.13:                               ;   in Loop: Header=BB75_4 Depth=1
	s_delay_alu instid0(VALU_DEP_1)
	s_and_b32 vcc_lo, exec_lo, s6
	s_cbranch_vccnz .LBB75_21
; %bb.14:                               ;   in Loop: Header=BB75_4 Depth=1
	s_waitcnt vmcnt(0)
	v_dual_mov_b32 v19, 1 :: v_dual_mov_b32 v22, v16
	v_dual_mov_b32 v20, 0 :: v_dual_mov_b32 v21, v15
	s_mov_b64 s[6:7], s[8:9]
	.p2align	6
.LBB75_15:                              ;   Parent Loop BB75_4 Depth=1
                                        ; =>  This Inner Loop Header: Depth=2
	s_delay_alu instid0(SALU_CYCLE_1) | instskip(NEXT) | instid1(VALU_DEP_1)
	s_bitcmp1_b32 s6, 0
	v_mul_lo_u32 v26, v21, v22
	s_cselect_b32 vcc_lo, -1, 0
	v_mad_u64_u32 v[24:25], null, v21, v21, 0
	v_dual_cndmask_b32 v27, 1, v21 :: v_dual_cndmask_b32 v22, 0, v22
	v_cmp_gt_u64_e64 s26, s[6:7], 1
	s_lshr_b64 s[6:7], s[6:7], 1
	s_delay_alu instid0(VALU_DEP_2)
	v_mul_lo_u32 v20, v27, v20
	v_mad_u64_u32 v[11:12], null, v27, v19, 0
	v_mul_lo_u32 v19, v22, v19
	v_add3_u32 v25, v25, v26, v26
	v_mov_b32_e32 v21, v24
	s_and_b32 vcc_lo, exec_lo, s26
	s_delay_alu instid0(VALU_DEP_2) | instskip(NEXT) | instid1(VALU_DEP_4)
	v_mov_b32_e32 v22, v25
	v_add3_u32 v12, v12, v20, v19
	s_delay_alu instid0(VALU_DEP_1)
	v_dual_mov_b32 v20, v12 :: v_dual_mov_b32 v19, v11
	s_cbranch_vccnz .LBB75_15
	s_branch .LBB75_22
.LBB75_16:                              ;   in Loop: Header=BB75_4 Depth=1
                                        ; implicit-def: $vgpr11_vgpr12
	s_branch .LBB75_23
.LBB75_17:                              ;   in Loop: Header=BB75_4 Depth=1
	s_and_not1_b32 vcc_lo, exec_lo, s22
	s_cbranch_vccnz .LBB75_29
.LBB75_18:                              ;   in Loop: Header=BB75_4 Depth=1
	s_and_not1_b32 vcc_lo, exec_lo, s23
	s_cbranch_vccnz .LBB75_37
; %bb.19:                               ;   in Loop: Header=BB75_4 Depth=1
	s_waitcnt vmcnt(0)
	v_dual_mov_b32 v19, 1 :: v_dual_mov_b32 v22, v18
	v_dual_mov_b32 v20, 0 :: v_dual_mov_b32 v21, v17
	s_mov_b64 s[6:7], s[8:9]
	.p2align	6
.LBB75_20:                              ;   Parent Loop BB75_4 Depth=1
                                        ; =>  This Inner Loop Header: Depth=2
	s_delay_alu instid0(SALU_CYCLE_1) | instskip(NEXT) | instid1(VALU_DEP_1)
	s_bitcmp1_b32 s6, 0
	v_mul_lo_u32 v26, v21, v22
	s_cselect_b32 vcc_lo, -1, 0
	v_mad_u64_u32 v[24:25], null, v21, v21, 0
	v_dual_cndmask_b32 v27, 1, v21 :: v_dual_cndmask_b32 v22, 0, v22
	v_cmp_lt_u64_e64 s26, s[6:7], 2
	s_lshr_b64 s[6:7], s[6:7], 1
	s_delay_alu instid0(VALU_DEP_2)
	v_mul_lo_u32 v20, v27, v20
	v_mad_u64_u32 v[15:16], null, v27, v19, 0
	v_mul_lo_u32 v19, v22, v19
	v_add3_u32 v25, v25, v26, v26
	v_mov_b32_e32 v21, v24
	s_and_b32 vcc_lo, exec_lo, s26
	s_delay_alu instid0(VALU_DEP_2) | instskip(NEXT) | instid1(VALU_DEP_4)
	v_mov_b32_e32 v22, v25
	v_add3_u32 v16, v16, v20, v19
	s_delay_alu instid0(VALU_DEP_1)
	v_dual_mov_b32 v20, v16 :: v_dual_mov_b32 v19, v15
	s_cbranch_vccz .LBB75_20
	s_branch .LBB75_38
.LBB75_21:                              ;   in Loop: Header=BB75_4 Depth=1
	v_mov_b32_e32 v11, 1
	v_mov_b32_e32 v12, 0
.LBB75_22:                              ;   in Loop: Header=BB75_4 Depth=1
	s_cbranch_execnz .LBB75_17
.LBB75_23:                              ;   in Loop: Header=BB75_4 Depth=1
	s_mov_b32 s6, 0
	s_mov_b32 s7, 0
	s_mov_b32 s26, exec_lo
	s_waitcnt vmcnt(0)
	v_cmpx_lt_i64_e32 0, v[15:16]
	s_xor_b32 s26, exec_lo, s26
	s_cbranch_execnz .LBB75_34
; %bb.24:                               ;   in Loop: Header=BB75_4 Depth=1
	s_and_not1_saveexec_b32 s26, s26
	s_cbranch_execnz .LBB75_35
.LBB75_25:                              ;   in Loop: Header=BB75_4 Depth=1
	s_or_b32 exec_lo, exec_lo, s26
	s_and_saveexec_b32 s26, s7
	s_delay_alu instid0(SALU_CYCLE_1)
	s_xor_b32 s7, exec_lo, s26
	s_cbranch_execnz .LBB75_36
.LBB75_26:                              ;   in Loop: Header=BB75_4 Depth=1
	s_or_b32 exec_lo, exec_lo, s7
	s_and_saveexec_b32 s7, s6
.LBB75_27:                              ;   in Loop: Header=BB75_4 Depth=1
	v_dual_mov_b32 v15, s16 :: v_dual_mov_b32 v16, s17
.LBB75_28:                              ;   in Loop: Header=BB75_4 Depth=1
	s_or_b32 exec_lo, exec_lo, s7
	s_delay_alu instid0(VALU_DEP_1)
	v_dual_mov_b32 v11, v15 :: v_dual_mov_b32 v12, v16
	s_and_not1_b32 vcc_lo, exec_lo, s22
	s_cbranch_vccz .LBB75_18
.LBB75_29:                              ;   in Loop: Header=BB75_4 Depth=1
                                        ; implicit-def: $vgpr15_vgpr16
	s_branch .LBB75_39
.LBB75_30:                              ;   in Loop: Header=BB75_4 Depth=1
	s_and_not1_b32 vcc_lo, exec_lo, s22
	s_cbranch_vccnz .LBB75_45
.LBB75_31:                              ;   in Loop: Header=BB75_4 Depth=1
	s_and_not1_b32 vcc_lo, exec_lo, s23
	s_cbranch_vccnz .LBB75_53
; %bb.32:                               ;   in Loop: Header=BB75_4 Depth=1
	s_waitcnt vmcnt(0)
	v_dual_mov_b32 v19, 1 :: v_dual_mov_b32 v22, v14
	v_dual_mov_b32 v20, 0 :: v_dual_mov_b32 v21, v13
	s_mov_b64 s[6:7], s[8:9]
	.p2align	6
.LBB75_33:                              ;   Parent Loop BB75_4 Depth=1
                                        ; =>  This Inner Loop Header: Depth=2
	s_delay_alu instid0(SALU_CYCLE_1) | instskip(NEXT) | instid1(VALU_DEP_1)
	s_bitcmp1_b32 s6, 0
	v_mul_lo_u32 v26, v21, v22
	s_cselect_b32 vcc_lo, -1, 0
	v_mad_u64_u32 v[24:25], null, v21, v21, 0
	v_dual_cndmask_b32 v27, 1, v21 :: v_dual_cndmask_b32 v22, 0, v22
	v_cmp_lt_u64_e64 s26, s[6:7], 2
	s_lshr_b64 s[6:7], s[6:7], 1
	s_delay_alu instid0(VALU_DEP_2)
	v_mul_lo_u32 v20, v27, v20
	v_mad_u64_u32 v[17:18], null, v27, v19, 0
	v_mul_lo_u32 v19, v22, v19
	v_add3_u32 v25, v25, v26, v26
	v_mov_b32_e32 v21, v24
	s_and_b32 vcc_lo, exec_lo, s26
	s_delay_alu instid0(VALU_DEP_2) | instskip(NEXT) | instid1(VALU_DEP_4)
	v_mov_b32_e32 v22, v25
	v_add3_u32 v18, v18, v20, v19
	s_delay_alu instid0(VALU_DEP_1)
	v_dual_mov_b32 v20, v18 :: v_dual_mov_b32 v19, v17
	s_cbranch_vccz .LBB75_33
	s_branch .LBB75_54
.LBB75_34:                              ;   in Loop: Header=BB75_4 Depth=1
	v_cmp_ne_u64_e32 vcc_lo, 1, v[15:16]
	s_and_b32 s7, vcc_lo, exec_lo
	s_and_not1_saveexec_b32 s26, s26
	s_cbranch_execz .LBB75_25
.LBB75_35:                              ;   in Loop: Header=BB75_4 Depth=1
	v_cmp_ne_u64_e32 vcc_lo, -1, v[15:16]
	s_and_not1_b32 s7, s7, exec_lo
	s_mov_b32 s6, exec_lo
                                        ; implicit-def: $vgpr15_vgpr16
	s_and_b32 s27, vcc_lo, exec_lo
	s_delay_alu instid0(SALU_CYCLE_1) | instskip(SKIP_2) | instid1(SALU_CYCLE_1)
	s_or_b32 s7, s7, s27
	s_or_b32 exec_lo, exec_lo, s26
	s_and_saveexec_b32 s26, s7
	s_xor_b32 s7, exec_lo, s26
	s_cbranch_execz .LBB75_26
.LBB75_36:                              ;   in Loop: Header=BB75_4 Depth=1
	v_mov_b32_e32 v15, 0
	v_mov_b32_e32 v16, 0
	s_and_not1_b32 s6, s6, exec_lo
	s_or_b32 exec_lo, exec_lo, s7
	s_and_saveexec_b32 s7, s6
	s_cbranch_execnz .LBB75_27
	s_branch .LBB75_28
.LBB75_37:                              ;   in Loop: Header=BB75_4 Depth=1
	s_waitcnt vmcnt(0)
	v_mov_b32_e32 v15, 1
	v_mov_b32_e32 v16, 0
.LBB75_38:                              ;   in Loop: Header=BB75_4 Depth=1
	s_cbranch_execnz .LBB75_30
.LBB75_39:                              ;   in Loop: Header=BB75_4 Depth=1
	s_mov_b32 s6, 0
	s_mov_b32 s7, 0
	s_mov_b32 s26, exec_lo
	s_waitcnt vmcnt(0)
	v_cmpx_lt_i64_e32 0, v[17:18]
	s_xor_b32 s26, exec_lo, s26
	s_cbranch_execnz .LBB75_50
; %bb.40:                               ;   in Loop: Header=BB75_4 Depth=1
	s_and_not1_saveexec_b32 s26, s26
	s_cbranch_execnz .LBB75_51
.LBB75_41:                              ;   in Loop: Header=BB75_4 Depth=1
	s_or_b32 exec_lo, exec_lo, s26
	s_and_saveexec_b32 s26, s7
	s_delay_alu instid0(SALU_CYCLE_1)
	s_xor_b32 s7, exec_lo, s26
	s_cbranch_execnz .LBB75_52
.LBB75_42:                              ;   in Loop: Header=BB75_4 Depth=1
	s_or_b32 exec_lo, exec_lo, s7
	s_and_saveexec_b32 s7, s6
.LBB75_43:                              ;   in Loop: Header=BB75_4 Depth=1
	v_dual_mov_b32 v18, s17 :: v_dual_mov_b32 v17, s16
.LBB75_44:                              ;   in Loop: Header=BB75_4 Depth=1
	s_or_b32 exec_lo, exec_lo, s7
	s_delay_alu instid0(VALU_DEP_1)
	v_dual_mov_b32 v15, v17 :: v_dual_mov_b32 v16, v18
	s_and_not1_b32 vcc_lo, exec_lo, s22
	s_cbranch_vccz .LBB75_31
.LBB75_45:                              ;   in Loop: Header=BB75_4 Depth=1
                                        ; implicit-def: $vgpr17_vgpr18
	s_branch .LBB75_55
.LBB75_46:                              ;   in Loop: Header=BB75_4 Depth=1
	s_and_not1_b32 vcc_lo, exec_lo, s22
	s_cbranch_vccnz .LBB75_61
.LBB75_47:                              ;   in Loop: Header=BB75_4 Depth=1
	s_and_not1_b32 vcc_lo, exec_lo, s23
	s_cbranch_vccnz .LBB75_65
; %bb.48:                               ;   in Loop: Header=BB75_4 Depth=1
	s_waitcnt vmcnt(0)
	v_dual_mov_b32 v19, 1 :: v_dual_mov_b32 v22, v10
	v_dual_mov_b32 v20, 0 :: v_dual_mov_b32 v21, v9
	s_mov_b64 s[6:7], s[8:9]
	.p2align	6
.LBB75_49:                              ;   Parent Loop BB75_4 Depth=1
                                        ; =>  This Inner Loop Header: Depth=2
	s_delay_alu instid0(SALU_CYCLE_1) | instskip(NEXT) | instid1(VALU_DEP_1)
	s_bitcmp1_b32 s6, 0
	v_mul_lo_u32 v26, v21, v22
	s_cselect_b32 vcc_lo, -1, 0
	v_mad_u64_u32 v[24:25], null, v21, v21, 0
	v_dual_cndmask_b32 v27, 1, v21 :: v_dual_cndmask_b32 v22, 0, v22
	v_cmp_lt_u64_e64 s26, s[6:7], 2
	s_lshr_b64 s[6:7], s[6:7], 1
	s_delay_alu instid0(VALU_DEP_2)
	v_mul_lo_u32 v20, v27, v20
	v_mad_u64_u32 v[13:14], null, v27, v19, 0
	v_mul_lo_u32 v19, v22, v19
	v_add3_u32 v25, v25, v26, v26
	v_mov_b32_e32 v21, v24
	s_and_b32 vcc_lo, exec_lo, s26
	s_delay_alu instid0(VALU_DEP_2) | instskip(NEXT) | instid1(VALU_DEP_4)
	v_mov_b32_e32 v22, v25
	v_add3_u32 v14, v14, v20, v19
	s_delay_alu instid0(VALU_DEP_1)
	v_dual_mov_b32 v20, v14 :: v_dual_mov_b32 v19, v13
	s_cbranch_vccz .LBB75_49
	s_branch .LBB75_66
.LBB75_50:                              ;   in Loop: Header=BB75_4 Depth=1
	v_cmp_ne_u64_e32 vcc_lo, 1, v[17:18]
	s_and_b32 s7, vcc_lo, exec_lo
	s_and_not1_saveexec_b32 s26, s26
	s_cbranch_execz .LBB75_41
.LBB75_51:                              ;   in Loop: Header=BB75_4 Depth=1
	v_cmp_ne_u64_e32 vcc_lo, -1, v[17:18]
	s_and_not1_b32 s7, s7, exec_lo
	s_mov_b32 s6, exec_lo
                                        ; implicit-def: $vgpr17_vgpr18
	s_and_b32 s27, vcc_lo, exec_lo
	s_delay_alu instid0(SALU_CYCLE_1) | instskip(SKIP_2) | instid1(SALU_CYCLE_1)
	s_or_b32 s7, s7, s27
	s_or_b32 exec_lo, exec_lo, s26
	s_and_saveexec_b32 s26, s7
	s_xor_b32 s7, exec_lo, s26
	s_cbranch_execz .LBB75_42
.LBB75_52:                              ;   in Loop: Header=BB75_4 Depth=1
	v_mov_b32_e32 v17, 0
	v_mov_b32_e32 v18, 0
	s_and_not1_b32 s6, s6, exec_lo
	s_or_b32 exec_lo, exec_lo, s7
	s_and_saveexec_b32 s7, s6
	s_cbranch_execnz .LBB75_43
	s_branch .LBB75_44
.LBB75_53:                              ;   in Loop: Header=BB75_4 Depth=1
	s_waitcnt vmcnt(0)
	v_mov_b32_e32 v17, 1
	v_mov_b32_e32 v18, 0
.LBB75_54:                              ;   in Loop: Header=BB75_4 Depth=1
	s_cbranch_execnz .LBB75_46
.LBB75_55:                              ;   in Loop: Header=BB75_4 Depth=1
	s_mov_b32 s6, 0
	s_mov_b32 s7, 0
	s_mov_b32 s26, exec_lo
	s_waitcnt vmcnt(0)
	v_cmpx_lt_i64_e32 0, v[13:14]
	s_xor_b32 s26, exec_lo, s26
	s_cbranch_execnz .LBB75_62
; %bb.56:                               ;   in Loop: Header=BB75_4 Depth=1
	s_and_not1_saveexec_b32 s26, s26
	s_cbranch_execnz .LBB75_63
.LBB75_57:                              ;   in Loop: Header=BB75_4 Depth=1
	s_or_b32 exec_lo, exec_lo, s26
	s_and_saveexec_b32 s26, s7
	s_delay_alu instid0(SALU_CYCLE_1)
	s_xor_b32 s7, exec_lo, s26
	s_cbranch_execnz .LBB75_64
.LBB75_58:                              ;   in Loop: Header=BB75_4 Depth=1
	s_or_b32 exec_lo, exec_lo, s7
	s_and_saveexec_b32 s7, s6
.LBB75_59:                              ;   in Loop: Header=BB75_4 Depth=1
	v_dual_mov_b32 v13, s16 :: v_dual_mov_b32 v14, s17
.LBB75_60:                              ;   in Loop: Header=BB75_4 Depth=1
	s_or_b32 exec_lo, exec_lo, s7
	s_delay_alu instid0(VALU_DEP_1)
	v_dual_mov_b32 v18, v14 :: v_dual_mov_b32 v17, v13
	s_and_not1_b32 vcc_lo, exec_lo, s22
	s_cbranch_vccz .LBB75_47
.LBB75_61:                              ;   in Loop: Header=BB75_4 Depth=1
                                        ; implicit-def: $vgpr13_vgpr14
	s_branch .LBB75_67
.LBB75_62:                              ;   in Loop: Header=BB75_4 Depth=1
	v_cmp_ne_u64_e32 vcc_lo, 1, v[13:14]
	s_and_b32 s7, vcc_lo, exec_lo
	s_and_not1_saveexec_b32 s26, s26
	s_cbranch_execz .LBB75_57
.LBB75_63:                              ;   in Loop: Header=BB75_4 Depth=1
	v_cmp_ne_u64_e32 vcc_lo, -1, v[13:14]
	s_and_not1_b32 s7, s7, exec_lo
	s_mov_b32 s6, exec_lo
                                        ; implicit-def: $vgpr13_vgpr14
	s_and_b32 s27, vcc_lo, exec_lo
	s_delay_alu instid0(SALU_CYCLE_1) | instskip(SKIP_2) | instid1(SALU_CYCLE_1)
	s_or_b32 s7, s7, s27
	s_or_b32 exec_lo, exec_lo, s26
	s_and_saveexec_b32 s26, s7
	s_xor_b32 s7, exec_lo, s26
	s_cbranch_execz .LBB75_58
.LBB75_64:                              ;   in Loop: Header=BB75_4 Depth=1
	v_mov_b32_e32 v13, 0
	v_mov_b32_e32 v14, 0
	s_and_not1_b32 s6, s6, exec_lo
	s_or_b32 exec_lo, exec_lo, s7
	s_and_saveexec_b32 s7, s6
	s_cbranch_execnz .LBB75_59
	s_branch .LBB75_60
.LBB75_65:                              ;   in Loop: Header=BB75_4 Depth=1
	s_waitcnt vmcnt(0)
	v_mov_b32_e32 v13, 1
	v_mov_b32_e32 v14, 0
.LBB75_66:                              ;   in Loop: Header=BB75_4 Depth=1
	s_cbranch_execnz .LBB75_73
.LBB75_67:                              ;   in Loop: Header=BB75_4 Depth=1
	s_mov_b32 s6, 0
	s_mov_b32 s7, 0
	s_mov_b32 s26, exec_lo
	s_waitcnt vmcnt(0)
	v_cmpx_lt_i64_e32 0, v[9:10]
	s_xor_b32 s26, exec_lo, s26
	s_cbranch_execnz .LBB75_81
; %bb.68:                               ;   in Loop: Header=BB75_4 Depth=1
	s_and_not1_saveexec_b32 s26, s26
	s_cbranch_execnz .LBB75_82
.LBB75_69:                              ;   in Loop: Header=BB75_4 Depth=1
	s_or_b32 exec_lo, exec_lo, s26
	s_and_saveexec_b32 s26, s7
	s_delay_alu instid0(SALU_CYCLE_1)
	s_xor_b32 s7, exec_lo, s26
	s_cbranch_execnz .LBB75_83
.LBB75_70:                              ;   in Loop: Header=BB75_4 Depth=1
	s_or_b32 exec_lo, exec_lo, s7
	s_and_saveexec_b32 s7, s6
.LBB75_71:                              ;   in Loop: Header=BB75_4 Depth=1
	v_dual_mov_b32 v9, s16 :: v_dual_mov_b32 v10, s17
.LBB75_72:                              ;   in Loop: Header=BB75_4 Depth=1
	s_or_b32 exec_lo, exec_lo, s7
	s_delay_alu instid0(VALU_DEP_1)
	v_dual_mov_b32 v14, v10 :: v_dual_mov_b32 v13, v9
.LBB75_73:                              ;   in Loop: Header=BB75_4 Depth=1
	s_and_saveexec_b32 s6, s2
	s_delay_alu instid0(SALU_CYCLE_1)
	s_xor_b32 s2, exec_lo, s6
	s_cbranch_execnz .LBB75_77
; %bb.74:                               ;   in Loop: Header=BB75_4 Depth=1
	s_or_b32 exec_lo, exec_lo, s2
	s_and_saveexec_b32 s2, s3
	s_cbranch_execnz .LBB75_78
.LBB75_75:                              ;   in Loop: Header=BB75_4 Depth=1
	s_or_b32 exec_lo, exec_lo, s2
	s_and_saveexec_b32 s2, s4
	s_cbranch_execnz .LBB75_79
.LBB75_76:                              ;   in Loop: Header=BB75_4 Depth=1
	s_or_b32 exec_lo, exec_lo, s2
	s_and_saveexec_b32 s2, s5
	s_cbranch_execz .LBB75_3
	s_branch .LBB75_80
.LBB75_77:                              ;   in Loop: Header=BB75_4 Depth=1
	v_add_co_u32 v1, vcc_lo, s18, v1
	v_add_co_ci_u32_e32 v2, vcc_lo, s19, v2, vcc_lo
	global_store_b64 v[1:2], v[11:12], off
	s_or_b32 exec_lo, exec_lo, s2
	s_and_saveexec_b32 s2, s3
	s_cbranch_execz .LBB75_75
.LBB75_78:                              ;   in Loop: Header=BB75_4 Depth=1
	v_add_co_u32 v1, vcc_lo, s18, v3
	v_add_co_ci_u32_e32 v2, vcc_lo, s19, v4, vcc_lo
	s_waitcnt vmcnt(0)
	global_store_b64 v[1:2], v[15:16], off
	s_or_b32 exec_lo, exec_lo, s2
	s_and_saveexec_b32 s2, s4
	s_cbranch_execz .LBB75_76
.LBB75_79:                              ;   in Loop: Header=BB75_4 Depth=1
	v_add_co_u32 v1, vcc_lo, s18, v5
	v_add_co_ci_u32_e32 v2, vcc_lo, s19, v6, vcc_lo
	s_waitcnt vmcnt(0)
	global_store_b64 v[1:2], v[17:18], off
	s_or_b32 exec_lo, exec_lo, s2
	s_and_saveexec_b32 s2, s5
	s_cbranch_execz .LBB75_3
.LBB75_80:                              ;   in Loop: Header=BB75_4 Depth=1
	v_add_co_u32 v1, vcc_lo, s18, v7
	v_add_co_ci_u32_e32 v2, vcc_lo, s19, v8, vcc_lo
	s_waitcnt vmcnt(0)
	global_store_b64 v[1:2], v[13:14], off
	s_branch .LBB75_3
.LBB75_81:                              ;   in Loop: Header=BB75_4 Depth=1
	v_cmp_ne_u64_e32 vcc_lo, 1, v[9:10]
	s_and_b32 s7, vcc_lo, exec_lo
	s_and_not1_saveexec_b32 s26, s26
	s_cbranch_execz .LBB75_69
.LBB75_82:                              ;   in Loop: Header=BB75_4 Depth=1
	v_cmp_ne_u64_e32 vcc_lo, -1, v[9:10]
	s_and_not1_b32 s7, s7, exec_lo
	s_mov_b32 s6, exec_lo
                                        ; implicit-def: $vgpr9_vgpr10
	s_and_b32 s27, vcc_lo, exec_lo
	s_delay_alu instid0(SALU_CYCLE_1) | instskip(SKIP_2) | instid1(SALU_CYCLE_1)
	s_or_b32 s7, s7, s27
	s_or_b32 exec_lo, exec_lo, s26
	s_and_saveexec_b32 s26, s7
	s_xor_b32 s7, exec_lo, s26
	s_cbranch_execz .LBB75_70
.LBB75_83:                              ;   in Loop: Header=BB75_4 Depth=1
	v_mov_b32_e32 v9, 0
	v_mov_b32_e32 v10, 0
	s_and_not1_b32 s6, s6, exec_lo
	s_or_b32 exec_lo, exec_lo, s7
	s_and_saveexec_b32 s7, s6
	s_cbranch_execnz .LBB75_71
	s_branch .LBB75_72
.LBB75_84:
	s_cbranch_execz .LBB75_86
	s_branch .LBB75_153
.LBB75_85:
.LBB75_86:
	v_dual_mov_b32 v2, 0 :: v_dual_lshlrev_b32 v1, 2, v0
	s_mov_b32 s3, 0
	s_mov_b32 s2, exec_lo
	s_delay_alu instid0(VALU_DEP_1)
	v_cmpx_gt_i64_e64 s[10:11], v[1:2]
	s_cbranch_execz .LBB75_153
; %bb.87:
	s_load_b32 s0, s[0:1], 0xf54
	s_cmp_lg_u64 s[8:9], 0
	v_mov_b32_e32 v1, v2
	s_cselect_b32 s6, -1, 0
	s_and_b32 s2, s8, 1
	s_waitcnt vmcnt(0)
	v_cndmask_b32_e64 v18, 0, 1, s6
	s_cmp_eq_u64 s[2:3], 0
	v_cmp_gt_i64_e64 s2, s[8:9], -1
	s_cselect_b32 s5, 0, -1
	s_cselect_b32 s4, 1, -1
	s_waitcnt lgkmcnt(0)
	s_and_b32 s7, s0, 0xffff
	s_branch .LBB75_90
.LBB75_88:                              ;   in Loop: Header=BB75_90 Depth=1
	s_or_b32 exec_lo, exec_lo, s1
	s_delay_alu instid0(VALU_DEP_1)
	v_dual_mov_b32 v13, v5 :: v_dual_mov_b32 v12, v4
.LBB75_89:                              ;   in Loop: Header=BB75_90 Depth=1
	v_add_co_u32 v0, vcc_lo, v0, s7
	v_add_co_ci_u32_e32 v1, vcc_lo, 0, v1, vcc_lo
	s_waitcnt vmcnt(0)
	s_clause 0x1
	global_store_b128 v[14:15], v[6:9], off
	global_store_b128 v[14:15], v[10:13], off offset:16
	v_lshlrev_b64 v[2:3], 2, v[0:1]
	s_delay_alu instid0(VALU_DEP_1) | instskip(SKIP_1) | instid1(VALU_DEP_1)
	v_cmp_le_i64_e32 vcc_lo, s[10:11], v[2:3]
	v_cmp_lt_u64_e64 s0, 0xffff, v[2:3]
	s_or_b32 s0, vcc_lo, s0
	s_delay_alu instid0(SALU_CYCLE_1) | instskip(NEXT) | instid1(SALU_CYCLE_1)
	s_and_b32 s0, exec_lo, s0
	s_or_b32 s3, s0, s3
	s_delay_alu instid0(SALU_CYCLE_1)
	s_and_not1_b32 exec_lo, exec_lo, s3
	s_cbranch_execz .LBB75_153
.LBB75_90:                              ; =>This Loop Header: Depth=1
                                        ;     Child Loop BB75_98 Depth 2
                                        ;     Child Loop BB75_95 Depth 2
	;; [unrolled: 1-line block ×4, first 2 shown]
	v_lshlrev_b64 v[2:3], 5, v[0:1]
	v_cmp_ne_u32_e64 s0, 1, v18
	s_mov_b32 s1, -1
                                        ; implicit-def: $vgpr6_vgpr7
	s_delay_alu instid0(VALU_DEP_2) | instskip(NEXT) | instid1(VALU_DEP_3)
	v_add_co_u32 v14, vcc_lo, s18, v2
	v_add_co_ci_u32_e32 v15, vcc_lo, s19, v3, vcc_lo
	s_and_b32 vcc_lo, exec_lo, s2
	s_clause 0x1
	global_load_b128 v[2:5], v[14:15], off offset:16
	global_load_b128 v[8:11], v[14:15], off
	s_cbranch_vccnz .LBB75_96
; %bb.91:                               ;   in Loop: Header=BB75_90 Depth=1
	s_and_not1_b32 vcc_lo, exec_lo, s1
	s_cbranch_vccz .LBB75_107
.LBB75_92:                              ;   in Loop: Header=BB75_90 Depth=1
	s_and_not1_b32 vcc_lo, exec_lo, s2
	s_cbranch_vccnz .LBB75_113
.LBB75_93:                              ;   in Loop: Header=BB75_90 Depth=1
	s_and_not1_b32 vcc_lo, exec_lo, s6
	s_cbranch_vccnz .LBB75_100
; %bb.94:                               ;   in Loop: Header=BB75_90 Depth=1
	s_waitcnt vmcnt(0)
	v_dual_mov_b32 v12, 1 :: v_dual_mov_b32 v17, v11
	v_dual_mov_b32 v13, 0 :: v_dual_mov_b32 v16, v10
	s_mov_b64 s[0:1], s[8:9]
	.p2align	6
.LBB75_95:                              ;   Parent Loop BB75_90 Depth=1
                                        ; =>  This Inner Loop Header: Depth=2
	s_delay_alu instid0(SALU_CYCLE_1) | instskip(NEXT) | instid1(VALU_DEP_1)
	s_bitcmp1_b32 s0, 0
	v_mul_lo_u32 v21, v16, v17
	s_cselect_b32 vcc_lo, -1, 0
	v_mad_u64_u32 v[19:20], null, v16, v16, 0
	v_dual_cndmask_b32 v22, 1, v16 :: v_dual_cndmask_b32 v17, 0, v17
	v_cmp_lt_u64_e64 s12, s[0:1], 2
	s_lshr_b64 s[0:1], s[0:1], 1
	s_delay_alu instid0(VALU_DEP_2)
	v_mul_lo_u32 v13, v22, v13
	v_mad_u64_u32 v[8:9], null, v22, v12, 0
	v_mul_lo_u32 v12, v17, v12
	v_add3_u32 v20, v20, v21, v21
	v_mov_b32_e32 v16, v19
	s_and_b32 vcc_lo, exec_lo, s12
	s_delay_alu instid0(VALU_DEP_2) | instskip(NEXT) | instid1(VALU_DEP_4)
	v_mov_b32_e32 v17, v20
	v_add3_u32 v9, v9, v13, v12
	s_delay_alu instid0(VALU_DEP_1)
	v_dual_mov_b32 v13, v9 :: v_dual_mov_b32 v12, v8
	s_cbranch_vccz .LBB75_95
	s_branch .LBB75_101
.LBB75_96:                              ;   in Loop: Header=BB75_90 Depth=1
	s_and_b32 vcc_lo, exec_lo, s0
	s_cbranch_vccnz .LBB75_106
; %bb.97:                               ;   in Loop: Header=BB75_90 Depth=1
	s_waitcnt vmcnt(0)
	v_dual_mov_b32 v12, 1 :: v_dual_mov_b32 v17, v9
	v_dual_mov_b32 v13, 0 :: v_dual_mov_b32 v16, v8
	s_mov_b64 s[0:1], s[8:9]
	.p2align	6
.LBB75_98:                              ;   Parent Loop BB75_90 Depth=1
                                        ; =>  This Inner Loop Header: Depth=2
	s_delay_alu instid0(SALU_CYCLE_1) | instskip(NEXT) | instid1(VALU_DEP_1)
	s_bitcmp1_b32 s0, 0
	v_mul_lo_u32 v21, v16, v17
	s_cselect_b32 vcc_lo, -1, 0
	v_mad_u64_u32 v[19:20], null, v16, v16, 0
	v_dual_cndmask_b32 v22, 1, v16 :: v_dual_cndmask_b32 v17, 0, v17
	v_cmp_gt_u64_e64 s12, s[0:1], 1
	s_lshr_b64 s[0:1], s[0:1], 1
	s_delay_alu instid0(VALU_DEP_2)
	v_mul_lo_u32 v13, v22, v13
	v_mad_u64_u32 v[6:7], null, v22, v12, 0
	v_mul_lo_u32 v12, v17, v12
	v_add3_u32 v20, v20, v21, v21
	v_mov_b32_e32 v16, v19
	s_and_b32 vcc_lo, exec_lo, s12
	s_delay_alu instid0(VALU_DEP_2) | instskip(NEXT) | instid1(VALU_DEP_4)
	v_mov_b32_e32 v17, v20
	v_add3_u32 v7, v7, v13, v12
	s_delay_alu instid0(VALU_DEP_1)
	v_dual_mov_b32 v13, v7 :: v_dual_mov_b32 v12, v6
	s_cbranch_vccnz .LBB75_98
; %bb.99:                               ;   in Loop: Header=BB75_90 Depth=1
	s_cbranch_execnz .LBB75_92
	s_branch .LBB75_107
.LBB75_100:                             ;   in Loop: Header=BB75_90 Depth=1
	s_waitcnt vmcnt(0)
	v_mov_b32_e32 v8, 1
	v_mov_b32_e32 v9, 0
.LBB75_101:                             ;   in Loop: Header=BB75_90 Depth=1
	s_cbranch_execz .LBB75_114
; %bb.102:                              ;   in Loop: Header=BB75_90 Depth=1
	s_and_not1_b32 vcc_lo, exec_lo, s2
	s_cbranch_vccnz .LBB75_120
.LBB75_103:                             ;   in Loop: Header=BB75_90 Depth=1
	s_and_not1_b32 vcc_lo, exec_lo, s6
	s_cbranch_vccnz .LBB75_131
; %bb.104:                              ;   in Loop: Header=BB75_90 Depth=1
	s_waitcnt vmcnt(1)
	v_dual_mov_b32 v12, 1 :: v_dual_mov_b32 v17, v3
	v_dual_mov_b32 v13, 0 :: v_dual_mov_b32 v16, v2
	s_mov_b64 s[0:1], s[8:9]
	.p2align	6
.LBB75_105:                             ;   Parent Loop BB75_90 Depth=1
                                        ; =>  This Inner Loop Header: Depth=2
	s_delay_alu instid0(SALU_CYCLE_1) | instskip(NEXT) | instid1(VALU_DEP_1)
	s_bitcmp1_b32 s0, 0
	v_mul_lo_u32 v21, v16, v17
	s_cselect_b32 vcc_lo, -1, 0
	v_mad_u64_u32 v[19:20], null, v16, v16, 0
	v_dual_cndmask_b32 v22, 1, v16 :: v_dual_cndmask_b32 v17, 0, v17
	v_cmp_lt_u64_e64 s12, s[0:1], 2
	s_lshr_b64 s[0:1], s[0:1], 1
	s_delay_alu instid0(VALU_DEP_2)
	v_mul_lo_u32 v13, v22, v13
	s_waitcnt vmcnt(0)
	v_mad_u64_u32 v[10:11], null, v22, v12, 0
	v_mul_lo_u32 v12, v17, v12
	v_add3_u32 v20, v20, v21, v21
	v_mov_b32_e32 v16, v19
	s_and_b32 vcc_lo, exec_lo, s12
	s_delay_alu instid0(VALU_DEP_2) | instskip(NEXT) | instid1(VALU_DEP_4)
	v_mov_b32_e32 v17, v20
	v_add3_u32 v11, v11, v13, v12
	s_delay_alu instid0(VALU_DEP_1)
	v_dual_mov_b32 v13, v11 :: v_dual_mov_b32 v12, v10
	s_cbranch_vccz .LBB75_105
	s_branch .LBB75_132
.LBB75_106:                             ;   in Loop: Header=BB75_90 Depth=1
	v_mov_b32_e32 v6, 1
	v_mov_b32_e32 v7, 0
	s_cbranch_execnz .LBB75_92
.LBB75_107:                             ;   in Loop: Header=BB75_90 Depth=1
	s_mov_b32 s0, 0
	s_mov_b32 s1, 0
	s_mov_b32 s12, exec_lo
	s_waitcnt vmcnt(0)
	v_cmpx_lt_i64_e32 0, v[8:9]
	s_xor_b32 s12, exec_lo, s12
	s_cbranch_execnz .LBB75_125
; %bb.108:                              ;   in Loop: Header=BB75_90 Depth=1
	s_and_not1_saveexec_b32 s12, s12
	s_cbranch_execnz .LBB75_126
.LBB75_109:                             ;   in Loop: Header=BB75_90 Depth=1
	s_or_b32 exec_lo, exec_lo, s12
	s_and_saveexec_b32 s12, s1
	s_delay_alu instid0(SALU_CYCLE_1)
	s_xor_b32 s1, exec_lo, s12
	s_cbranch_execnz .LBB75_127
.LBB75_110:                             ;   in Loop: Header=BB75_90 Depth=1
	s_or_b32 exec_lo, exec_lo, s1
	s_and_saveexec_b32 s1, s0
.LBB75_111:                             ;   in Loop: Header=BB75_90 Depth=1
	v_dual_mov_b32 v9, s5 :: v_dual_mov_b32 v8, s4
.LBB75_112:                             ;   in Loop: Header=BB75_90 Depth=1
	s_or_b32 exec_lo, exec_lo, s1
	s_delay_alu instid0(VALU_DEP_1)
	v_dual_mov_b32 v6, v8 :: v_dual_mov_b32 v7, v9
	s_and_not1_b32 vcc_lo, exec_lo, s2
	s_cbranch_vccz .LBB75_93
.LBB75_113:                             ;   in Loop: Header=BB75_90 Depth=1
.LBB75_114:                             ;   in Loop: Header=BB75_90 Depth=1
	s_mov_b32 s0, 0
	s_mov_b32 s1, 0
	s_mov_b32 s12, exec_lo
	s_waitcnt vmcnt(0)
	v_cmpx_lt_i64_e32 0, v[10:11]
	s_xor_b32 s12, exec_lo, s12
	s_cbranch_execnz .LBB75_128
; %bb.115:                              ;   in Loop: Header=BB75_90 Depth=1
	s_and_not1_saveexec_b32 s12, s12
	s_cbranch_execnz .LBB75_129
.LBB75_116:                             ;   in Loop: Header=BB75_90 Depth=1
	s_or_b32 exec_lo, exec_lo, s12
	s_and_saveexec_b32 s12, s1
	s_delay_alu instid0(SALU_CYCLE_1)
	s_xor_b32 s1, exec_lo, s12
	s_cbranch_execnz .LBB75_130
.LBB75_117:                             ;   in Loop: Header=BB75_90 Depth=1
	s_or_b32 exec_lo, exec_lo, s1
	s_and_saveexec_b32 s1, s0
.LBB75_118:                             ;   in Loop: Header=BB75_90 Depth=1
	v_dual_mov_b32 v11, s5 :: v_dual_mov_b32 v10, s4
.LBB75_119:                             ;   in Loop: Header=BB75_90 Depth=1
	s_or_b32 exec_lo, exec_lo, s1
	s_delay_alu instid0(VALU_DEP_1)
	v_dual_mov_b32 v8, v10 :: v_dual_mov_b32 v9, v11
	s_and_not1_b32 vcc_lo, exec_lo, s2
	s_cbranch_vccz .LBB75_103
.LBB75_120:                             ;   in Loop: Header=BB75_90 Depth=1
                                        ; implicit-def: $vgpr10_vgpr11
	s_branch .LBB75_133
.LBB75_121:                             ;   in Loop: Header=BB75_90 Depth=1
	s_and_not1_b32 vcc_lo, exec_lo, s2
	s_cbranch_vccnz .LBB75_139
.LBB75_122:                             ;   in Loop: Header=BB75_90 Depth=1
	s_and_not1_b32 vcc_lo, exec_lo, s6
	s_cbranch_vccnz .LBB75_143
; %bb.123:                              ;   in Loop: Header=BB75_90 Depth=1
	s_waitcnt vmcnt(1)
	v_dual_mov_b32 v2, 1 :: v_dual_mov_b32 v17, v5
	v_dual_mov_b32 v3, 0 :: v_dual_mov_b32 v16, v4
	s_mov_b64 s[0:1], s[8:9]
	.p2align	6
.LBB75_124:                             ;   Parent Loop BB75_90 Depth=1
                                        ; =>  This Inner Loop Header: Depth=2
	s_delay_alu instid0(SALU_CYCLE_1) | instskip(NEXT) | instid1(VALU_DEP_1)
	s_bitcmp1_b32 s0, 0
	v_mul_lo_u32 v21, v16, v17
	s_cselect_b32 vcc_lo, -1, 0
	v_mad_u64_u32 v[19:20], null, v16, v16, 0
	v_dual_cndmask_b32 v22, 1, v16 :: v_dual_cndmask_b32 v17, 0, v17
	v_cmp_lt_u64_e64 s12, s[0:1], 2
	s_lshr_b64 s[0:1], s[0:1], 1
	s_delay_alu instid0(VALU_DEP_2)
	v_mul_lo_u32 v3, v22, v3
	v_mad_u64_u32 v[12:13], null, v22, v2, 0
	v_mul_lo_u32 v2, v17, v2
	v_add3_u32 v20, v20, v21, v21
	v_mov_b32_e32 v16, v19
	s_and_b32 vcc_lo, exec_lo, s12
	s_delay_alu instid0(VALU_DEP_2) | instskip(NEXT) | instid1(VALU_DEP_4)
	v_mov_b32_e32 v17, v20
	v_add3_u32 v13, v13, v3, v2
	s_delay_alu instid0(VALU_DEP_1)
	v_dual_mov_b32 v2, v12 :: v_dual_mov_b32 v3, v13
	s_cbranch_vccz .LBB75_124
	s_branch .LBB75_144
.LBB75_125:                             ;   in Loop: Header=BB75_90 Depth=1
	v_cmp_ne_u64_e32 vcc_lo, 1, v[8:9]
	s_and_b32 s1, vcc_lo, exec_lo
	s_and_not1_saveexec_b32 s12, s12
	s_cbranch_execz .LBB75_109
.LBB75_126:                             ;   in Loop: Header=BB75_90 Depth=1
	v_cmp_ne_u64_e32 vcc_lo, -1, v[8:9]
	s_and_not1_b32 s1, s1, exec_lo
	s_mov_b32 s0, exec_lo
	s_and_b32 s13, vcc_lo, exec_lo
	s_delay_alu instid0(SALU_CYCLE_1) | instskip(SKIP_2) | instid1(SALU_CYCLE_1)
	s_or_b32 s1, s1, s13
	s_or_b32 exec_lo, exec_lo, s12
	s_and_saveexec_b32 s12, s1
	s_xor_b32 s1, exec_lo, s12
	s_cbranch_execz .LBB75_110
.LBB75_127:                             ;   in Loop: Header=BB75_90 Depth=1
	v_mov_b32_e32 v8, 0
	v_mov_b32_e32 v9, 0
	s_and_not1_b32 s0, s0, exec_lo
	s_or_b32 exec_lo, exec_lo, s1
	s_and_saveexec_b32 s1, s0
	s_cbranch_execnz .LBB75_111
	s_branch .LBB75_112
.LBB75_128:                             ;   in Loop: Header=BB75_90 Depth=1
	v_cmp_ne_u64_e32 vcc_lo, 1, v[10:11]
	s_and_b32 s1, vcc_lo, exec_lo
	s_and_not1_saveexec_b32 s12, s12
	s_cbranch_execz .LBB75_116
.LBB75_129:                             ;   in Loop: Header=BB75_90 Depth=1
	v_cmp_ne_u64_e32 vcc_lo, -1, v[10:11]
	s_and_not1_b32 s1, s1, exec_lo
	s_mov_b32 s0, exec_lo
                                        ; implicit-def: $vgpr10_vgpr11
	s_and_b32 s13, vcc_lo, exec_lo
	s_delay_alu instid0(SALU_CYCLE_1) | instskip(SKIP_2) | instid1(SALU_CYCLE_1)
	s_or_b32 s1, s1, s13
	s_or_b32 exec_lo, exec_lo, s12
	s_and_saveexec_b32 s12, s1
	s_xor_b32 s1, exec_lo, s12
	s_cbranch_execz .LBB75_117
.LBB75_130:                             ;   in Loop: Header=BB75_90 Depth=1
	v_mov_b32_e32 v10, 0
	v_mov_b32_e32 v11, 0
	s_and_not1_b32 s0, s0, exec_lo
	s_or_b32 exec_lo, exec_lo, s1
	s_and_saveexec_b32 s1, s0
	s_cbranch_execnz .LBB75_118
	s_branch .LBB75_119
.LBB75_131:                             ;   in Loop: Header=BB75_90 Depth=1
	s_waitcnt vmcnt(0)
	v_mov_b32_e32 v10, 1
	v_mov_b32_e32 v11, 0
.LBB75_132:                             ;   in Loop: Header=BB75_90 Depth=1
	s_cbranch_execnz .LBB75_121
.LBB75_133:                             ;   in Loop: Header=BB75_90 Depth=1
	s_mov_b32 s0, 0
	s_mov_b32 s1, 0
	s_mov_b32 s12, exec_lo
	s_waitcnt vmcnt(1)
	v_cmpx_lt_i64_e32 0, v[2:3]
	s_xor_b32 s12, exec_lo, s12
	s_cbranch_execnz .LBB75_140
; %bb.134:                              ;   in Loop: Header=BB75_90 Depth=1
	s_and_not1_saveexec_b32 s12, s12
	s_cbranch_execnz .LBB75_141
.LBB75_135:                             ;   in Loop: Header=BB75_90 Depth=1
	s_or_b32 exec_lo, exec_lo, s12
	s_and_saveexec_b32 s12, s1
	s_delay_alu instid0(SALU_CYCLE_1)
	s_xor_b32 s1, exec_lo, s12
	s_cbranch_execnz .LBB75_142
.LBB75_136:                             ;   in Loop: Header=BB75_90 Depth=1
	s_or_b32 exec_lo, exec_lo, s1
	s_and_saveexec_b32 s1, s0
.LBB75_137:                             ;   in Loop: Header=BB75_90 Depth=1
	v_dual_mov_b32 v2, s4 :: v_dual_mov_b32 v3, s5
.LBB75_138:                             ;   in Loop: Header=BB75_90 Depth=1
	s_or_b32 exec_lo, exec_lo, s1
	s_waitcnt vmcnt(0)
	s_delay_alu instid0(VALU_DEP_1)
	v_dual_mov_b32 v11, v3 :: v_dual_mov_b32 v10, v2
	s_and_not1_b32 vcc_lo, exec_lo, s2
	s_cbranch_vccz .LBB75_122
.LBB75_139:                             ;   in Loop: Header=BB75_90 Depth=1
	s_branch .LBB75_145
.LBB75_140:                             ;   in Loop: Header=BB75_90 Depth=1
	v_cmp_ne_u64_e32 vcc_lo, 1, v[2:3]
	s_and_b32 s1, vcc_lo, exec_lo
	s_and_not1_saveexec_b32 s12, s12
	s_cbranch_execz .LBB75_135
.LBB75_141:                             ;   in Loop: Header=BB75_90 Depth=1
	v_cmp_ne_u64_e32 vcc_lo, -1, v[2:3]
	s_and_not1_b32 s1, s1, exec_lo
	s_mov_b32 s0, exec_lo
	s_and_b32 s13, vcc_lo, exec_lo
	s_delay_alu instid0(SALU_CYCLE_1) | instskip(SKIP_2) | instid1(SALU_CYCLE_1)
	s_or_b32 s1, s1, s13
	s_or_b32 exec_lo, exec_lo, s12
	s_and_saveexec_b32 s12, s1
	s_xor_b32 s1, exec_lo, s12
	s_cbranch_execz .LBB75_136
.LBB75_142:                             ;   in Loop: Header=BB75_90 Depth=1
	v_mov_b32_e32 v2, 0
	v_mov_b32_e32 v3, 0
	s_and_not1_b32 s0, s0, exec_lo
	s_or_b32 exec_lo, exec_lo, s1
	s_and_saveexec_b32 s1, s0
	s_cbranch_execnz .LBB75_137
	s_branch .LBB75_138
.LBB75_143:                             ;   in Loop: Header=BB75_90 Depth=1
	v_mov_b32_e32 v12, 1
	v_mov_b32_e32 v13, 0
.LBB75_144:                             ;   in Loop: Header=BB75_90 Depth=1
	s_cbranch_execnz .LBB75_89
.LBB75_145:                             ;   in Loop: Header=BB75_90 Depth=1
	s_mov_b32 s0, 0
	s_mov_b32 s1, 0
	s_mov_b32 s12, exec_lo
	s_waitcnt vmcnt(1)
	v_cmpx_lt_i64_e32 0, v[4:5]
	s_xor_b32 s12, exec_lo, s12
	s_cbranch_execnz .LBB75_149
; %bb.146:                              ;   in Loop: Header=BB75_90 Depth=1
	s_and_not1_saveexec_b32 s12, s12
	s_cbranch_execnz .LBB75_150
.LBB75_147:                             ;   in Loop: Header=BB75_90 Depth=1
	s_or_b32 exec_lo, exec_lo, s12
	s_and_saveexec_b32 s12, s1
	s_delay_alu instid0(SALU_CYCLE_1)
	s_xor_b32 s1, exec_lo, s12
	s_cbranch_execnz .LBB75_151
.LBB75_148:                             ;   in Loop: Header=BB75_90 Depth=1
	s_or_b32 exec_lo, exec_lo, s1
	s_and_saveexec_b32 s1, s0
	s_cbranch_execz .LBB75_88
	s_branch .LBB75_152
.LBB75_149:                             ;   in Loop: Header=BB75_90 Depth=1
	v_cmp_ne_u64_e32 vcc_lo, 1, v[4:5]
	s_and_b32 s1, vcc_lo, exec_lo
	s_and_not1_saveexec_b32 s12, s12
	s_cbranch_execz .LBB75_147
.LBB75_150:                             ;   in Loop: Header=BB75_90 Depth=1
	v_cmp_ne_u64_e32 vcc_lo, -1, v[4:5]
	s_and_not1_b32 s1, s1, exec_lo
	s_mov_b32 s0, exec_lo
                                        ; implicit-def: $vgpr4_vgpr5
	s_and_b32 s13, vcc_lo, exec_lo
	s_delay_alu instid0(SALU_CYCLE_1) | instskip(SKIP_2) | instid1(SALU_CYCLE_1)
	s_or_b32 s1, s1, s13
	s_or_b32 exec_lo, exec_lo, s12
	s_and_saveexec_b32 s12, s1
	s_xor_b32 s1, exec_lo, s12
	s_cbranch_execz .LBB75_148
.LBB75_151:                             ;   in Loop: Header=BB75_90 Depth=1
	v_mov_b32_e32 v4, 0
	v_mov_b32_e32 v5, 0
	s_and_not1_b32 s0, s0, exec_lo
	s_or_b32 exec_lo, exec_lo, s1
	s_and_saveexec_b32 s1, s0
	s_cbranch_execz .LBB75_88
.LBB75_152:                             ;   in Loop: Header=BB75_90 Depth=1
	v_dual_mov_b32 v4, s4 :: v_dual_mov_b32 v5, s5
	s_branch .LBB75_88
.LBB75_153:
	s_nop 0
	s_sendmsg sendmsg(MSG_DEALLOC_VGPRS)
	s_endpgm
	.section	.rodata,"a",@progbits
	.p2align	6, 0x0
	.amdhsa_kernel _ZN2at6native12_GLOBAL__N_125multi_tensor_apply_kernelINS1_28TensorListScalarListMetadataIlLi1EEENS1_25BinaryOpScalarListFunctorIlLi1ELi1ELi0EEEJNS1_13power_functorIlEEEEEvT_T0_DpT1_
		.amdhsa_group_segment_fixed_size 0
		.amdhsa_private_segment_fixed_size 0
		.amdhsa_kernarg_size 4168
		.amdhsa_user_sgpr_count 15
		.amdhsa_user_sgpr_dispatch_ptr 0
		.amdhsa_user_sgpr_queue_ptr 0
		.amdhsa_user_sgpr_kernarg_segment_ptr 1
		.amdhsa_user_sgpr_dispatch_id 0
		.amdhsa_user_sgpr_private_segment_size 0
		.amdhsa_wavefront_size32 1
		.amdhsa_uses_dynamic_stack 0
		.amdhsa_enable_private_segment 0
		.amdhsa_system_sgpr_workgroup_id_x 1
		.amdhsa_system_sgpr_workgroup_id_y 0
		.amdhsa_system_sgpr_workgroup_id_z 0
		.amdhsa_system_sgpr_workgroup_info 0
		.amdhsa_system_vgpr_workitem_id 0
		.amdhsa_next_free_vgpr 28
		.amdhsa_next_free_sgpr 28
		.amdhsa_reserve_vcc 1
		.amdhsa_float_round_mode_32 0
		.amdhsa_float_round_mode_16_64 0
		.amdhsa_float_denorm_mode_32 3
		.amdhsa_float_denorm_mode_16_64 3
		.amdhsa_dx10_clamp 1
		.amdhsa_ieee_mode 1
		.amdhsa_fp16_overflow 0
		.amdhsa_workgroup_processor_mode 1
		.amdhsa_memory_ordered 1
		.amdhsa_forward_progress 0
		.amdhsa_shared_vgpr_count 0
		.amdhsa_exception_fp_ieee_invalid_op 0
		.amdhsa_exception_fp_denorm_src 0
		.amdhsa_exception_fp_ieee_div_zero 0
		.amdhsa_exception_fp_ieee_overflow 0
		.amdhsa_exception_fp_ieee_underflow 0
		.amdhsa_exception_fp_ieee_inexact 0
		.amdhsa_exception_int_div_zero 0
	.end_amdhsa_kernel
	.section	.text._ZN2at6native12_GLOBAL__N_125multi_tensor_apply_kernelINS1_28TensorListScalarListMetadataIlLi1EEENS1_25BinaryOpScalarListFunctorIlLi1ELi1ELi0EEEJNS1_13power_functorIlEEEEEvT_T0_DpT1_,"axG",@progbits,_ZN2at6native12_GLOBAL__N_125multi_tensor_apply_kernelINS1_28TensorListScalarListMetadataIlLi1EEENS1_25BinaryOpScalarListFunctorIlLi1ELi1ELi0EEEJNS1_13power_functorIlEEEEEvT_T0_DpT1_,comdat
.Lfunc_end75:
	.size	_ZN2at6native12_GLOBAL__N_125multi_tensor_apply_kernelINS1_28TensorListScalarListMetadataIlLi1EEENS1_25BinaryOpScalarListFunctorIlLi1ELi1ELi0EEEJNS1_13power_functorIlEEEEEvT_T0_DpT1_, .Lfunc_end75-_ZN2at6native12_GLOBAL__N_125multi_tensor_apply_kernelINS1_28TensorListScalarListMetadataIlLi1EEENS1_25BinaryOpScalarListFunctorIlLi1ELi1ELi0EEEJNS1_13power_functorIlEEEEEvT_T0_DpT1_
                                        ; -- End function
	.section	.AMDGPU.csdata,"",@progbits
; Kernel info:
; codeLenInByte = 4068
; NumSgprs: 30
; NumVgprs: 28
; ScratchSize: 0
; MemoryBound: 1
; FloatMode: 240
; IeeeMode: 1
; LDSByteSize: 0 bytes/workgroup (compile time only)
; SGPRBlocks: 3
; VGPRBlocks: 3
; NumSGPRsForWavesPerEU: 30
; NumVGPRsForWavesPerEU: 28
; Occupancy: 16
; WaveLimiterHint : 1
; COMPUTE_PGM_RSRC2:SCRATCH_EN: 0
; COMPUTE_PGM_RSRC2:USER_SGPR: 15
; COMPUTE_PGM_RSRC2:TRAP_HANDLER: 0
; COMPUTE_PGM_RSRC2:TGID_X_EN: 1
; COMPUTE_PGM_RSRC2:TGID_Y_EN: 0
; COMPUTE_PGM_RSRC2:TGID_Z_EN: 0
; COMPUTE_PGM_RSRC2:TIDIG_COMP_CNT: 0
	.section	.text._ZN2at6native12_GLOBAL__N_125multi_tensor_apply_kernelINS1_28TensorListScalarListMetadataIsLi1EEENS1_25BinaryOpScalarListFunctorIsLi1ELi1ELi0EEEJNS1_13power_functorIsEEEEEvT_T0_DpT1_,"axG",@progbits,_ZN2at6native12_GLOBAL__N_125multi_tensor_apply_kernelINS1_28TensorListScalarListMetadataIsLi1EEENS1_25BinaryOpScalarListFunctorIsLi1ELi1ELi0EEEJNS1_13power_functorIsEEEEEvT_T0_DpT1_,comdat
	.globl	_ZN2at6native12_GLOBAL__N_125multi_tensor_apply_kernelINS1_28TensorListScalarListMetadataIsLi1EEENS1_25BinaryOpScalarListFunctorIsLi1ELi1ELi0EEEJNS1_13power_functorIsEEEEEvT_T0_DpT1_ ; -- Begin function _ZN2at6native12_GLOBAL__N_125multi_tensor_apply_kernelINS1_28TensorListScalarListMetadataIsLi1EEENS1_25BinaryOpScalarListFunctorIsLi1ELi1ELi0EEEJNS1_13power_functorIsEEEEEvT_T0_DpT1_
	.p2align	8
	.type	_ZN2at6native12_GLOBAL__N_125multi_tensor_apply_kernelINS1_28TensorListScalarListMetadataIsLi1EEENS1_25BinaryOpScalarListFunctorIsLi1ELi1ELi0EEEJNS1_13power_functorIsEEEEEvT_T0_DpT1_,@function
_ZN2at6native12_GLOBAL__N_125multi_tensor_apply_kernelINS1_28TensorListScalarListMetadataIsLi1EEENS1_25BinaryOpScalarListFunctorIsLi1ELi1ELi0EEEJNS1_13power_functorIsEEEEEvT_T0_DpT1_: ; @_ZN2at6native12_GLOBAL__N_125multi_tensor_apply_kernelINS1_28TensorListScalarListMetadataIsLi1EEENS1_25BinaryOpScalarListFunctorIsLi1ELi1ELi0EEEJNS1_13power_functorIsEEEEEvT_T0_DpT1_
; %bb.0:
	v_mov_b32_e32 v1, s15
	s_add_u32 s2, s0, s15
	s_mul_i32 s3, s15, 3
	s_mul_hi_u32 s4, s15, 3
	s_addc_u32 s5, s1, 0
	global_load_u8 v1, v1, s[0:1] offset:1728
	s_add_u32 s2, s2, s3
	s_addc_u32 s3, s5, s4
	s_mov_b32 s13, 0
	s_load_b32 s2, s[2:3], 0x800
	s_waitcnt vmcnt(0)
	v_readfirstlane_b32 s3, v1
	v_mul_lo_u32 v2, v1, -6
	v_mul_hi_i32 v3, v1, -6
	s_delay_alu instid0(VALU_DEP_3) | instskip(SKIP_4) | instid1(VALU_DEP_2)
	s_lshl_b32 s6, s3, 3
	s_waitcnt lgkmcnt(0)
	s_ashr_i32 s3, s2, 31
	s_add_u32 s7, s0, s6
	s_addc_u32 s8, s1, 0
	v_add_co_u32 v1, vcc_lo, s7, v2
	s_delay_alu instid0(VALU_DEP_2)
	v_add_co_ci_u32_e32 v2, vcc_lo, s8, v3, vcc_lo
	s_load_b64 s[4:5], s[0:1], s6 offset:0x300
	s_lshl_b64 s[10:11], s[2:3], 17
	global_load_u16 v1, v[1:2], off offset:1536
	s_load_b64 s[8:9], s[0:1], s6 offset:0x0
	s_waitcnt lgkmcnt(0)
	s_add_u32 s7, s8, s10
	s_addc_u32 s14, s9, s11
	s_lshl_b64 s[2:3], s[2:3], 16
	s_and_b32 s6, s7, 7
	s_sub_u32 s8, s4, s2
	s_subb_u32 s9, s5, s3
	s_and_b32 s2, s4, 3
	s_delay_alu instid0(SALU_CYCLE_1) | instskip(NEXT) | instid1(SALU_CYCLE_1)
	s_or_b32 s12, s6, s2
	s_cmp_eq_u64 s[12:13], 0
	s_waitcnt vmcnt(0)
	v_readfirstlane_b32 s15, v1
	s_cbranch_scc1 .LBB76_85
; %bb.1:
	v_cmp_lt_i64_e64 s2, s[8:9], 1
	s_delay_alu instid0(VALU_DEP_1)
	s_and_b32 vcc_lo, exec_lo, s2
	s_cbranch_vccnz .LBB76_84
; %bb.2:
	s_load_b32 s2, s[0:1], 0xd14
	v_and_b32_e64 v1, s15, 1
	v_cmp_gt_u64_e64 s3, 0x10000, s[8:9]
	v_cmp_ne_u16_e64 s16, s15, 0
	s_sext_i32_i16 s4, s15
	s_mov_b64 s[12:13], 0
	v_cmp_eq_u16_e32 vcc_lo, 0, v1
	s_delay_alu instid0(VALU_DEP_2)
	v_cndmask_b32_e64 v9, 0, 1, s16
	s_waitcnt lgkmcnt(0)
	s_and_b32 s17, s2, 0xffff
	s_and_b32 s2, s3, exec_lo
	s_cselect_b32 s11, s9, 0
	s_cselect_b32 s10, s8, 0x10000
	s_lshl_b32 s18, s17, 1
	s_cmp_gt_i32 s4, -1
	s_mul_i32 s19, s17, 3
	s_cselect_b32 s20, -1, 0
	s_and_b32 s2, vcc_lo, exec_lo
	s_cselect_b32 s21, 1, 0xffff
	s_lshl_b32 s22, s17, 2
	s_branch .LBB76_4
.LBB76_3:                               ;   in Loop: Header=BB76_4 Depth=1
	s_or_b32 exec_lo, exec_lo, s2
	s_add_u32 s12, s12, s22
	s_addc_u32 s13, s13, 0
	s_delay_alu instid0(SALU_CYCLE_1) | instskip(SKIP_1) | instid1(VALU_DEP_1)
	v_cmp_ge_i64_e64 s2, s[12:13], s[8:9]
	v_cmp_lt_u64_e64 s3, 0xffff, s[12:13]
	s_or_b32 s2, s2, s3
	s_delay_alu instid0(SALU_CYCLE_1)
	s_and_b32 vcc_lo, exec_lo, s2
	s_cbranch_vccnz .LBB76_84
.LBB76_4:                               ; =>This Loop Header: Depth=1
                                        ;     Child Loop BB76_15 Depth 2
                                        ;     Child Loop BB76_20 Depth 2
	;; [unrolled: 1-line block ×4, first 2 shown]
	v_add_co_u32 v7, s2, s12, v0
	s_delay_alu instid0(VALU_DEP_1) | instskip(SKIP_2) | instid1(VALU_DEP_2)
	v_add_co_ci_u32_e64 v8, null, s13, 0, s2
	s_waitcnt vmcnt(0)
	v_mov_b32_e32 v13, 0
	v_cmp_gt_u64_e64 s2, s[10:11], v[7:8]
	v_lshlrev_b64 v[1:2], 1, v[7:8]
	s_delay_alu instid0(VALU_DEP_2)
	s_and_saveexec_b32 s3, s2
	s_cbranch_execz .LBB76_6
; %bb.5:                                ;   in Loop: Header=BB76_4 Depth=1
	s_delay_alu instid0(VALU_DEP_1) | instskip(NEXT) | instid1(VALU_DEP_2)
	v_add_co_u32 v3, vcc_lo, s7, v1
	v_add_co_ci_u32_e32 v4, vcc_lo, s14, v2, vcc_lo
	global_load_u16 v13, v[3:4], off
.LBB76_6:                               ;   in Loop: Header=BB76_4 Depth=1
	s_or_b32 exec_lo, exec_lo, s3
	v_add_co_u32 v3, vcc_lo, v7, s17
	v_add_co_ci_u32_e32 v4, vcc_lo, 0, v8, vcc_lo
	v_mov_b32_e32 v14, 0
	s_delay_alu instid0(VALU_DEP_2) | instskip(SKIP_1) | instid1(VALU_DEP_2)
	v_cmp_gt_u64_e64 s3, s[10:11], v[3:4]
	v_lshlrev_b64 v[3:4], 1, v[3:4]
	s_and_saveexec_b32 s4, s3
	s_cbranch_execz .LBB76_8
; %bb.7:                                ;   in Loop: Header=BB76_4 Depth=1
	s_delay_alu instid0(VALU_DEP_1) | instskip(NEXT) | instid1(VALU_DEP_2)
	v_add_co_u32 v5, vcc_lo, s7, v3
	v_add_co_ci_u32_e32 v6, vcc_lo, s14, v4, vcc_lo
	global_load_u16 v14, v[5:6], off
.LBB76_8:                               ;   in Loop: Header=BB76_4 Depth=1
	s_or_b32 exec_lo, exec_lo, s4
	v_add_co_u32 v5, vcc_lo, v7, s18
	v_add_co_ci_u32_e32 v6, vcc_lo, 0, v8, vcc_lo
	v_mov_b32_e32 v10, 0
	v_mov_b32_e32 v12, 0
	s_delay_alu instid0(VALU_DEP_3) | instskip(SKIP_1) | instid1(VALU_DEP_2)
	v_cmp_gt_u64_e64 s4, s[10:11], v[5:6]
	v_lshlrev_b64 v[5:6], 1, v[5:6]
	s_and_saveexec_b32 s5, s4
	s_cbranch_execz .LBB76_10
; %bb.9:                                ;   in Loop: Header=BB76_4 Depth=1
	s_delay_alu instid0(VALU_DEP_1) | instskip(NEXT) | instid1(VALU_DEP_2)
	v_add_co_u32 v11, vcc_lo, s7, v5
	v_add_co_ci_u32_e32 v12, vcc_lo, s14, v6, vcc_lo
	global_load_u16 v12, v[11:12], off
.LBB76_10:                              ;   in Loop: Header=BB76_4 Depth=1
	s_or_b32 exec_lo, exec_lo, s5
	v_add_co_u32 v7, vcc_lo, v7, s19
	v_add_co_ci_u32_e32 v8, vcc_lo, 0, v8, vcc_lo
	s_delay_alu instid0(VALU_DEP_1) | instskip(SKIP_1) | instid1(VALU_DEP_2)
	v_cmp_gt_u64_e64 s5, s[10:11], v[7:8]
	v_lshlrev_b64 v[7:8], 1, v[7:8]
	s_and_saveexec_b32 s6, s5
	s_cbranch_execz .LBB76_12
; %bb.11:                               ;   in Loop: Header=BB76_4 Depth=1
	s_delay_alu instid0(VALU_DEP_1) | instskip(NEXT) | instid1(VALU_DEP_2)
	v_add_co_u32 v10, vcc_lo, s7, v7
	v_add_co_ci_u32_e32 v11, vcc_lo, s14, v8, vcc_lo
	global_load_u16 v10, v[10:11], off
.LBB76_12:                              ;   in Loop: Header=BB76_4 Depth=1
	s_or_b32 exec_lo, exec_lo, s6
	v_cmp_ne_u32_e64 s6, 1, v9
	s_and_b32 vcc_lo, exec_lo, s20
	s_cbranch_vccz .LBB76_16
; %bb.13:                               ;   in Loop: Header=BB76_4 Depth=1
	s_delay_alu instid0(VALU_DEP_1)
	s_and_b32 vcc_lo, exec_lo, s6
	s_cbranch_vccnz .LBB76_21
; %bb.14:                               ;   in Loop: Header=BB76_4 Depth=1
	v_dual_mov_b32 v16, s15 :: v_dual_mov_b32 v11, 1
	s_waitcnt vmcnt(0)
	v_mov_b32_e32 v15, v13
	.p2align	6
.LBB76_15:                              ;   Parent Loop BB76_4 Depth=1
                                        ; =>  This Inner Loop Header: Depth=2
	s_delay_alu instid0(VALU_DEP_2) | instskip(SKIP_2) | instid1(VALU_DEP_3)
	v_and_b32_e32 v18, 1, v16
	v_lshrrev_b16 v17, 15, v16
	v_add_nc_u16 v19, v16, 1
	v_cmp_eq_u32_e32 vcc_lo, 1, v18
	s_delay_alu instid0(VALU_DEP_3) | instskip(SKIP_1) | instid1(VALU_DEP_4)
	v_add_nc_u16 v16, v16, v17
	v_cndmask_b32_e32 v17, 1, v15, vcc_lo
	v_cmp_lt_u16_e32 vcc_lo, 2, v19
	s_delay_alu instid0(VALU_DEP_3) | instskip(SKIP_1) | instid1(VALU_DEP_4)
	v_ashrrev_i16 v16, 1, v16
	v_mul_lo_u16 v15, v15, v15
	v_mul_lo_u16 v11, v17, v11
	s_cbranch_vccnz .LBB76_15
	s_branch .LBB76_22
.LBB76_16:                              ;   in Loop: Header=BB76_4 Depth=1
                                        ; implicit-def: $vgpr11
	s_branch .LBB76_23
.LBB76_17:                              ;   in Loop: Header=BB76_4 Depth=1
	s_and_not1_b32 vcc_lo, exec_lo, s20
	s_cbranch_vccnz .LBB76_29
.LBB76_18:                              ;   in Loop: Header=BB76_4 Depth=1
	s_and_not1_b32 vcc_lo, exec_lo, s16
	s_cbranch_vccnz .LBB76_37
; %bb.19:                               ;   in Loop: Header=BB76_4 Depth=1
	s_waitcnt vmcnt(0)
	v_dual_mov_b32 v16, s15 :: v_dual_mov_b32 v13, 1
	v_mov_b32_e32 v15, v14
	.p2align	6
.LBB76_20:                              ;   Parent Loop BB76_4 Depth=1
                                        ; =>  This Inner Loop Header: Depth=2
	s_delay_alu instid0(VALU_DEP_2) | instskip(SKIP_2) | instid1(VALU_DEP_3)
	v_and_b32_e32 v18, 1, v16
	v_lshrrev_b16 v17, 15, v16
	v_add_nc_u16 v19, v16, 1
	v_cmp_eq_u32_e32 vcc_lo, 1, v18
	s_delay_alu instid0(VALU_DEP_3) | instskip(SKIP_1) | instid1(VALU_DEP_4)
	v_add_nc_u16 v16, v16, v17
	v_cndmask_b32_e32 v17, 1, v15, vcc_lo
	v_cmp_gt_u16_e32 vcc_lo, 3, v19
	s_delay_alu instid0(VALU_DEP_3) | instskip(SKIP_1) | instid1(VALU_DEP_4)
	v_ashrrev_i16 v16, 1, v16
	v_mul_lo_u16 v15, v15, v15
	v_mul_lo_u16 v13, v17, v13
	s_cbranch_vccz .LBB76_20
	s_branch .LBB76_38
.LBB76_21:                              ;   in Loop: Header=BB76_4 Depth=1
	v_mov_b32_e32 v11, 1
.LBB76_22:                              ;   in Loop: Header=BB76_4 Depth=1
	s_cbranch_execnz .LBB76_17
.LBB76_23:                              ;   in Loop: Header=BB76_4 Depth=1
	s_mov_b32 s6, 0
	s_mov_b32 s23, 0
	s_mov_b32 s24, exec_lo
	s_waitcnt vmcnt(0)
	v_cmpx_lt_i16_e32 0, v13
	s_xor_b32 s24, exec_lo, s24
	s_cbranch_execnz .LBB76_34
; %bb.24:                               ;   in Loop: Header=BB76_4 Depth=1
	s_and_not1_saveexec_b32 s24, s24
	s_cbranch_execnz .LBB76_35
.LBB76_25:                              ;   in Loop: Header=BB76_4 Depth=1
	s_or_b32 exec_lo, exec_lo, s24
	s_and_saveexec_b32 s24, s23
	s_delay_alu instid0(SALU_CYCLE_1)
	s_xor_b32 s23, exec_lo, s24
	s_cbranch_execnz .LBB76_36
.LBB76_26:                              ;   in Loop: Header=BB76_4 Depth=1
	s_or_b32 exec_lo, exec_lo, s23
	s_and_saveexec_b32 s23, s6
.LBB76_27:                              ;   in Loop: Header=BB76_4 Depth=1
	v_mov_b32_e32 v13, s21
.LBB76_28:                              ;   in Loop: Header=BB76_4 Depth=1
	s_or_b32 exec_lo, exec_lo, s23
	s_delay_alu instid0(VALU_DEP_1)
	v_mov_b32_e32 v11, v13
	s_and_not1_b32 vcc_lo, exec_lo, s20
	s_cbranch_vccz .LBB76_18
.LBB76_29:                              ;   in Loop: Header=BB76_4 Depth=1
                                        ; implicit-def: $vgpr13
	s_branch .LBB76_39
.LBB76_30:                              ;   in Loop: Header=BB76_4 Depth=1
	s_and_not1_b32 vcc_lo, exec_lo, s20
	s_cbranch_vccnz .LBB76_45
.LBB76_31:                              ;   in Loop: Header=BB76_4 Depth=1
	s_and_not1_b32 vcc_lo, exec_lo, s16
	s_cbranch_vccnz .LBB76_53
; %bb.32:                               ;   in Loop: Header=BB76_4 Depth=1
	s_waitcnt vmcnt(0)
	v_dual_mov_b32 v16, s15 :: v_dual_mov_b32 v15, v12
	v_mov_b32_e32 v14, 1
	.p2align	6
.LBB76_33:                              ;   Parent Loop BB76_4 Depth=1
                                        ; =>  This Inner Loop Header: Depth=2
	s_delay_alu instid0(VALU_DEP_2) | instskip(SKIP_2) | instid1(VALU_DEP_3)
	v_and_b32_e32 v18, 1, v16
	v_lshrrev_b16 v17, 15, v16
	v_add_nc_u16 v19, v16, 1
	v_cmp_eq_u32_e32 vcc_lo, 1, v18
	s_delay_alu instid0(VALU_DEP_3) | instskip(SKIP_1) | instid1(VALU_DEP_4)
	v_add_nc_u16 v16, v16, v17
	v_cndmask_b32_e32 v17, 1, v15, vcc_lo
	v_cmp_gt_u16_e32 vcc_lo, 3, v19
	s_delay_alu instid0(VALU_DEP_3) | instskip(SKIP_1) | instid1(VALU_DEP_4)
	v_ashrrev_i16 v16, 1, v16
	v_mul_lo_u16 v15, v15, v15
	v_mul_lo_u16 v14, v17, v14
	s_cbranch_vccz .LBB76_33
	s_branch .LBB76_54
.LBB76_34:                              ;   in Loop: Header=BB76_4 Depth=1
	v_cmp_ne_u16_e32 vcc_lo, 1, v13
	s_and_b32 s23, vcc_lo, exec_lo
	s_and_not1_saveexec_b32 s24, s24
	s_cbranch_execz .LBB76_25
.LBB76_35:                              ;   in Loop: Header=BB76_4 Depth=1
	v_cmp_ne_u16_e32 vcc_lo, -1, v13
	s_and_not1_b32 s23, s23, exec_lo
	s_mov_b32 s6, exec_lo
                                        ; implicit-def: $vgpr13
	s_and_b32 s25, vcc_lo, exec_lo
	s_delay_alu instid0(SALU_CYCLE_1) | instskip(SKIP_2) | instid1(SALU_CYCLE_1)
	s_or_b32 s23, s23, s25
	s_or_b32 exec_lo, exec_lo, s24
	s_and_saveexec_b32 s24, s23
	s_xor_b32 s23, exec_lo, s24
	s_cbranch_execz .LBB76_26
.LBB76_36:                              ;   in Loop: Header=BB76_4 Depth=1
	v_mov_b32_e32 v13, 0
	s_and_not1_b32 s6, s6, exec_lo
	s_or_b32 exec_lo, exec_lo, s23
	s_and_saveexec_b32 s23, s6
	s_cbranch_execnz .LBB76_27
	s_branch .LBB76_28
.LBB76_37:                              ;   in Loop: Header=BB76_4 Depth=1
	s_waitcnt vmcnt(0)
	v_mov_b32_e32 v13, 1
.LBB76_38:                              ;   in Loop: Header=BB76_4 Depth=1
	s_cbranch_execnz .LBB76_30
.LBB76_39:                              ;   in Loop: Header=BB76_4 Depth=1
	s_mov_b32 s6, 0
	s_mov_b32 s23, 0
	s_mov_b32 s24, exec_lo
	s_waitcnt vmcnt(0)
	v_cmpx_lt_i16_e32 0, v14
	s_xor_b32 s24, exec_lo, s24
	s_cbranch_execnz .LBB76_50
; %bb.40:                               ;   in Loop: Header=BB76_4 Depth=1
	s_and_not1_saveexec_b32 s24, s24
	s_cbranch_execnz .LBB76_51
.LBB76_41:                              ;   in Loop: Header=BB76_4 Depth=1
	s_or_b32 exec_lo, exec_lo, s24
	s_and_saveexec_b32 s24, s23
	s_delay_alu instid0(SALU_CYCLE_1)
	s_xor_b32 s23, exec_lo, s24
	s_cbranch_execnz .LBB76_52
.LBB76_42:                              ;   in Loop: Header=BB76_4 Depth=1
	s_or_b32 exec_lo, exec_lo, s23
	s_and_saveexec_b32 s23, s6
.LBB76_43:                              ;   in Loop: Header=BB76_4 Depth=1
	v_mov_b32_e32 v14, s21
.LBB76_44:                              ;   in Loop: Header=BB76_4 Depth=1
	s_or_b32 exec_lo, exec_lo, s23
	s_delay_alu instid0(VALU_DEP_1)
	v_mov_b32_e32 v13, v14
	s_and_not1_b32 vcc_lo, exec_lo, s20
	s_cbranch_vccz .LBB76_31
.LBB76_45:                              ;   in Loop: Header=BB76_4 Depth=1
                                        ; implicit-def: $vgpr14
	s_branch .LBB76_55
.LBB76_46:                              ;   in Loop: Header=BB76_4 Depth=1
	s_and_not1_b32 vcc_lo, exec_lo, s20
	s_cbranch_vccnz .LBB76_61
.LBB76_47:                              ;   in Loop: Header=BB76_4 Depth=1
	s_and_not1_b32 vcc_lo, exec_lo, s16
	s_cbranch_vccnz .LBB76_65
; %bb.48:                               ;   in Loop: Header=BB76_4 Depth=1
	s_waitcnt vmcnt(0)
	v_dual_mov_b32 v16, s15 :: v_dual_mov_b32 v15, v10
	v_mov_b32_e32 v12, 1
	.p2align	6
.LBB76_49:                              ;   Parent Loop BB76_4 Depth=1
                                        ; =>  This Inner Loop Header: Depth=2
	s_delay_alu instid0(VALU_DEP_2) | instskip(SKIP_2) | instid1(VALU_DEP_3)
	v_and_b32_e32 v18, 1, v16
	v_lshrrev_b16 v17, 15, v16
	v_add_nc_u16 v19, v16, 1
	v_cmp_eq_u32_e32 vcc_lo, 1, v18
	s_delay_alu instid0(VALU_DEP_3) | instskip(SKIP_1) | instid1(VALU_DEP_4)
	v_add_nc_u16 v16, v16, v17
	v_cndmask_b32_e32 v17, 1, v15, vcc_lo
	v_cmp_gt_u16_e32 vcc_lo, 3, v19
	s_delay_alu instid0(VALU_DEP_3) | instskip(SKIP_1) | instid1(VALU_DEP_4)
	v_ashrrev_i16 v16, 1, v16
	v_mul_lo_u16 v15, v15, v15
	v_mul_lo_u16 v12, v17, v12
	s_cbranch_vccz .LBB76_49
	s_branch .LBB76_66
.LBB76_50:                              ;   in Loop: Header=BB76_4 Depth=1
	v_cmp_ne_u16_e32 vcc_lo, 1, v14
	s_and_b32 s23, vcc_lo, exec_lo
	s_and_not1_saveexec_b32 s24, s24
	s_cbranch_execz .LBB76_41
.LBB76_51:                              ;   in Loop: Header=BB76_4 Depth=1
	v_cmp_ne_u16_e32 vcc_lo, -1, v14
	s_and_not1_b32 s23, s23, exec_lo
	s_mov_b32 s6, exec_lo
                                        ; implicit-def: $vgpr14
	s_and_b32 s25, vcc_lo, exec_lo
	s_delay_alu instid0(SALU_CYCLE_1) | instskip(SKIP_2) | instid1(SALU_CYCLE_1)
	s_or_b32 s23, s23, s25
	s_or_b32 exec_lo, exec_lo, s24
	s_and_saveexec_b32 s24, s23
	s_xor_b32 s23, exec_lo, s24
	s_cbranch_execz .LBB76_42
.LBB76_52:                              ;   in Loop: Header=BB76_4 Depth=1
	v_mov_b32_e32 v14, 0
	s_and_not1_b32 s6, s6, exec_lo
	s_or_b32 exec_lo, exec_lo, s23
	s_and_saveexec_b32 s23, s6
	s_cbranch_execnz .LBB76_43
	s_branch .LBB76_44
.LBB76_53:                              ;   in Loop: Header=BB76_4 Depth=1
	s_waitcnt vmcnt(0)
	v_mov_b32_e32 v14, 1
.LBB76_54:                              ;   in Loop: Header=BB76_4 Depth=1
	s_cbranch_execnz .LBB76_46
.LBB76_55:                              ;   in Loop: Header=BB76_4 Depth=1
	s_mov_b32 s6, 0
	s_mov_b32 s23, 0
	s_mov_b32 s24, exec_lo
	s_waitcnt vmcnt(0)
	v_cmpx_lt_i16_e32 0, v12
	s_xor_b32 s24, exec_lo, s24
	s_cbranch_execnz .LBB76_62
; %bb.56:                               ;   in Loop: Header=BB76_4 Depth=1
	s_and_not1_saveexec_b32 s24, s24
	s_cbranch_execnz .LBB76_63
.LBB76_57:                              ;   in Loop: Header=BB76_4 Depth=1
	s_or_b32 exec_lo, exec_lo, s24
	s_and_saveexec_b32 s24, s23
	s_delay_alu instid0(SALU_CYCLE_1)
	s_xor_b32 s23, exec_lo, s24
	s_cbranch_execnz .LBB76_64
.LBB76_58:                              ;   in Loop: Header=BB76_4 Depth=1
	s_or_b32 exec_lo, exec_lo, s23
	s_and_saveexec_b32 s23, s6
.LBB76_59:                              ;   in Loop: Header=BB76_4 Depth=1
	v_mov_b32_e32 v12, s21
.LBB76_60:                              ;   in Loop: Header=BB76_4 Depth=1
	s_or_b32 exec_lo, exec_lo, s23
	s_delay_alu instid0(VALU_DEP_1)
	v_mov_b32_e32 v14, v12
	s_and_not1_b32 vcc_lo, exec_lo, s20
	s_cbranch_vccz .LBB76_47
.LBB76_61:                              ;   in Loop: Header=BB76_4 Depth=1
                                        ; implicit-def: $vgpr12
	s_branch .LBB76_67
.LBB76_62:                              ;   in Loop: Header=BB76_4 Depth=1
	v_cmp_ne_u16_e32 vcc_lo, 1, v12
	s_and_b32 s23, vcc_lo, exec_lo
	s_and_not1_saveexec_b32 s24, s24
	s_cbranch_execz .LBB76_57
.LBB76_63:                              ;   in Loop: Header=BB76_4 Depth=1
	v_cmp_ne_u16_e32 vcc_lo, -1, v12
	s_and_not1_b32 s23, s23, exec_lo
	s_mov_b32 s6, exec_lo
                                        ; implicit-def: $vgpr12
	s_and_b32 s25, vcc_lo, exec_lo
	s_delay_alu instid0(SALU_CYCLE_1) | instskip(SKIP_2) | instid1(SALU_CYCLE_1)
	s_or_b32 s23, s23, s25
	s_or_b32 exec_lo, exec_lo, s24
	s_and_saveexec_b32 s24, s23
	s_xor_b32 s23, exec_lo, s24
	s_cbranch_execz .LBB76_58
.LBB76_64:                              ;   in Loop: Header=BB76_4 Depth=1
	v_mov_b32_e32 v12, 0
	s_and_not1_b32 s6, s6, exec_lo
	s_or_b32 exec_lo, exec_lo, s23
	s_and_saveexec_b32 s23, s6
	s_cbranch_execnz .LBB76_59
	s_branch .LBB76_60
.LBB76_65:                              ;   in Loop: Header=BB76_4 Depth=1
	s_waitcnt vmcnt(0)
	v_mov_b32_e32 v12, 1
.LBB76_66:                              ;   in Loop: Header=BB76_4 Depth=1
	s_cbranch_execnz .LBB76_73
.LBB76_67:                              ;   in Loop: Header=BB76_4 Depth=1
	s_mov_b32 s6, 0
	s_mov_b32 s23, 0
	s_mov_b32 s24, exec_lo
	s_waitcnt vmcnt(0)
	v_cmpx_lt_i16_e32 0, v10
	s_xor_b32 s24, exec_lo, s24
	s_cbranch_execnz .LBB76_81
; %bb.68:                               ;   in Loop: Header=BB76_4 Depth=1
	s_and_not1_saveexec_b32 s24, s24
	s_cbranch_execnz .LBB76_82
.LBB76_69:                              ;   in Loop: Header=BB76_4 Depth=1
	s_or_b32 exec_lo, exec_lo, s24
	s_and_saveexec_b32 s24, s23
	s_delay_alu instid0(SALU_CYCLE_1)
	s_xor_b32 s23, exec_lo, s24
	s_cbranch_execnz .LBB76_83
.LBB76_70:                              ;   in Loop: Header=BB76_4 Depth=1
	s_or_b32 exec_lo, exec_lo, s23
	s_and_saveexec_b32 s23, s6
.LBB76_71:                              ;   in Loop: Header=BB76_4 Depth=1
	v_mov_b32_e32 v10, s21
.LBB76_72:                              ;   in Loop: Header=BB76_4 Depth=1
	s_or_b32 exec_lo, exec_lo, s23
	s_delay_alu instid0(VALU_DEP_1)
	v_mov_b32_e32 v12, v10
.LBB76_73:                              ;   in Loop: Header=BB76_4 Depth=1
	s_and_saveexec_b32 s6, s2
	s_delay_alu instid0(SALU_CYCLE_1)
	s_xor_b32 s2, exec_lo, s6
	s_cbranch_execnz .LBB76_77
; %bb.74:                               ;   in Loop: Header=BB76_4 Depth=1
	s_or_b32 exec_lo, exec_lo, s2
	s_and_saveexec_b32 s2, s3
	s_cbranch_execnz .LBB76_78
.LBB76_75:                              ;   in Loop: Header=BB76_4 Depth=1
	s_or_b32 exec_lo, exec_lo, s2
	s_and_saveexec_b32 s2, s4
	s_cbranch_execnz .LBB76_79
.LBB76_76:                              ;   in Loop: Header=BB76_4 Depth=1
	s_or_b32 exec_lo, exec_lo, s2
	s_and_saveexec_b32 s2, s5
	s_cbranch_execz .LBB76_3
	s_branch .LBB76_80
.LBB76_77:                              ;   in Loop: Header=BB76_4 Depth=1
	v_add_co_u32 v1, vcc_lo, s7, v1
	v_add_co_ci_u32_e32 v2, vcc_lo, s14, v2, vcc_lo
	global_store_b16 v[1:2], v11, off
	s_or_b32 exec_lo, exec_lo, s2
	s_and_saveexec_b32 s2, s3
	s_cbranch_execz .LBB76_75
.LBB76_78:                              ;   in Loop: Header=BB76_4 Depth=1
	v_add_co_u32 v1, vcc_lo, s7, v3
	v_add_co_ci_u32_e32 v2, vcc_lo, s14, v4, vcc_lo
	s_waitcnt vmcnt(0)
	global_store_b16 v[1:2], v13, off
	s_or_b32 exec_lo, exec_lo, s2
	s_and_saveexec_b32 s2, s4
	s_cbranch_execz .LBB76_76
.LBB76_79:                              ;   in Loop: Header=BB76_4 Depth=1
	v_add_co_u32 v1, vcc_lo, s7, v5
	v_add_co_ci_u32_e32 v2, vcc_lo, s14, v6, vcc_lo
	s_waitcnt vmcnt(0)
	global_store_b16 v[1:2], v14, off
	s_or_b32 exec_lo, exec_lo, s2
	s_and_saveexec_b32 s2, s5
	s_cbranch_execz .LBB76_3
.LBB76_80:                              ;   in Loop: Header=BB76_4 Depth=1
	v_add_co_u32 v1, vcc_lo, s7, v7
	v_add_co_ci_u32_e32 v2, vcc_lo, s14, v8, vcc_lo
	s_waitcnt vmcnt(0)
	global_store_b16 v[1:2], v12, off
	s_branch .LBB76_3
.LBB76_81:                              ;   in Loop: Header=BB76_4 Depth=1
	v_cmp_ne_u16_e32 vcc_lo, 1, v10
	s_and_b32 s23, vcc_lo, exec_lo
	s_and_not1_saveexec_b32 s24, s24
	s_cbranch_execz .LBB76_69
.LBB76_82:                              ;   in Loop: Header=BB76_4 Depth=1
	v_cmp_ne_u16_e32 vcc_lo, -1, v10
	s_and_not1_b32 s23, s23, exec_lo
	s_mov_b32 s6, exec_lo
                                        ; implicit-def: $vgpr10
	s_and_b32 s25, vcc_lo, exec_lo
	s_delay_alu instid0(SALU_CYCLE_1) | instskip(SKIP_2) | instid1(SALU_CYCLE_1)
	s_or_b32 s23, s23, s25
	s_or_b32 exec_lo, exec_lo, s24
	s_and_saveexec_b32 s24, s23
	s_xor_b32 s23, exec_lo, s24
	s_cbranch_execz .LBB76_70
.LBB76_83:                              ;   in Loop: Header=BB76_4 Depth=1
	v_mov_b32_e32 v10, 0
	s_and_not1_b32 s6, s6, exec_lo
	s_or_b32 exec_lo, exec_lo, s23
	s_and_saveexec_b32 s23, s6
	s_cbranch_execnz .LBB76_71
	s_branch .LBB76_72
.LBB76_84:
	s_cbranch_execz .LBB76_86
	s_branch .LBB76_153
.LBB76_85:
.LBB76_86:
	v_dual_mov_b32 v2, 0 :: v_dual_lshlrev_b32 v1, 2, v0
	s_mov_b32 s2, 0
	s_mov_b32 s3, exec_lo
	s_delay_alu instid0(VALU_DEP_1)
	v_cmpx_gt_i64_e64 s[8:9], v[1:2]
	s_cbranch_execz .LBB76_153
; %bb.87:
	s_load_b32 s0, s[0:1], 0xd14
	v_and_b32_e64 v3, s15, 1
	s_sext_i32_i16 s1, s15
	v_mov_b32_e32 v1, v2
	s_cmp_gt_i32 s1, -1
	v_cmp_ne_u16_e64 s1, s15, 0
	v_cmp_eq_u16_e32 vcc_lo, 0, v3
	s_cselect_b32 s3, -1, 0
	s_delay_alu instid0(VALU_DEP_2)
	v_cndmask_b32_e64 v6, 0, 1, s1
	s_and_b32 s4, vcc_lo, exec_lo
	s_cselect_b32 s4, 1, 0xffff
	s_waitcnt lgkmcnt(0)
	s_and_b32 s5, s0, 0xffff
	s_branch .LBB76_90
.LBB76_88:                              ;   in Loop: Header=BB76_90 Depth=1
	s_or_b32 exec_lo, exec_lo, s6
	s_delay_alu instid0(VALU_DEP_1)
	v_mov_b32_e32 v9, v5
.LBB76_89:                              ;   in Loop: Header=BB76_90 Depth=1
	v_add_co_u32 v0, vcc_lo, v0, s5
	v_add_co_ci_u32_e32 v1, vcc_lo, 0, v1, vcc_lo
	s_delay_alu instid0(VALU_DEP_3) | instskip(SKIP_2) | instid1(VALU_DEP_4)
	v_lshlrev_b32_e32 v5, 16, v9
	v_and_b32_e32 v8, 0xffff, v8
	v_lshlrev_b32_e32 v4, 16, v4
	v_lshlrev_b64 v[10:11], 2, v[0:1]
	v_and_b32_e32 v7, 0xffff, v7
	s_delay_alu instid0(VALU_DEP_4) | instskip(NEXT) | instid1(VALU_DEP_2)
	v_or_b32_e32 v5, v5, v8
	v_or_b32_e32 v4, v4, v7
	s_delay_alu instid0(VALU_DEP_4) | instskip(SKIP_3) | instid1(SALU_CYCLE_1)
	v_cmp_le_i64_e32 vcc_lo, s[8:9], v[10:11]
	v_cmp_lt_u64_e64 s0, 0xffff, v[10:11]
	global_store_b64 v[2:3], v[4:5], off
	s_or_b32 s0, vcc_lo, s0
	s_and_b32 s0, exec_lo, s0
	s_delay_alu instid0(SALU_CYCLE_1) | instskip(NEXT) | instid1(SALU_CYCLE_1)
	s_or_b32 s2, s0, s2
	s_and_not1_b32 exec_lo, exec_lo, s2
	s_cbranch_execz .LBB76_153
.LBB76_90:                              ; =>This Loop Header: Depth=1
                                        ;     Child Loop BB76_98 Depth 2
                                        ;     Child Loop BB76_95 Depth 2
	;; [unrolled: 1-line block ×4, first 2 shown]
	v_lshlrev_b64 v[2:3], 3, v[0:1]
	v_cmp_ne_u32_e64 s0, 1, v6
	s_mov_b32 s6, -1
                                        ; implicit-def: $vgpr7
	s_delay_alu instid0(VALU_DEP_2) | instskip(NEXT) | instid1(VALU_DEP_3)
	v_add_co_u32 v2, vcc_lo, s7, v2
	v_add_co_ci_u32_e32 v3, vcc_lo, s14, v3, vcc_lo
	s_and_b32 vcc_lo, exec_lo, s3
	global_load_b64 v[4:5], v[2:3], off
	s_cbranch_vccnz .LBB76_96
; %bb.91:                               ;   in Loop: Header=BB76_90 Depth=1
	s_and_not1_b32 vcc_lo, exec_lo, s6
	s_cbranch_vccz .LBB76_107
.LBB76_92:                              ;   in Loop: Header=BB76_90 Depth=1
	s_waitcnt vmcnt(0)
	v_lshrrev_b32_e32 v8, 16, v4
	s_and_not1_b32 vcc_lo, exec_lo, s3
	s_cbranch_vccnz .LBB76_116
.LBB76_93:                              ;   in Loop: Header=BB76_90 Depth=1
	s_and_not1_b32 vcc_lo, exec_lo, s1
	s_cbranch_vccnz .LBB76_100
; %bb.94:                               ;   in Loop: Header=BB76_90 Depth=1
	v_dual_mov_b32 v10, s15 :: v_dual_mov_b32 v9, v8
	v_mov_b32_e32 v4, 1
	.p2align	6
.LBB76_95:                              ;   Parent Loop BB76_90 Depth=1
                                        ; =>  This Inner Loop Header: Depth=2
	s_delay_alu instid0(VALU_DEP_2) | instskip(SKIP_2) | instid1(VALU_DEP_3)
	v_and_b32_e32 v12, 1, v10
	v_lshrrev_b16 v11, 15, v10
	v_add_nc_u16 v13, v10, 1
	v_cmp_eq_u32_e32 vcc_lo, 1, v12
	s_delay_alu instid0(VALU_DEP_3) | instskip(SKIP_1) | instid1(VALU_DEP_4)
	v_add_nc_u16 v10, v10, v11
	v_cndmask_b32_e32 v11, 1, v9, vcc_lo
	v_cmp_gt_u16_e32 vcc_lo, 3, v13
	s_delay_alu instid0(VALU_DEP_3) | instskip(SKIP_1) | instid1(VALU_DEP_4)
	v_ashrrev_i16 v10, 1, v10
	v_mul_lo_u16 v9, v9, v9
	v_mul_lo_u16 v4, v11, v4
	s_cbranch_vccz .LBB76_95
	s_branch .LBB76_101
.LBB76_96:                              ;   in Loop: Header=BB76_90 Depth=1
	s_and_b32 vcc_lo, exec_lo, s0
	s_cbranch_vccnz .LBB76_106
; %bb.97:                               ;   in Loop: Header=BB76_90 Depth=1
	s_waitcnt vmcnt(0)
	v_dual_mov_b32 v9, s15 :: v_dual_mov_b32 v8, v4
	v_mov_b32_e32 v7, 1
	.p2align	6
.LBB76_98:                              ;   Parent Loop BB76_90 Depth=1
                                        ; =>  This Inner Loop Header: Depth=2
	s_delay_alu instid0(VALU_DEP_2) | instskip(SKIP_2) | instid1(VALU_DEP_3)
	v_and_b32_e32 v11, 1, v9
	v_lshrrev_b16 v10, 15, v9
	v_add_nc_u16 v12, v9, 1
	v_cmp_eq_u32_e32 vcc_lo, 1, v11
	s_delay_alu instid0(VALU_DEP_3) | instskip(SKIP_1) | instid1(VALU_DEP_4)
	v_add_nc_u16 v9, v9, v10
	v_cndmask_b32_e32 v10, 1, v8, vcc_lo
	v_cmp_lt_u16_e32 vcc_lo, 2, v12
	s_delay_alu instid0(VALU_DEP_3) | instskip(SKIP_1) | instid1(VALU_DEP_4)
	v_ashrrev_i16 v9, 1, v9
	v_mul_lo_u16 v8, v8, v8
	v_mul_lo_u16 v7, v10, v7
	s_cbranch_vccnz .LBB76_98
; %bb.99:                               ;   in Loop: Header=BB76_90 Depth=1
	s_cbranch_execnz .LBB76_92
	s_branch .LBB76_107
.LBB76_100:                             ;   in Loop: Header=BB76_90 Depth=1
	v_mov_b32_e32 v4, 1
.LBB76_101:                             ;   in Loop: Header=BB76_90 Depth=1
	s_cbranch_execz .LBB76_117
; %bb.102:                              ;   in Loop: Header=BB76_90 Depth=1
	s_and_not1_b32 vcc_lo, exec_lo, s3
	s_cbranch_vccnz .LBB76_123
.LBB76_103:                             ;   in Loop: Header=BB76_90 Depth=1
	s_and_not1_b32 vcc_lo, exec_lo, s1
	s_cbranch_vccnz .LBB76_131
; %bb.104:                              ;   in Loop: Header=BB76_90 Depth=1
	v_dual_mov_b32 v10, s15 :: v_dual_mov_b32 v9, v5
	v_mov_b32_e32 v8, 1
	.p2align	6
.LBB76_105:                             ;   Parent Loop BB76_90 Depth=1
                                        ; =>  This Inner Loop Header: Depth=2
	s_delay_alu instid0(VALU_DEP_2) | instskip(SKIP_2) | instid1(VALU_DEP_3)
	v_and_b32_e32 v12, 1, v10
	v_lshrrev_b16 v11, 15, v10
	v_add_nc_u16 v13, v10, 1
	v_cmp_eq_u32_e32 vcc_lo, 1, v12
	s_delay_alu instid0(VALU_DEP_3) | instskip(SKIP_1) | instid1(VALU_DEP_4)
	v_add_nc_u16 v10, v10, v11
	v_cndmask_b32_e32 v11, 1, v9, vcc_lo
	v_cmp_gt_u16_e32 vcc_lo, 3, v13
	s_delay_alu instid0(VALU_DEP_3) | instskip(SKIP_1) | instid1(VALU_DEP_4)
	v_ashrrev_i16 v10, 1, v10
	v_mul_lo_u16 v9, v9, v9
	v_mul_lo_u16 v8, v11, v8
	s_cbranch_vccz .LBB76_105
	s_branch .LBB76_132
.LBB76_106:                             ;   in Loop: Header=BB76_90 Depth=1
	v_mov_b32_e32 v7, 1
	s_cbranch_execnz .LBB76_92
.LBB76_107:                             ;   in Loop: Header=BB76_90 Depth=1
	s_mov_b32 s0, 0
	s_mov_b32 s6, 0
	s_mov_b32 s10, exec_lo
	s_waitcnt vmcnt(0)
	v_cmpx_lt_i16_e32 0, v4
	s_xor_b32 s10, exec_lo, s10
; %bb.108:                              ;   in Loop: Header=BB76_90 Depth=1
	v_cmp_ne_u16_e32 vcc_lo, 1, v4
	s_and_b32 s6, vcc_lo, exec_lo
; %bb.109:                              ;   in Loop: Header=BB76_90 Depth=1
	s_and_not1_saveexec_b32 s10, s10
; %bb.110:                              ;   in Loop: Header=BB76_90 Depth=1
	v_cmp_ne_u16_e32 vcc_lo, -1, v4
	s_and_not1_b32 s6, s6, exec_lo
	s_mov_b32 s0, exec_lo
	s_and_b32 s11, vcc_lo, exec_lo
	s_delay_alu instid0(SALU_CYCLE_1)
	s_or_b32 s6, s6, s11
; %bb.111:                              ;   in Loop: Header=BB76_90 Depth=1
	s_or_b32 exec_lo, exec_lo, s10
	v_mov_b32_e32 v7, v4
	s_and_saveexec_b32 s10, s6
	s_delay_alu instid0(SALU_CYCLE_1)
	s_xor_b32 s6, exec_lo, s10
; %bb.112:                              ;   in Loop: Header=BB76_90 Depth=1
	v_mov_b32_e32 v7, 0
	s_and_not1_b32 s0, s0, exec_lo
; %bb.113:                              ;   in Loop: Header=BB76_90 Depth=1
	s_or_b32 exec_lo, exec_lo, s6
	s_and_saveexec_b32 s6, s0
; %bb.114:                              ;   in Loop: Header=BB76_90 Depth=1
	v_mov_b32_e32 v7, s4
; %bb.115:                              ;   in Loop: Header=BB76_90 Depth=1
	s_or_b32 exec_lo, exec_lo, s6
	v_lshrrev_b32_e32 v8, 16, v4
	s_and_not1_b32 vcc_lo, exec_lo, s3
	s_cbranch_vccz .LBB76_93
.LBB76_116:                             ;   in Loop: Header=BB76_90 Depth=1
                                        ; implicit-def: $vgpr4
.LBB76_117:                             ;   in Loop: Header=BB76_90 Depth=1
	s_mov_b32 s0, 0
	s_mov_b32 s6, 0
	s_mov_b32 s10, exec_lo
	v_cmpx_lt_i16_e32 0, v8
	s_xor_b32 s10, exec_lo, s10
	s_cbranch_execnz .LBB76_128
; %bb.118:                              ;   in Loop: Header=BB76_90 Depth=1
	s_and_not1_saveexec_b32 s10, s10
	s_cbranch_execnz .LBB76_129
.LBB76_119:                             ;   in Loop: Header=BB76_90 Depth=1
	s_or_b32 exec_lo, exec_lo, s10
	s_and_saveexec_b32 s10, s6
	s_delay_alu instid0(SALU_CYCLE_1)
	s_xor_b32 s6, exec_lo, s10
	s_cbranch_execnz .LBB76_130
.LBB76_120:                             ;   in Loop: Header=BB76_90 Depth=1
	s_or_b32 exec_lo, exec_lo, s6
	s_and_saveexec_b32 s6, s0
.LBB76_121:                             ;   in Loop: Header=BB76_90 Depth=1
	v_mov_b32_e32 v8, s4
.LBB76_122:                             ;   in Loop: Header=BB76_90 Depth=1
	s_or_b32 exec_lo, exec_lo, s6
	s_delay_alu instid0(VALU_DEP_1)
	v_mov_b32_e32 v4, v8
	s_and_not1_b32 vcc_lo, exec_lo, s3
	s_cbranch_vccz .LBB76_103
.LBB76_123:                             ;   in Loop: Header=BB76_90 Depth=1
                                        ; implicit-def: $vgpr8
	s_branch .LBB76_133
.LBB76_124:                             ;   in Loop: Header=BB76_90 Depth=1
	v_lshrrev_b32_e32 v5, 16, v5
	s_and_not1_b32 vcc_lo, exec_lo, s3
	s_cbranch_vccnz .LBB76_142
.LBB76_125:                             ;   in Loop: Header=BB76_90 Depth=1
	s_and_not1_b32 vcc_lo, exec_lo, s1
	s_cbranch_vccnz .LBB76_143
; %bb.126:                              ;   in Loop: Header=BB76_90 Depth=1
	v_dual_mov_b32 v11, s15 :: v_dual_mov_b32 v10, v5
	v_mov_b32_e32 v9, 1
	.p2align	6
.LBB76_127:                             ;   Parent Loop BB76_90 Depth=1
                                        ; =>  This Inner Loop Header: Depth=2
	s_delay_alu instid0(VALU_DEP_2) | instskip(SKIP_2) | instid1(VALU_DEP_3)
	v_and_b32_e32 v13, 1, v11
	v_lshrrev_b16 v12, 15, v11
	v_add_nc_u16 v14, v11, 1
	v_cmp_eq_u32_e32 vcc_lo, 1, v13
	s_delay_alu instid0(VALU_DEP_3) | instskip(SKIP_1) | instid1(VALU_DEP_4)
	v_add_nc_u16 v11, v11, v12
	v_cndmask_b32_e32 v12, 1, v10, vcc_lo
	v_cmp_gt_u16_e32 vcc_lo, 3, v14
	s_delay_alu instid0(VALU_DEP_3) | instskip(SKIP_1) | instid1(VALU_DEP_4)
	v_ashrrev_i16 v11, 1, v11
	v_mul_lo_u16 v10, v10, v10
	v_mul_lo_u16 v9, v12, v9
	s_cbranch_vccz .LBB76_127
	s_branch .LBB76_144
.LBB76_128:                             ;   in Loop: Header=BB76_90 Depth=1
	v_cmp_ne_u16_e32 vcc_lo, 1, v8
	s_and_b32 s6, vcc_lo, exec_lo
	s_and_not1_saveexec_b32 s10, s10
	s_cbranch_execz .LBB76_119
.LBB76_129:                             ;   in Loop: Header=BB76_90 Depth=1
	v_cmp_ne_u16_e32 vcc_lo, -1, v8
	s_and_not1_b32 s6, s6, exec_lo
	s_mov_b32 s0, exec_lo
                                        ; implicit-def: $vgpr8
	s_and_b32 s11, vcc_lo, exec_lo
	s_delay_alu instid0(SALU_CYCLE_1) | instskip(SKIP_2) | instid1(SALU_CYCLE_1)
	s_or_b32 s6, s6, s11
	s_or_b32 exec_lo, exec_lo, s10
	s_and_saveexec_b32 s10, s6
	s_xor_b32 s6, exec_lo, s10
	s_cbranch_execz .LBB76_120
.LBB76_130:                             ;   in Loop: Header=BB76_90 Depth=1
	v_mov_b32_e32 v8, 0
	s_and_not1_b32 s0, s0, exec_lo
	s_or_b32 exec_lo, exec_lo, s6
	s_and_saveexec_b32 s6, s0
	s_cbranch_execnz .LBB76_121
	s_branch .LBB76_122
.LBB76_131:                             ;   in Loop: Header=BB76_90 Depth=1
	v_mov_b32_e32 v8, 1
.LBB76_132:                             ;   in Loop: Header=BB76_90 Depth=1
	s_cbranch_execnz .LBB76_124
.LBB76_133:                             ;   in Loop: Header=BB76_90 Depth=1
	s_mov_b32 s0, 0
	s_mov_b32 s6, 0
	s_mov_b32 s10, exec_lo
	v_cmpx_lt_i16_e32 0, v5
	s_xor_b32 s10, exec_lo, s10
; %bb.134:                              ;   in Loop: Header=BB76_90 Depth=1
	v_cmp_ne_u16_e32 vcc_lo, 1, v5
	s_and_b32 s6, vcc_lo, exec_lo
; %bb.135:                              ;   in Loop: Header=BB76_90 Depth=1
	s_and_not1_saveexec_b32 s10, s10
; %bb.136:                              ;   in Loop: Header=BB76_90 Depth=1
	v_cmp_ne_u16_e32 vcc_lo, -1, v5
	s_and_not1_b32 s6, s6, exec_lo
	s_mov_b32 s0, exec_lo
	s_and_b32 s11, vcc_lo, exec_lo
	s_delay_alu instid0(SALU_CYCLE_1)
	s_or_b32 s6, s6, s11
; %bb.137:                              ;   in Loop: Header=BB76_90 Depth=1
	s_or_b32 exec_lo, exec_lo, s10
	v_mov_b32_e32 v8, v5
	s_and_saveexec_b32 s10, s6
	s_delay_alu instid0(SALU_CYCLE_1)
	s_xor_b32 s6, exec_lo, s10
; %bb.138:                              ;   in Loop: Header=BB76_90 Depth=1
	v_mov_b32_e32 v8, 0
	s_and_not1_b32 s0, s0, exec_lo
; %bb.139:                              ;   in Loop: Header=BB76_90 Depth=1
	s_or_b32 exec_lo, exec_lo, s6
	s_and_saveexec_b32 s6, s0
; %bb.140:                              ;   in Loop: Header=BB76_90 Depth=1
	v_mov_b32_e32 v8, s4
; %bb.141:                              ;   in Loop: Header=BB76_90 Depth=1
	s_or_b32 exec_lo, exec_lo, s6
	v_lshrrev_b32_e32 v5, 16, v5
	s_and_not1_b32 vcc_lo, exec_lo, s3
	s_cbranch_vccz .LBB76_125
.LBB76_142:                             ;   in Loop: Header=BB76_90 Depth=1
                                        ; implicit-def: $vgpr9
	s_branch .LBB76_145
.LBB76_143:                             ;   in Loop: Header=BB76_90 Depth=1
	v_mov_b32_e32 v9, 1
.LBB76_144:                             ;   in Loop: Header=BB76_90 Depth=1
	s_cbranch_execnz .LBB76_89
.LBB76_145:                             ;   in Loop: Header=BB76_90 Depth=1
	s_mov_b32 s0, 0
	s_mov_b32 s6, 0
	s_mov_b32 s10, exec_lo
	v_cmpx_lt_i16_e32 0, v5
	s_xor_b32 s10, exec_lo, s10
	s_cbranch_execnz .LBB76_149
; %bb.146:                              ;   in Loop: Header=BB76_90 Depth=1
	s_and_not1_saveexec_b32 s10, s10
	s_cbranch_execnz .LBB76_150
.LBB76_147:                             ;   in Loop: Header=BB76_90 Depth=1
	s_or_b32 exec_lo, exec_lo, s10
	s_and_saveexec_b32 s10, s6
	s_delay_alu instid0(SALU_CYCLE_1)
	s_xor_b32 s6, exec_lo, s10
	s_cbranch_execnz .LBB76_151
.LBB76_148:                             ;   in Loop: Header=BB76_90 Depth=1
	s_or_b32 exec_lo, exec_lo, s6
	s_and_saveexec_b32 s6, s0
	s_cbranch_execz .LBB76_88
	s_branch .LBB76_152
.LBB76_149:                             ;   in Loop: Header=BB76_90 Depth=1
	v_cmp_ne_u16_e32 vcc_lo, 1, v5
	s_and_b32 s6, vcc_lo, exec_lo
	s_and_not1_saveexec_b32 s10, s10
	s_cbranch_execz .LBB76_147
.LBB76_150:                             ;   in Loop: Header=BB76_90 Depth=1
	v_cmp_ne_u16_e32 vcc_lo, -1, v5
	s_and_not1_b32 s6, s6, exec_lo
	s_mov_b32 s0, exec_lo
                                        ; implicit-def: $vgpr5
	s_and_b32 s11, vcc_lo, exec_lo
	s_delay_alu instid0(SALU_CYCLE_1) | instskip(SKIP_2) | instid1(SALU_CYCLE_1)
	s_or_b32 s6, s6, s11
	s_or_b32 exec_lo, exec_lo, s10
	s_and_saveexec_b32 s10, s6
	s_xor_b32 s6, exec_lo, s10
	s_cbranch_execz .LBB76_148
.LBB76_151:                             ;   in Loop: Header=BB76_90 Depth=1
	v_mov_b32_e32 v5, 0
	s_and_not1_b32 s0, s0, exec_lo
	s_or_b32 exec_lo, exec_lo, s6
	s_and_saveexec_b32 s6, s0
	s_cbranch_execz .LBB76_88
.LBB76_152:                             ;   in Loop: Header=BB76_90 Depth=1
	v_mov_b32_e32 v5, s4
	s_branch .LBB76_88
.LBB76_153:
	s_nop 0
	s_sendmsg sendmsg(MSG_DEALLOC_VGPRS)
	s_endpgm
	.section	.rodata,"a",@progbits
	.p2align	6, 0x0
	.amdhsa_kernel _ZN2at6native12_GLOBAL__N_125multi_tensor_apply_kernelINS1_28TensorListScalarListMetadataIsLi1EEENS1_25BinaryOpScalarListFunctorIsLi1ELi1ELi0EEEJNS1_13power_functorIsEEEEEvT_T0_DpT1_
		.amdhsa_group_segment_fixed_size 0
		.amdhsa_private_segment_fixed_size 0
		.amdhsa_kernarg_size 3592
		.amdhsa_user_sgpr_count 15
		.amdhsa_user_sgpr_dispatch_ptr 0
		.amdhsa_user_sgpr_queue_ptr 0
		.amdhsa_user_sgpr_kernarg_segment_ptr 1
		.amdhsa_user_sgpr_dispatch_id 0
		.amdhsa_user_sgpr_private_segment_size 0
		.amdhsa_wavefront_size32 1
		.amdhsa_uses_dynamic_stack 0
		.amdhsa_enable_private_segment 0
		.amdhsa_system_sgpr_workgroup_id_x 1
		.amdhsa_system_sgpr_workgroup_id_y 0
		.amdhsa_system_sgpr_workgroup_id_z 0
		.amdhsa_system_sgpr_workgroup_info 0
		.amdhsa_system_vgpr_workitem_id 0
		.amdhsa_next_free_vgpr 20
		.amdhsa_next_free_sgpr 26
		.amdhsa_reserve_vcc 1
		.amdhsa_float_round_mode_32 0
		.amdhsa_float_round_mode_16_64 0
		.amdhsa_float_denorm_mode_32 3
		.amdhsa_float_denorm_mode_16_64 3
		.amdhsa_dx10_clamp 1
		.amdhsa_ieee_mode 1
		.amdhsa_fp16_overflow 0
		.amdhsa_workgroup_processor_mode 1
		.amdhsa_memory_ordered 1
		.amdhsa_forward_progress 0
		.amdhsa_shared_vgpr_count 0
		.amdhsa_exception_fp_ieee_invalid_op 0
		.amdhsa_exception_fp_denorm_src 0
		.amdhsa_exception_fp_ieee_div_zero 0
		.amdhsa_exception_fp_ieee_overflow 0
		.amdhsa_exception_fp_ieee_underflow 0
		.amdhsa_exception_fp_ieee_inexact 0
		.amdhsa_exception_int_div_zero 0
	.end_amdhsa_kernel
	.section	.text._ZN2at6native12_GLOBAL__N_125multi_tensor_apply_kernelINS1_28TensorListScalarListMetadataIsLi1EEENS1_25BinaryOpScalarListFunctorIsLi1ELi1ELi0EEEJNS1_13power_functorIsEEEEEvT_T0_DpT1_,"axG",@progbits,_ZN2at6native12_GLOBAL__N_125multi_tensor_apply_kernelINS1_28TensorListScalarListMetadataIsLi1EEENS1_25BinaryOpScalarListFunctorIsLi1ELi1ELi0EEEJNS1_13power_functorIsEEEEEvT_T0_DpT1_,comdat
.Lfunc_end76:
	.size	_ZN2at6native12_GLOBAL__N_125multi_tensor_apply_kernelINS1_28TensorListScalarListMetadataIsLi1EEENS1_25BinaryOpScalarListFunctorIsLi1ELi1ELi0EEEJNS1_13power_functorIsEEEEEvT_T0_DpT1_, .Lfunc_end76-_ZN2at6native12_GLOBAL__N_125multi_tensor_apply_kernelINS1_28TensorListScalarListMetadataIsLi1EEENS1_25BinaryOpScalarListFunctorIsLi1ELi1ELi0EEEJNS1_13power_functorIsEEEEEvT_T0_DpT1_
                                        ; -- End function
	.section	.AMDGPU.csdata,"",@progbits
; Kernel info:
; codeLenInByte = 3444
; NumSgprs: 28
; NumVgprs: 20
; ScratchSize: 0
; MemoryBound: 0
; FloatMode: 240
; IeeeMode: 1
; LDSByteSize: 0 bytes/workgroup (compile time only)
; SGPRBlocks: 3
; VGPRBlocks: 2
; NumSGPRsForWavesPerEU: 28
; NumVGPRsForWavesPerEU: 20
; Occupancy: 16
; WaveLimiterHint : 0
; COMPUTE_PGM_RSRC2:SCRATCH_EN: 0
; COMPUTE_PGM_RSRC2:USER_SGPR: 15
; COMPUTE_PGM_RSRC2:TRAP_HANDLER: 0
; COMPUTE_PGM_RSRC2:TGID_X_EN: 1
; COMPUTE_PGM_RSRC2:TGID_Y_EN: 0
; COMPUTE_PGM_RSRC2:TGID_Z_EN: 0
; COMPUTE_PGM_RSRC2:TIDIG_COMP_CNT: 0
	.section	.text._ZN2at6native12_GLOBAL__N_125multi_tensor_apply_kernelINS1_28TensorListScalarListMetadataIdLi1EEENS1_25BinaryOpScalarListFunctorIdLi1ELi1ELi0EEEJNS1_13power_functorIdEEEEEvT_T0_DpT1_,"axG",@progbits,_ZN2at6native12_GLOBAL__N_125multi_tensor_apply_kernelINS1_28TensorListScalarListMetadataIdLi1EEENS1_25BinaryOpScalarListFunctorIdLi1ELi1ELi0EEEJNS1_13power_functorIdEEEEEvT_T0_DpT1_,comdat
	.globl	_ZN2at6native12_GLOBAL__N_125multi_tensor_apply_kernelINS1_28TensorListScalarListMetadataIdLi1EEENS1_25BinaryOpScalarListFunctorIdLi1ELi1ELi0EEEJNS1_13power_functorIdEEEEEvT_T0_DpT1_ ; -- Begin function _ZN2at6native12_GLOBAL__N_125multi_tensor_apply_kernelINS1_28TensorListScalarListMetadataIdLi1EEENS1_25BinaryOpScalarListFunctorIdLi1ELi1ELi0EEEJNS1_13power_functorIdEEEEEvT_T0_DpT1_
	.p2align	8
	.type	_ZN2at6native12_GLOBAL__N_125multi_tensor_apply_kernelINS1_28TensorListScalarListMetadataIdLi1EEENS1_25BinaryOpScalarListFunctorIdLi1ELi1ELi0EEEJNS1_13power_functorIdEEEEEvT_T0_DpT1_,@function
_ZN2at6native12_GLOBAL__N_125multi_tensor_apply_kernelINS1_28TensorListScalarListMetadataIdLi1EEENS1_25BinaryOpScalarListFunctorIdLi1ELi1ELi0EEEJNS1_13power_functorIdEEEEEvT_T0_DpT1_: ; @_ZN2at6native12_GLOBAL__N_125multi_tensor_apply_kernelINS1_28TensorListScalarListMetadataIdLi1EEENS1_25BinaryOpScalarListFunctorIdLi1ELi1ELi0EEEJNS1_13power_functorIdEEEEEvT_T0_DpT1_
; %bb.0:
	v_mov_b32_e32 v1, s15
	s_add_u32 s2, s0, s15
	s_mul_hi_u32 s3, s15, 3
	s_mul_i32 s15, s15, 3
	s_addc_u32 s4, s1, 0
	global_load_u8 v1, v1, s[0:1] offset:2304
	s_add_u32 s2, s2, s15
	s_addc_u32 s3, s4, s3
	s_mov_b32 s7, 0
	s_load_b32 s2, s[2:3], 0xa40
	s_waitcnt vmcnt(0)
	v_readfirstlane_b32 s5, v1
	s_delay_alu instid0(VALU_DEP_1)
	s_lshl_b32 s3, s5, 3
	s_clause 0x2
	s_load_b64 s[22:23], s[0:1], s3 offset:0x600
	s_load_b64 s[10:11], s[0:1], s3 offset:0x0
	;; [unrolled: 1-line block ×3, first 2 shown]
	s_waitcnt lgkmcnt(0)
	s_ashr_i32 s3, s2, 31
	s_delay_alu instid0(SALU_CYCLE_1)
	s_lshl_b64 s[12:13], s[2:3], 19
	s_lshl_b64 s[2:3], s[2:3], 16
	s_and_b32 s6, s10, 31
	s_sub_u32 s24, s4, s2
	s_subb_u32 s25, s5, s3
	s_and_b32 s2, s4, 3
	s_mov_b32 s3, s7
	s_delay_alu instid0(SALU_CYCLE_1) | instskip(NEXT) | instid1(SALU_CYCLE_1)
	s_or_b64 s[2:3], s[6:7], s[2:3]
	s_cmp_eq_u64 s[2:3], 0
	s_cbranch_scc1 .LBB77_21
; %bb.1:
	v_cmp_lt_i64_e64 s2, s[24:25], 1
	s_delay_alu instid0(VALU_DEP_1)
	s_and_b32 vcc_lo, exec_lo, s2
	s_cbranch_vccnz .LBB77_20
; %bb.2:
	s_load_b32 s2, s[0:1], 0xf54
	v_cmp_gt_u64_e64 s3, 0x10000, s[24:25]
	v_dual_mov_b32 v1, 0 :: v_dual_lshlrev_b32 v2, 3, v0
	s_mov_b32 s18, 0x55555555
	s_mov_b32 s20, 0xfefa39ef
	;; [unrolled: 1-line block ×16, first 2 shown]
	s_waitcnt lgkmcnt(0)
	s_and_b32 s2, s2, 0xffff
	s_and_b32 s3, s3, exec_lo
	v_add_co_u32 v15, s5, v0, s2
	s_cselect_b32 s15, s25, 0
	s_cselect_b32 s14, s24, 0x10000
	s_lshl_b32 s3, s2, 1
	s_lshl_b32 s33, s2, 2
	s_add_u32 s6, s10, s12
	s_mul_i32 s4, s2, 3
	s_mul_i32 s78, s2, 24
	s_addc_u32 s7, s11, s13
	s_lshl_b32 s79, s2, 5
	s_lshl_b32 s80, s2, 4
	v_add_co_u32 v3, s2, s6, v2
	v_dual_mov_b32 v21, 0x3ff00000 :: v_dual_lshlrev_b32 v2, 3, v15
	v_add_co_ci_u32_e64 v4, null, s7, 0, s2
	v_add_co_u32 v19, s2, s3, v0
	v_add_co_u32 v16, s4, s4, v0
	v_add_co_ci_u32_e64 v20, null, 0, 0, s2
	v_add_co_u32 v5, s2, s6, v2
	v_add_co_ci_u32_e64 v17, null, 0, 0, s4
	v_add_co_ci_u32_e64 v18, null, 0, 0, s5
	;; [unrolled: 1-line block ×3, first 2 shown]
	s_mov_b32 s58, 0x623fde64
	s_mov_b32 s60, 0x7c89e6b0
	;; [unrolled: 1-line block ×8, first 2 shown]
	s_mov_b64 s[16:17], 0
	s_mov_b32 s19, 0x3fe55555
	s_mov_b32 s21, 0x3fe62e42
	;; [unrolled: 1-line block ×27, first 2 shown]
	s_and_b32 s81, s23, 0x7fffffff
	s_branch .LBB77_4
.LBB77_3:                               ;   in Loop: Header=BB77_4 Depth=1
	s_or_b32 exec_lo, exec_lo, s7
	s_add_u32 s16, s16, s33
	s_addc_u32 s17, s17, 0
	v_add_co_u32 v3, vcc_lo, v3, s79
	v_cmp_lt_i64_e64 s2, s[16:17], s[24:25]
	v_cmp_gt_u64_e64 s3, 0x10000, s[16:17]
	v_add_co_ci_u32_e32 v4, vcc_lo, 0, v4, vcc_lo
	v_add_co_u32 v5, vcc_lo, v5, s79
	v_add_co_ci_u32_e32 v6, vcc_lo, 0, v6, vcc_lo
	s_delay_alu instid0(VALU_DEP_4) | instskip(NEXT) | instid1(SALU_CYCLE_1)
	s_and_b32 s2, s2, s3
	s_and_b32 vcc_lo, exec_lo, s2
	s_cbranch_vccz .LBB77_20
.LBB77_4:                               ; =>This Inner Loop Header: Depth=1
	s_waitcnt vmcnt(0)
	v_add_co_u32 v7, s2, v0, s16
	s_delay_alu instid0(VALU_DEP_1) | instskip(SKIP_2) | instid1(VALU_DEP_3)
	v_add_co_ci_u32_e64 v8, null, 0, s17, s2
	v_mov_b32_e32 v11, 0
	v_mov_b32_e32 v12, 0
	v_cmp_gt_u64_e64 s4, s[14:15], v[7:8]
	s_delay_alu instid0(VALU_DEP_2) | instskip(NEXT) | instid1(VALU_DEP_2)
	v_dual_mov_b32 v14, v12 :: v_dual_mov_b32 v13, v11
	s_and_saveexec_b32 s2, s4
	s_cbranch_execz .LBB77_6
; %bb.5:                                ;   in Loop: Header=BB77_4 Depth=1
	global_load_b64 v[13:14], v[3:4], off
.LBB77_6:                               ;   in Loop: Header=BB77_4 Depth=1
	s_or_b32 exec_lo, exec_lo, s2
	v_add_co_u32 v7, vcc_lo, v15, s16
	v_add_co_ci_u32_e32 v8, vcc_lo, s17, v18, vcc_lo
	s_delay_alu instid0(VALU_DEP_1) | instskip(NEXT) | instid1(VALU_DEP_1)
	v_cmp_gt_u64_e64 s3, s[14:15], v[7:8]
	s_and_saveexec_b32 s2, s3
	s_cbranch_execz .LBB77_8
; %bb.7:                                ;   in Loop: Header=BB77_4 Depth=1
	global_load_b64 v[11:12], v[5:6], off
.LBB77_8:                               ;   in Loop: Header=BB77_4 Depth=1
	s_or_b32 exec_lo, exec_lo, s2
	v_add_co_u32 v9, vcc_lo, v19, s16
	v_add_co_ci_u32_e32 v10, vcc_lo, s17, v20, vcc_lo
	v_mov_b32_e32 v7, 0
	v_mov_b32_e32 v8, 0
	s_delay_alu instid0(VALU_DEP_3) | instskip(NEXT) | instid1(VALU_DEP_2)
	v_cmp_gt_u64_e64 s2, s[14:15], v[9:10]
	v_dual_mov_b32 v10, v8 :: v_dual_mov_b32 v9, v7
	s_delay_alu instid0(VALU_DEP_2)
	s_and_saveexec_b32 s5, s2
	s_cbranch_execz .LBB77_10
; %bb.9:                                ;   in Loop: Header=BB77_4 Depth=1
	v_add_co_u32 v9, vcc_lo, v3, s80
	v_add_co_ci_u32_e32 v10, vcc_lo, 0, v4, vcc_lo
	global_load_b64 v[9:10], v[9:10], off
.LBB77_10:                              ;   in Loop: Header=BB77_4 Depth=1
	s_or_b32 exec_lo, exec_lo, s5
	v_add_co_u32 v22, vcc_lo, v16, s16
	v_add_co_ci_u32_e32 v23, vcc_lo, s17, v17, vcc_lo
	s_delay_alu instid0(VALU_DEP_1)
	v_cmp_gt_u64_e32 vcc_lo, s[14:15], v[22:23]
	s_and_saveexec_b32 s6, vcc_lo
	s_cbranch_execnz .LBB77_15
; %bb.11:                               ;   in Loop: Header=BB77_4 Depth=1
	s_or_b32 exec_lo, exec_lo, s6
	s_and_saveexec_b32 s82, s4
	s_cbranch_execnz .LBB77_16
.LBB77_12:                              ;   in Loop: Header=BB77_4 Depth=1
	s_or_b32 exec_lo, exec_lo, s82
	s_and_saveexec_b32 s9, s3
	s_cbranch_execnz .LBB77_17
.LBB77_13:                              ;   in Loop: Header=BB77_4 Depth=1
	s_or_b32 exec_lo, exec_lo, s9
	s_and_saveexec_b32 s8, s2
	s_cbranch_execnz .LBB77_18
.LBB77_14:                              ;   in Loop: Header=BB77_4 Depth=1
	s_or_b32 exec_lo, exec_lo, s8
	s_and_saveexec_b32 s7, vcc_lo
	s_cbranch_execz .LBB77_3
	s_branch .LBB77_19
.LBB77_15:                              ;   in Loop: Header=BB77_4 Depth=1
	v_add_co_u32 v7, s5, v3, s78
	s_delay_alu instid0(VALU_DEP_1)
	v_add_co_ci_u32_e64 v8, s5, 0, v4, s5
	global_load_b64 v[7:8], v[7:8], off
	s_or_b32 exec_lo, exec_lo, s6
	s_and_saveexec_b32 s82, s4
	s_cbranch_execz .LBB77_12
.LBB77_16:                              ;   in Loop: Header=BB77_4 Depth=1
	s_waitcnt vmcnt(0)
	v_cmp_eq_f64_e64 s5, 1.0, v[13:14]
	v_and_b32_e32 v2, 0x7fffffff, v14
	s_mov_b32 s50, s18
	s_mov_b32 s74, s20
	;; [unrolled: 1-line block ×3, first 2 shown]
	s_delay_alu instid0(VALU_DEP_2) | instskip(SKIP_1) | instid1(VALU_DEP_1)
	v_cndmask_b32_e64 v23, s23, v21, s5
	v_cndmask_b32_e64 v22, s22, 0, s5
	v_cmp_eq_f64_e64 s4, 0, v[22:23]
	s_delay_alu instid0(VALU_DEP_1) | instskip(SKIP_3) | instid1(VALU_DEP_3)
	v_cndmask_b32_e64 v25, v2, 0x3ff00000, s4
	v_cndmask_b32_e64 v24, v13, 0, s4
	v_cndmask_b32_e64 v14, v14, 0x3ff00000, s4
	v_cndmask_b32_e64 v13, v13, 0, s4
	v_frexp_mant_f64_e32 v[26:27], v[24:25]
	v_frexp_exp_i32_f64_e32 v2, v[24:25]
	v_cmp_gt_f64_e64 s9, 1.0, v[24:25]
	s_delay_alu instid0(VALU_DEP_3) | instskip(NEXT) | instid1(VALU_DEP_1)
	v_cmp_gt_f64_e64 s6, s[18:19], v[26:27]
	v_subrev_co_ci_u32_e64 v46, s7, 0, v2, s6
	v_cndmask_b32_e64 v2, 0x3ff00000, 2.0, s6
	s_delay_alu instid0(VALU_DEP_1) | instskip(NEXT) | instid1(VALU_DEP_1)
	v_mul_f64 v[26:27], v[26:27], v[1:2]
	v_add_f64 v[28:29], v[26:27], 1.0
	v_add_f64 v[34:35], v[26:27], -1.0
	s_delay_alu instid0(VALU_DEP_2) | instskip(SKIP_1) | instid1(VALU_DEP_1)
	v_rcp_f64_e32 v[30:31], v[28:29]
	v_add_f64 v[36:37], v[28:29], -1.0
	v_add_f64 v[26:27], v[26:27], -v[36:37]
	s_waitcnt_depctr 0xfff
	v_fma_f64 v[32:33], -v[28:29], v[30:31], 1.0
	s_delay_alu instid0(VALU_DEP_1) | instskip(NEXT) | instid1(VALU_DEP_1)
	v_fma_f64 v[30:31], v[32:33], v[30:31], v[30:31]
	v_fma_f64 v[32:33], -v[28:29], v[30:31], 1.0
	s_delay_alu instid0(VALU_DEP_1) | instskip(NEXT) | instid1(VALU_DEP_1)
	v_fma_f64 v[30:31], v[32:33], v[30:31], v[30:31]
	v_mul_f64 v[32:33], v[34:35], v[30:31]
	s_delay_alu instid0(VALU_DEP_1) | instskip(NEXT) | instid1(VALU_DEP_1)
	v_mul_f64 v[38:39], v[28:29], v[32:33]
	v_fma_f64 v[28:29], v[32:33], v[28:29], -v[38:39]
	s_delay_alu instid0(VALU_DEP_1) | instskip(NEXT) | instid1(VALU_DEP_1)
	v_fma_f64 v[26:27], v[32:33], v[26:27], v[28:29]
	v_add_f64 v[28:29], v[38:39], v[26:27]
	s_delay_alu instid0(VALU_DEP_1) | instskip(SKIP_1) | instid1(VALU_DEP_2)
	v_add_f64 v[36:37], v[34:35], -v[28:29]
	v_add_f64 v[38:39], v[28:29], -v[38:39]
	;; [unrolled: 1-line block ×3, first 2 shown]
	s_delay_alu instid0(VALU_DEP_2) | instskip(NEXT) | instid1(VALU_DEP_2)
	v_add_f64 v[26:27], v[38:39], -v[26:27]
	v_add_f64 v[28:29], v[34:35], -v[28:29]
	s_delay_alu instid0(VALU_DEP_1) | instskip(NEXT) | instid1(VALU_DEP_1)
	v_add_f64 v[26:27], v[26:27], v[28:29]
	v_add_f64 v[26:27], v[36:37], v[26:27]
	s_delay_alu instid0(VALU_DEP_1) | instskip(NEXT) | instid1(VALU_DEP_1)
	v_mul_f64 v[26:27], v[30:31], v[26:27]
	v_add_f64 v[28:29], v[32:33], v[26:27]
	s_delay_alu instid0(VALU_DEP_1) | instskip(SKIP_1) | instid1(VALU_DEP_2)
	v_add_f64 v[30:31], v[28:29], -v[32:33]
	v_mul_f64 v[32:33], v[28:29], v[28:29]
	v_add_f64 v[26:27], v[26:27], -v[30:31]
	s_delay_alu instid0(VALU_DEP_2) | instskip(NEXT) | instid1(VALU_DEP_2)
	v_fma_f64 v[30:31], v[28:29], v[28:29], -v[32:33]
	v_add_f64 v[34:35], v[26:27], v[26:27]
	s_delay_alu instid0(VALU_DEP_1) | instskip(NEXT) | instid1(VALU_DEP_1)
	v_fma_f64 v[30:31], v[28:29], v[34:35], v[30:31]
	v_add_f64 v[34:35], v[32:33], v[30:31]
	s_delay_alu instid0(VALU_DEP_1) | instskip(SKIP_2) | instid1(VALU_DEP_3)
	v_fma_f64 v[36:37], v[34:35], s[30:31], s[28:29]
	v_add_f64 v[32:33], v[34:35], -v[32:33]
	v_mul_f64 v[42:43], v[28:29], v[34:35]
	v_fma_f64 v[36:37], v[34:35], v[36:37], s[34:35]
	s_delay_alu instid0(VALU_DEP_3) | instskip(NEXT) | instid1(VALU_DEP_3)
	v_add_f64 v[30:31], v[30:31], -v[32:33]
	v_fma_f64 v[44:45], v[34:35], v[28:29], -v[42:43]
	s_delay_alu instid0(VALU_DEP_3) | instskip(NEXT) | instid1(VALU_DEP_1)
	v_fma_f64 v[36:37], v[34:35], v[36:37], s[36:37]
	v_fma_f64 v[36:37], v[34:35], v[36:37], s[38:39]
	s_delay_alu instid0(VALU_DEP_1) | instskip(NEXT) | instid1(VALU_DEP_1)
	v_fma_f64 v[36:37], v[34:35], v[36:37], s[40:41]
	v_fma_f64 v[36:37], v[34:35], v[36:37], s[42:43]
	s_delay_alu instid0(VALU_DEP_1) | instskip(NEXT) | instid1(VALU_DEP_1)
	;; [unrolled: 3-line block ×3, first 2 shown]
	v_mul_f64 v[38:39], v[34:35], v[36:37]
	v_fma_f64 v[32:33], v[34:35], v[36:37], -v[38:39]
	v_fma_f64 v[34:35], v[34:35], v[26:27], v[44:45]
	v_ldexp_f64 v[26:27], v[26:27], 1
	s_delay_alu instid0(VALU_DEP_3) | instskip(NEXT) | instid1(VALU_DEP_3)
	v_fma_f64 v[32:33], v[30:31], v[36:37], v[32:33]
	v_fma_f64 v[30:31], v[30:31], v[28:29], v[34:35]
	v_ldexp_f64 v[28:29], v[28:29], 1
	s_delay_alu instid0(VALU_DEP_3) | instskip(NEXT) | instid1(VALU_DEP_1)
	v_add_f64 v[36:37], v[38:39], v[32:33]
	v_add_f64 v[38:39], v[36:37], -v[38:39]
	v_add_f64 v[40:41], v[36:37], s[18:19]
	s_delay_alu instid0(VALU_DEP_2) | instskip(NEXT) | instid1(VALU_DEP_2)
	v_add_f64 v[32:33], v[32:33], -v[38:39]
	v_add_f64 v[38:39], v[40:41], s[50:51]
	s_delay_alu instid0(VALU_DEP_2) | instskip(NEXT) | instid1(VALU_DEP_2)
	v_add_f64 v[32:33], v[32:33], s[48:49]
	v_add_f64 v[36:37], v[36:37], -v[38:39]
	s_delay_alu instid0(VALU_DEP_1) | instskip(SKIP_1) | instid1(VALU_DEP_2)
	v_add_f64 v[32:33], v[32:33], v[36:37]
	v_add_f64 v[36:37], v[42:43], v[30:31]
	;; [unrolled: 1-line block ×3, first 2 shown]
	s_delay_alu instid0(VALU_DEP_2) | instskip(NEXT) | instid1(VALU_DEP_2)
	v_add_f64 v[42:43], v[36:37], -v[42:43]
	v_add_f64 v[38:39], v[40:41], -v[34:35]
	v_mul_f64 v[40:41], v[36:37], v[34:35]
	s_delay_alu instid0(VALU_DEP_3) | instskip(NEXT) | instid1(VALU_DEP_3)
	v_add_f64 v[30:31], v[30:31], -v[42:43]
	v_add_f64 v[32:33], v[32:33], v[38:39]
	s_delay_alu instid0(VALU_DEP_3) | instskip(NEXT) | instid1(VALU_DEP_1)
	v_fma_f64 v[38:39], v[36:37], v[34:35], -v[40:41]
	v_fma_f64 v[32:33], v[36:37], v[32:33], v[38:39]
	s_delay_alu instid0(VALU_DEP_1) | instskip(SKIP_1) | instid1(VALU_DEP_2)
	v_fma_f64 v[30:31], v[30:31], v[34:35], v[32:33]
	v_cvt_f64_i32_e32 v[34:35], v46
	v_add_f64 v[32:33], v[40:41], v[30:31]
	s_delay_alu instid0(VALU_DEP_1) | instskip(SKIP_1) | instid1(VALU_DEP_4)
	v_add_f64 v[36:37], v[32:33], -v[40:41]
	v_add_f64 v[38:39], v[28:29], v[32:33]
	v_mul_f64 v[40:41], v[34:35], s[20:21]
	s_delay_alu instid0(VALU_DEP_3) | instskip(NEXT) | instid1(VALU_DEP_3)
	v_add_f64 v[30:31], v[30:31], -v[36:37]
	v_add_f64 v[28:29], v[38:39], -v[28:29]
	s_delay_alu instid0(VALU_DEP_3) | instskip(NEXT) | instid1(VALU_DEP_3)
	v_fma_f64 v[36:37], v[34:35], s[20:21], -v[40:41]
	v_add_f64 v[26:27], v[26:27], v[30:31]
	s_delay_alu instid0(VALU_DEP_3) | instskip(NEXT) | instid1(VALU_DEP_3)
	v_add_f64 v[28:29], v[32:33], -v[28:29]
	v_fma_f64 v[30:31], v[34:35], s[26:27], v[36:37]
	s_delay_alu instid0(VALU_DEP_2) | instskip(NEXT) | instid1(VALU_DEP_2)
	v_add_f64 v[26:27], v[26:27], v[28:29]
	v_add_f64 v[28:29], v[40:41], v[30:31]
	s_delay_alu instid0(VALU_DEP_2) | instskip(NEXT) | instid1(VALU_DEP_2)
	v_add_f64 v[32:33], v[38:39], v[26:27]
	v_add_f64 v[40:41], v[28:29], -v[40:41]
	s_delay_alu instid0(VALU_DEP_2) | instskip(SKIP_1) | instid1(VALU_DEP_3)
	v_add_f64 v[34:35], v[28:29], v[32:33]
	v_add_f64 v[38:39], v[32:33], -v[38:39]
	v_add_f64 v[30:31], v[30:31], -v[40:41]
	s_delay_alu instid0(VALU_DEP_3) | instskip(NEXT) | instid1(VALU_DEP_3)
	v_add_f64 v[36:37], v[34:35], -v[28:29]
	v_add_f64 v[26:27], v[26:27], -v[38:39]
	s_delay_alu instid0(VALU_DEP_2) | instskip(SKIP_1) | instid1(VALU_DEP_3)
	v_add_f64 v[42:43], v[34:35], -v[36:37]
	v_add_f64 v[32:33], v[32:33], -v[36:37]
	v_add_f64 v[36:37], v[30:31], v[26:27]
	s_delay_alu instid0(VALU_DEP_3) | instskip(NEXT) | instid1(VALU_DEP_1)
	v_add_f64 v[28:29], v[28:29], -v[42:43]
	v_add_f64 v[28:29], v[32:33], v[28:29]
	s_delay_alu instid0(VALU_DEP_3) | instskip(NEXT) | instid1(VALU_DEP_2)
	v_add_f64 v[32:33], v[36:37], -v[30:31]
	v_add_f64 v[28:29], v[36:37], v[28:29]
	s_delay_alu instid0(VALU_DEP_2) | instskip(SKIP_1) | instid1(VALU_DEP_3)
	v_add_f64 v[36:37], v[36:37], -v[32:33]
	v_add_f64 v[26:27], v[26:27], -v[32:33]
	v_add_f64 v[38:39], v[34:35], v[28:29]
	s_delay_alu instid0(VALU_DEP_3) | instskip(NEXT) | instid1(VALU_DEP_2)
	v_add_f64 v[30:31], v[30:31], -v[36:37]
	v_add_f64 v[32:33], v[38:39], -v[34:35]
	s_delay_alu instid0(VALU_DEP_2) | instskip(NEXT) | instid1(VALU_DEP_2)
	v_add_f64 v[26:27], v[26:27], v[30:31]
	v_add_f64 v[28:29], v[28:29], -v[32:33]
	s_delay_alu instid0(VALU_DEP_1) | instskip(NEXT) | instid1(VALU_DEP_1)
	v_add_f64 v[26:27], v[26:27], v[28:29]
	v_add_f64 v[28:29], v[38:39], v[26:27]
	s_delay_alu instid0(VALU_DEP_1) | instskip(SKIP_1) | instid1(VALU_DEP_2)
	v_add_f64 v[30:31], v[28:29], -v[38:39]
	v_mul_f64 v[32:33], v[22:23], v[28:29]
	v_add_f64 v[26:27], v[26:27], -v[30:31]
	s_delay_alu instid0(VALU_DEP_2) | instskip(SKIP_1) | instid1(VALU_DEP_2)
	v_fma_f64 v[28:29], v[22:23], v[28:29], -v[32:33]
	v_cmp_class_f64_e64 s6, v[32:33], 0x204
	v_fma_f64 v[26:27], v[22:23], v[26:27], v[28:29]
	s_delay_alu instid0(VALU_DEP_1) | instskip(NEXT) | instid1(VALU_DEP_1)
	v_add_f64 v[28:29], v[32:33], v[26:27]
	v_cndmask_b32_e64 v31, v29, v33, s6
	s_delay_alu instid0(VALU_DEP_2) | instskip(SKIP_1) | instid1(VALU_DEP_2)
	v_cndmask_b32_e64 v30, v28, v32, s6
	v_add_f64 v[28:29], v[28:29], -v[32:33]
	v_mul_f64 v[34:35], v[30:31], s[52:53]
	v_cmp_lt_f64_e64 s6, 0x40900000, v[30:31]
	v_cmp_neq_f64_e64 s7, 0x7ff00000, |v[30:31]|
	v_cmp_ngt_f64_e64 s8, 0xc090cc00, v[30:31]
	v_add_f64 v[26:27], v[26:27], -v[28:29]
	v_mul_f64 v[28:29], v[22:23], 0.5
	v_rndne_f64_e32 v[34:35], v[34:35]
	s_delay_alu instid0(VALU_DEP_3) | instskip(NEXT) | instid1(VALU_DEP_4)
	v_cndmask_b32_e64 v27, 0, v27, s7
	v_cndmask_b32_e64 v26, 0, v26, s7
	s_delay_alu instid0(VALU_DEP_3) | instskip(SKIP_1) | instid1(VALU_DEP_2)
	v_fma_f64 v[36:37], v[34:35], s[74:75], v[30:31]
	v_cvt_i32_f64_e32 v2, v[34:35]
	v_fma_f64 v[36:37], v[34:35], s[76:77], v[36:37]
	s_delay_alu instid0(VALU_DEP_1) | instskip(NEXT) | instid1(VALU_DEP_1)
	v_fma_f64 v[38:39], v[36:37], s[56:57], s[54:55]
	v_fma_f64 v[38:39], v[36:37], v[38:39], s[58:59]
	s_delay_alu instid0(VALU_DEP_1) | instskip(NEXT) | instid1(VALU_DEP_1)
	v_fma_f64 v[38:39], v[36:37], v[38:39], s[60:61]
	;; [unrolled: 3-line block ×5, first 2 shown]
	v_fma_f64 v[38:39], v[36:37], v[38:39], 1.0
	s_delay_alu instid0(VALU_DEP_1) | instskip(NEXT) | instid1(VALU_DEP_1)
	v_fma_f64 v[34:35], v[36:37], v[38:39], 1.0
	v_ldexp_f64 v[32:33], v[34:35], v2
	s_delay_alu instid0(VALU_DEP_1) | instskip(SKIP_1) | instid1(VALU_DEP_3)
	v_cndmask_b32_e64 v34, v33, 0x7ff00000, s6
	v_and_b32_e32 v33, 0x7fffffff, v33
	v_cndmask_b32_e64 v2, v32, 0, s6
	s_delay_alu instid0(VALU_DEP_3) | instskip(NEXT) | instid1(VALU_DEP_3)
	v_cndmask_b32_e64 v31, 0, v34, s8
	v_cmp_eq_f64_e64 s7, 0x7ff00000, v[32:33]
	v_trunc_f64_e32 v[32:33], v[28:29]
	v_trunc_f64_e32 v[34:35], v[22:23]
	v_cndmask_b32_e64 v30, 0, v2, s8
	s_delay_alu instid0(VALU_DEP_1) | instskip(SKIP_1) | instid1(VALU_DEP_4)
	v_fma_f64 v[26:27], v[30:31], v[26:27], v[30:31]
	s_or_b32 s7, s6, s7
	v_cmp_neq_f64_e64 s6, v[32:33], v[28:29]
	s_and_b32 s7, s8, s7
	s_delay_alu instid0(VALU_DEP_4) | instskip(SKIP_4) | instid1(VALU_DEP_3)
	v_cmp_eq_f64_e64 s8, v[34:35], v[22:23]
	v_cndmask_b32_e64 v29, s81, v21, s5
	v_cndmask_b32_e64 v28, s22, 0, s5
	;; [unrolled: 1-line block ×4, first 2 shown]
	v_cmp_neq_f64_e64 s5, v[22:23], v[28:29]
	v_cmp_eq_f64_e64 s7, 0, v[13:14]
	s_and_b32 s6, s8, s6
	v_cndmask_b32_e64 v27, 0, v2, s8
	v_cndmask_b32_e64 v31, 0x3ff00000, v14, s6
	v_cndmask_b32_e64 v30, 0, v14, s6
	v_cmp_gt_f64_e64 s6, 0, v[22:23]
	s_xor_b32 s4, s5, s9
	s_delay_alu instid0(VALU_DEP_3)
	v_bfi_b32 v26, 0x7fffffff, v26, v31
	v_cndmask_b32_e64 v31, v28, 0, s4
	v_cndmask_b32_e64 v32, v29, 0, s4
	v_cmp_eq_f64_e64 s4, 1.0, v[24:25]
	v_cmp_gt_f64_e64 s5, 0, v[13:14]
	v_cndmask_b32_e64 v33, 0x7ff80000, v26, s8
	s_xor_b32 s6, s6, s7
	s_delay_alu instid0(VALU_DEP_3)
	v_cndmask_b32_e64 v32, v32, v25, s4
	v_cndmask_b32_e64 v31, v31, v24, s4
	v_cmp_eq_f64_e64 s4, 0x7ff00000, v[28:29]
	v_cndmask_b32_e64 v26, v26, v33, s5
	v_cndmask_b32_e64 v2, v2, v27, s5
	v_cmp_eq_f64_e64 s5, 0x7ff00000, v[24:25]
	v_cndmask_b32_e64 v24, 0x7ff00000, 0, s6
	s_delay_alu instid0(VALU_DEP_1) | instskip(NEXT) | instid1(VALU_DEP_4)
	v_bfi_b32 v24, 0x7fffffff, v24, v30
	v_cndmask_b32_e64 v2, v2, v31, s4
	v_cndmask_b32_e64 v25, v26, v32, s4
	s_or_b32 s4, s5, s7
	s_delay_alu instid0(VALU_DEP_2) | instid1(SALU_CYCLE_1)
	v_cndmask_b32_e64 v2, v2, 0, s4
	s_delay_alu instid0(VALU_DEP_2) | instskip(SKIP_1) | instid1(VALU_DEP_1)
	v_cndmask_b32_e64 v24, v25, v24, s4
	v_cmp_o_f64_e64 s4, v[13:14], v[22:23]
	v_cndmask_b32_e64 v13, 0, v2, s4
	s_delay_alu instid0(VALU_DEP_3)
	v_cndmask_b32_e64 v14, 0x7ff80000, v24, s4
	global_store_b64 v[3:4], v[13:14], off
	s_or_b32 exec_lo, exec_lo, s82
	s_and_saveexec_b32 s9, s3
	s_cbranch_execz .LBB77_13
.LBB77_17:                              ;   in Loop: Header=BB77_4 Depth=1
	s_waitcnt vmcnt(0)
	v_cmp_eq_f64_e64 s4, 1.0, v[11:12]
	v_and_b32_e32 v2, 0x7fffffff, v12
	s_mov_b32 s50, s18
	s_mov_b32 s74, s20
	;; [unrolled: 1-line block ×3, first 2 shown]
	s_delay_alu instid0(VALU_DEP_2) | instskip(SKIP_1) | instid1(VALU_DEP_1)
	v_cndmask_b32_e64 v14, s23, v21, s4
	v_cndmask_b32_e64 v13, s22, 0, s4
	v_cmp_eq_f64_e64 s3, 0, v[13:14]
	s_delay_alu instid0(VALU_DEP_1) | instskip(SKIP_3) | instid1(VALU_DEP_3)
	v_cndmask_b32_e64 v23, v2, 0x3ff00000, s3
	v_cndmask_b32_e64 v22, v11, 0, s3
	;; [unrolled: 1-line block ×4, first 2 shown]
	v_frexp_mant_f64_e32 v[24:25], v[22:23]
	v_cmp_gt_f64_e64 s8, 1.0, v[22:23]
	s_delay_alu instid0(VALU_DEP_2) | instskip(NEXT) | instid1(VALU_DEP_1)
	v_cmp_gt_f64_e64 s5, s[18:19], v[24:25]
	v_cndmask_b32_e64 v2, 0x3ff00000, 2.0, s5
	s_delay_alu instid0(VALU_DEP_1) | instskip(SKIP_1) | instid1(VALU_DEP_2)
	v_mul_f64 v[24:25], v[24:25], v[1:2]
	v_frexp_exp_i32_f64_e32 v2, v[22:23]
	v_add_f64 v[26:27], v[24:25], 1.0
	v_add_f64 v[32:33], v[24:25], -1.0
	s_delay_alu instid0(VALU_DEP_3) | instskip(NEXT) | instid1(VALU_DEP_3)
	v_subrev_co_ci_u32_e64 v2, s5, 0, v2, s5
	v_rcp_f64_e32 v[28:29], v[26:27]
	v_add_f64 v[34:35], v[26:27], -1.0
	s_delay_alu instid0(VALU_DEP_1) | instskip(SKIP_2) | instid1(VALU_DEP_1)
	v_add_f64 v[24:25], v[24:25], -v[34:35]
	s_waitcnt_depctr 0xfff
	v_fma_f64 v[30:31], -v[26:27], v[28:29], 1.0
	v_fma_f64 v[28:29], v[30:31], v[28:29], v[28:29]
	s_delay_alu instid0(VALU_DEP_1) | instskip(NEXT) | instid1(VALU_DEP_1)
	v_fma_f64 v[30:31], -v[26:27], v[28:29], 1.0
	v_fma_f64 v[28:29], v[30:31], v[28:29], v[28:29]
	s_delay_alu instid0(VALU_DEP_1) | instskip(NEXT) | instid1(VALU_DEP_1)
	v_mul_f64 v[30:31], v[32:33], v[28:29]
	v_mul_f64 v[36:37], v[26:27], v[30:31]
	s_delay_alu instid0(VALU_DEP_1) | instskip(NEXT) | instid1(VALU_DEP_1)
	v_fma_f64 v[26:27], v[30:31], v[26:27], -v[36:37]
	v_fma_f64 v[24:25], v[30:31], v[24:25], v[26:27]
	s_delay_alu instid0(VALU_DEP_1) | instskip(NEXT) | instid1(VALU_DEP_1)
	v_add_f64 v[26:27], v[36:37], v[24:25]
	v_add_f64 v[34:35], v[32:33], -v[26:27]
	v_add_f64 v[36:37], v[26:27], -v[36:37]
	s_delay_alu instid0(VALU_DEP_2) | instskip(NEXT) | instid1(VALU_DEP_2)
	v_add_f64 v[32:33], v[32:33], -v[34:35]
	v_add_f64 v[24:25], v[36:37], -v[24:25]
	s_delay_alu instid0(VALU_DEP_2) | instskip(NEXT) | instid1(VALU_DEP_1)
	v_add_f64 v[26:27], v[32:33], -v[26:27]
	v_add_f64 v[24:25], v[24:25], v[26:27]
	s_delay_alu instid0(VALU_DEP_1) | instskip(NEXT) | instid1(VALU_DEP_1)
	v_add_f64 v[24:25], v[34:35], v[24:25]
	v_mul_f64 v[24:25], v[28:29], v[24:25]
	s_delay_alu instid0(VALU_DEP_1) | instskip(NEXT) | instid1(VALU_DEP_1)
	v_add_f64 v[26:27], v[30:31], v[24:25]
	v_add_f64 v[28:29], v[26:27], -v[30:31]
	v_mul_f64 v[30:31], v[26:27], v[26:27]
	s_delay_alu instid0(VALU_DEP_2) | instskip(NEXT) | instid1(VALU_DEP_2)
	v_add_f64 v[24:25], v[24:25], -v[28:29]
	v_fma_f64 v[28:29], v[26:27], v[26:27], -v[30:31]
	s_delay_alu instid0(VALU_DEP_2) | instskip(NEXT) | instid1(VALU_DEP_1)
	v_add_f64 v[32:33], v[24:25], v[24:25]
	v_fma_f64 v[28:29], v[26:27], v[32:33], v[28:29]
	s_delay_alu instid0(VALU_DEP_1) | instskip(NEXT) | instid1(VALU_DEP_1)
	v_add_f64 v[32:33], v[30:31], v[28:29]
	v_fma_f64 v[34:35], v[32:33], s[30:31], s[28:29]
	v_add_f64 v[30:31], v[32:33], -v[30:31]
	v_mul_f64 v[40:41], v[26:27], v[32:33]
	s_delay_alu instid0(VALU_DEP_3) | instskip(NEXT) | instid1(VALU_DEP_3)
	v_fma_f64 v[34:35], v[32:33], v[34:35], s[34:35]
	v_add_f64 v[28:29], v[28:29], -v[30:31]
	s_delay_alu instid0(VALU_DEP_2) | instskip(NEXT) | instid1(VALU_DEP_1)
	v_fma_f64 v[34:35], v[32:33], v[34:35], s[36:37]
	v_fma_f64 v[34:35], v[32:33], v[34:35], s[38:39]
	s_delay_alu instid0(VALU_DEP_1) | instskip(NEXT) | instid1(VALU_DEP_1)
	v_fma_f64 v[34:35], v[32:33], v[34:35], s[40:41]
	v_fma_f64 v[34:35], v[32:33], v[34:35], s[42:43]
	s_delay_alu instid0(VALU_DEP_1) | instskip(NEXT) | instid1(VALU_DEP_1)
	;; [unrolled: 3-line block ×3, first 2 shown]
	v_mul_f64 v[36:37], v[32:33], v[34:35]
	v_fma_f64 v[30:31], v[32:33], v[34:35], -v[36:37]
	s_delay_alu instid0(VALU_DEP_1) | instskip(NEXT) | instid1(VALU_DEP_1)
	v_fma_f64 v[30:31], v[28:29], v[34:35], v[30:31]
	v_add_f64 v[34:35], v[36:37], v[30:31]
	s_delay_alu instid0(VALU_DEP_1) | instskip(SKIP_1) | instid1(VALU_DEP_2)
	v_add_f64 v[38:39], v[34:35], s[18:19]
	v_add_f64 v[36:37], v[34:35], -v[36:37]
	v_add_f64 v[42:43], v[38:39], s[50:51]
	s_delay_alu instid0(VALU_DEP_2) | instskip(SKIP_1) | instid1(VALU_DEP_3)
	v_add_f64 v[30:31], v[30:31], -v[36:37]
	v_fma_f64 v[36:37], v[32:33], v[26:27], -v[40:41]
	v_add_f64 v[34:35], v[34:35], -v[42:43]
	s_delay_alu instid0(VALU_DEP_3) | instskip(NEXT) | instid1(VALU_DEP_3)
	v_add_f64 v[30:31], v[30:31], s[48:49]
	v_fma_f64 v[32:33], v[32:33], v[24:25], v[36:37]
	v_ldexp_f64 v[24:25], v[24:25], 1
	s_delay_alu instid0(VALU_DEP_3) | instskip(NEXT) | instid1(VALU_DEP_3)
	v_add_f64 v[30:31], v[30:31], v[34:35]
	v_fma_f64 v[28:29], v[28:29], v[26:27], v[32:33]
	v_ldexp_f64 v[26:27], v[26:27], 1
	s_delay_alu instid0(VALU_DEP_3) | instskip(NEXT) | instid1(VALU_DEP_3)
	v_add_f64 v[32:33], v[38:39], v[30:31]
	v_add_f64 v[34:35], v[40:41], v[28:29]
	s_delay_alu instid0(VALU_DEP_2) | instskip(NEXT) | instid1(VALU_DEP_2)
	v_add_f64 v[36:37], v[38:39], -v[32:33]
	v_mul_f64 v[38:39], v[34:35], v[32:33]
	v_add_f64 v[40:41], v[34:35], -v[40:41]
	s_delay_alu instid0(VALU_DEP_3) | instskip(NEXT) | instid1(VALU_DEP_3)
	v_add_f64 v[30:31], v[30:31], v[36:37]
	v_fma_f64 v[36:37], v[34:35], v[32:33], -v[38:39]
	s_delay_alu instid0(VALU_DEP_3) | instskip(NEXT) | instid1(VALU_DEP_2)
	v_add_f64 v[28:29], v[28:29], -v[40:41]
	v_fma_f64 v[30:31], v[34:35], v[30:31], v[36:37]
	s_delay_alu instid0(VALU_DEP_1) | instskip(SKIP_1) | instid1(VALU_DEP_2)
	v_fma_f64 v[28:29], v[28:29], v[32:33], v[30:31]
	v_cvt_f64_i32_e32 v[32:33], v2
	v_add_f64 v[30:31], v[38:39], v[28:29]
	s_delay_alu instid0(VALU_DEP_1) | instskip(SKIP_1) | instid1(VALU_DEP_4)
	v_add_f64 v[34:35], v[26:27], v[30:31]
	v_add_f64 v[36:37], v[30:31], -v[38:39]
	v_mul_f64 v[38:39], v[32:33], s[20:21]
	s_delay_alu instid0(VALU_DEP_3) | instskip(NEXT) | instid1(VALU_DEP_3)
	v_add_f64 v[26:27], v[34:35], -v[26:27]
	v_add_f64 v[28:29], v[28:29], -v[36:37]
	s_delay_alu instid0(VALU_DEP_3) | instskip(NEXT) | instid1(VALU_DEP_3)
	v_fma_f64 v[36:37], v[32:33], s[20:21], -v[38:39]
	v_add_f64 v[26:27], v[30:31], -v[26:27]
	s_delay_alu instid0(VALU_DEP_3) | instskip(NEXT) | instid1(VALU_DEP_3)
	v_add_f64 v[24:25], v[24:25], v[28:29]
	v_fma_f64 v[28:29], v[32:33], s[26:27], v[36:37]
	s_delay_alu instid0(VALU_DEP_2) | instskip(NEXT) | instid1(VALU_DEP_2)
	v_add_f64 v[24:25], v[24:25], v[26:27]
	v_add_f64 v[26:27], v[38:39], v[28:29]
	s_delay_alu instid0(VALU_DEP_2) | instskip(NEXT) | instid1(VALU_DEP_2)
	v_add_f64 v[30:31], v[34:35], v[24:25]
	v_add_f64 v[38:39], v[26:27], -v[38:39]
	s_delay_alu instid0(VALU_DEP_2) | instskip(SKIP_1) | instid1(VALU_DEP_3)
	v_add_f64 v[32:33], v[26:27], v[30:31]
	v_add_f64 v[34:35], v[30:31], -v[34:35]
	v_add_f64 v[28:29], v[28:29], -v[38:39]
	s_delay_alu instid0(VALU_DEP_3) | instskip(NEXT) | instid1(VALU_DEP_3)
	v_add_f64 v[36:37], v[32:33], -v[26:27]
	v_add_f64 v[24:25], v[24:25], -v[34:35]
	s_delay_alu instid0(VALU_DEP_2) | instskip(SKIP_1) | instid1(VALU_DEP_3)
	v_add_f64 v[40:41], v[32:33], -v[36:37]
	v_add_f64 v[30:31], v[30:31], -v[36:37]
	v_add_f64 v[34:35], v[28:29], v[24:25]
	s_delay_alu instid0(VALU_DEP_3) | instskip(NEXT) | instid1(VALU_DEP_1)
	v_add_f64 v[26:27], v[26:27], -v[40:41]
	v_add_f64 v[26:27], v[30:31], v[26:27]
	s_delay_alu instid0(VALU_DEP_3) | instskip(NEXT) | instid1(VALU_DEP_2)
	v_add_f64 v[30:31], v[34:35], -v[28:29]
	v_add_f64 v[26:27], v[34:35], v[26:27]
	s_delay_alu instid0(VALU_DEP_2) | instskip(SKIP_1) | instid1(VALU_DEP_3)
	v_add_f64 v[34:35], v[34:35], -v[30:31]
	v_add_f64 v[24:25], v[24:25], -v[30:31]
	v_add_f64 v[36:37], v[32:33], v[26:27]
	s_delay_alu instid0(VALU_DEP_3) | instskip(NEXT) | instid1(VALU_DEP_2)
	v_add_f64 v[28:29], v[28:29], -v[34:35]
	v_add_f64 v[30:31], v[36:37], -v[32:33]
	s_delay_alu instid0(VALU_DEP_2) | instskip(NEXT) | instid1(VALU_DEP_2)
	v_add_f64 v[24:25], v[24:25], v[28:29]
	v_add_f64 v[26:27], v[26:27], -v[30:31]
	s_delay_alu instid0(VALU_DEP_1) | instskip(NEXT) | instid1(VALU_DEP_1)
	v_add_f64 v[24:25], v[24:25], v[26:27]
	v_add_f64 v[26:27], v[36:37], v[24:25]
	s_delay_alu instid0(VALU_DEP_1) | instskip(SKIP_1) | instid1(VALU_DEP_2)
	v_add_f64 v[28:29], v[26:27], -v[36:37]
	v_mul_f64 v[30:31], v[13:14], v[26:27]
	v_add_f64 v[24:25], v[24:25], -v[28:29]
	s_delay_alu instid0(VALU_DEP_2) | instskip(SKIP_1) | instid1(VALU_DEP_2)
	v_fma_f64 v[26:27], v[13:14], v[26:27], -v[30:31]
	v_cmp_class_f64_e64 s5, v[30:31], 0x204
	v_fma_f64 v[24:25], v[13:14], v[24:25], v[26:27]
	s_delay_alu instid0(VALU_DEP_1) | instskip(NEXT) | instid1(VALU_DEP_1)
	v_add_f64 v[26:27], v[30:31], v[24:25]
	v_cndmask_b32_e64 v29, v27, v31, s5
	s_delay_alu instid0(VALU_DEP_2) | instskip(SKIP_1) | instid1(VALU_DEP_2)
	v_cndmask_b32_e64 v28, v26, v30, s5
	v_add_f64 v[26:27], v[26:27], -v[30:31]
	v_mul_f64 v[32:33], v[28:29], s[52:53]
	v_cmp_lt_f64_e64 s5, 0x40900000, v[28:29]
	v_cmp_neq_f64_e64 s6, 0x7ff00000, |v[28:29]|
	v_cmp_ngt_f64_e64 s7, 0xc090cc00, v[28:29]
	v_add_f64 v[24:25], v[24:25], -v[26:27]
	v_mul_f64 v[26:27], v[13:14], 0.5
	v_rndne_f64_e32 v[32:33], v[32:33]
	s_delay_alu instid0(VALU_DEP_3) | instskip(NEXT) | instid1(VALU_DEP_4)
	v_cndmask_b32_e64 v25, 0, v25, s6
	v_cndmask_b32_e64 v24, 0, v24, s6
	s_delay_alu instid0(VALU_DEP_3) | instskip(SKIP_1) | instid1(VALU_DEP_2)
	v_fma_f64 v[34:35], v[32:33], s[74:75], v[28:29]
	v_cvt_i32_f64_e32 v2, v[32:33]
	v_fma_f64 v[34:35], v[32:33], s[76:77], v[34:35]
	s_delay_alu instid0(VALU_DEP_1) | instskip(NEXT) | instid1(VALU_DEP_1)
	v_fma_f64 v[36:37], v[34:35], s[56:57], s[54:55]
	v_fma_f64 v[36:37], v[34:35], v[36:37], s[58:59]
	s_delay_alu instid0(VALU_DEP_1) | instskip(NEXT) | instid1(VALU_DEP_1)
	v_fma_f64 v[36:37], v[34:35], v[36:37], s[60:61]
	;; [unrolled: 3-line block ×5, first 2 shown]
	v_fma_f64 v[36:37], v[34:35], v[36:37], 1.0
	s_delay_alu instid0(VALU_DEP_1) | instskip(SKIP_1) | instid1(VALU_DEP_2)
	v_fma_f64 v[32:33], v[34:35], v[36:37], 1.0
	v_cndmask_b32_e64 v34, s81, v21, s4
	v_ldexp_f64 v[30:31], v[32:33], v2
	s_delay_alu instid0(VALU_DEP_1) | instskip(SKIP_1) | instid1(VALU_DEP_3)
	v_cndmask_b32_e64 v32, v31, 0x7ff00000, s5
	v_and_b32_e32 v31, 0x7fffffff, v31
	v_cndmask_b32_e64 v2, v30, 0, s5
	s_delay_alu instid0(VALU_DEP_3) | instskip(NEXT) | instid1(VALU_DEP_3)
	v_cndmask_b32_e64 v29, 0, v32, s7
	v_cmp_eq_f64_e64 s6, 0x7ff00000, v[30:31]
	v_trunc_f64_e32 v[30:31], v[26:27]
	v_trunc_f64_e32 v[32:33], v[13:14]
	v_cndmask_b32_e64 v28, 0, v2, s7
	s_delay_alu instid0(VALU_DEP_1) | instskip(SKIP_1) | instid1(VALU_DEP_4)
	v_fma_f64 v[24:25], v[28:29], v[24:25], v[28:29]
	s_or_b32 s6, s5, s6
	v_cmp_neq_f64_e64 s5, v[30:31], v[26:27]
	s_and_b32 s6, s7, s6
	s_delay_alu instid0(VALU_DEP_4) | instskip(SKIP_1) | instid1(VALU_DEP_4)
	v_cmp_eq_f64_e64 s7, v[32:33], v[13:14]
	v_cndmask_b32_e64 v33, s22, 0, s4
	v_cndmask_b32_e64 v2, v24, v28, s6
	s_delay_alu instid0(VALU_DEP_2)
	v_cmp_neq_f64_e64 s4, v[13:14], v[33:34]
	v_cndmask_b32_e64 v24, v25, v29, s6
	v_cmp_gt_f64_e64 s6, 0, v[13:14]
	s_and_b32 s5, s7, s5
	v_cndmask_b32_e64 v25, 0, v2, s7
	v_cndmask_b32_e64 v26, 0x3ff00000, v12, s5
	s_xor_b32 s3, s4, s8
	s_delay_alu instid0(VALU_DEP_1)
	v_bfi_b32 v24, 0x7fffffff, v24, v26
	v_cndmask_b32_e64 v26, v33, 0, s3
	v_cndmask_b32_e64 v27, v34, 0, s3
	v_cmp_eq_f64_e64 s3, 1.0, v[22:23]
	v_cmp_gt_f64_e64 s4, 0, v[11:12]
	v_cndmask_b32_e64 v28, 0x7ff80000, v24, s7
	v_cmp_eq_f64_e64 s7, 0, v[11:12]
	s_delay_alu instid0(VALU_DEP_4)
	v_cndmask_b32_e64 v27, v27, v23, s3
	v_cndmask_b32_e64 v26, v26, v22, s3
	v_cmp_eq_f64_e64 s3, 0x7ff00000, v[33:34]
	v_cndmask_b32_e64 v24, v24, v28, s4
	v_cndmask_b32_e64 v2, v2, v25, s4
	v_cmp_eq_f64_e64 s4, 0x7ff00000, v[22:23]
	s_xor_b32 s6, s6, s7
	v_cndmask_b32_e64 v23, 0, v12, s5
	v_cndmask_b32_e64 v22, 0x7ff00000, 0, s6
	s_delay_alu instid0(VALU_DEP_1)
	v_bfi_b32 v22, 0x7fffffff, v22, v23
	v_cndmask_b32_e64 v2, v2, v26, s3
	v_cndmask_b32_e64 v23, v24, v27, s3
	s_or_b32 s3, s4, s7
	s_delay_alu instid0(VALU_DEP_2) | instid1(SALU_CYCLE_1)
	v_cndmask_b32_e64 v2, v2, 0, s3
	s_delay_alu instid0(VALU_DEP_2) | instskip(SKIP_1) | instid1(VALU_DEP_1)
	v_cndmask_b32_e64 v22, v23, v22, s3
	v_cmp_o_f64_e64 s3, v[11:12], v[13:14]
	v_cndmask_b32_e64 v11, 0, v2, s3
	s_delay_alu instid0(VALU_DEP_3)
	v_cndmask_b32_e64 v12, 0x7ff80000, v22, s3
	global_store_b64 v[5:6], v[11:12], off
	s_or_b32 exec_lo, exec_lo, s9
	s_and_saveexec_b32 s8, s2
	s_cbranch_execz .LBB77_14
.LBB77_18:                              ;   in Loop: Header=BB77_4 Depth=1
	s_waitcnt vmcnt(0)
	v_cmp_eq_f64_e64 s3, 1.0, v[9:10]
	v_and_b32_e32 v2, 0x7fffffff, v10
	s_mov_b32 s50, s18
	s_mov_b32 s74, s20
	;; [unrolled: 1-line block ×3, first 2 shown]
	s_delay_alu instid0(VALU_DEP_2) | instskip(SKIP_1) | instid1(VALU_DEP_1)
	v_cndmask_b32_e64 v12, s23, v21, s3
	v_cndmask_b32_e64 v11, s22, 0, s3
	v_cmp_eq_f64_e64 s2, 0, v[11:12]
	s_delay_alu instid0(VALU_DEP_1) | instskip(SKIP_3) | instid1(VALU_DEP_3)
	v_cndmask_b32_e64 v14, v2, 0x3ff00000, s2
	v_cndmask_b32_e64 v13, v9, 0, s2
	;; [unrolled: 1-line block ×4, first 2 shown]
	v_frexp_mant_f64_e32 v[22:23], v[13:14]
	v_cmp_gt_f64_e64 s7, 1.0, v[13:14]
	s_delay_alu instid0(VALU_DEP_2) | instskip(NEXT) | instid1(VALU_DEP_1)
	v_cmp_gt_f64_e64 s4, s[18:19], v[22:23]
	v_cndmask_b32_e64 v2, 0x3ff00000, 2.0, s4
	s_delay_alu instid0(VALU_DEP_1) | instskip(SKIP_1) | instid1(VALU_DEP_2)
	v_mul_f64 v[22:23], v[22:23], v[1:2]
	v_frexp_exp_i32_f64_e32 v2, v[13:14]
	v_add_f64 v[24:25], v[22:23], 1.0
	v_add_f64 v[30:31], v[22:23], -1.0
	s_delay_alu instid0(VALU_DEP_3) | instskip(NEXT) | instid1(VALU_DEP_3)
	v_subrev_co_ci_u32_e64 v2, s4, 0, v2, s4
	v_rcp_f64_e32 v[26:27], v[24:25]
	v_add_f64 v[32:33], v[24:25], -1.0
	s_delay_alu instid0(VALU_DEP_1) | instskip(SKIP_2) | instid1(VALU_DEP_1)
	v_add_f64 v[22:23], v[22:23], -v[32:33]
	s_waitcnt_depctr 0xfff
	v_fma_f64 v[28:29], -v[24:25], v[26:27], 1.0
	v_fma_f64 v[26:27], v[28:29], v[26:27], v[26:27]
	s_delay_alu instid0(VALU_DEP_1) | instskip(NEXT) | instid1(VALU_DEP_1)
	v_fma_f64 v[28:29], -v[24:25], v[26:27], 1.0
	v_fma_f64 v[26:27], v[28:29], v[26:27], v[26:27]
	s_delay_alu instid0(VALU_DEP_1) | instskip(NEXT) | instid1(VALU_DEP_1)
	v_mul_f64 v[28:29], v[30:31], v[26:27]
	v_mul_f64 v[34:35], v[24:25], v[28:29]
	s_delay_alu instid0(VALU_DEP_1) | instskip(NEXT) | instid1(VALU_DEP_1)
	v_fma_f64 v[24:25], v[28:29], v[24:25], -v[34:35]
	v_fma_f64 v[22:23], v[28:29], v[22:23], v[24:25]
	s_delay_alu instid0(VALU_DEP_1) | instskip(NEXT) | instid1(VALU_DEP_1)
	v_add_f64 v[24:25], v[34:35], v[22:23]
	v_add_f64 v[32:33], v[30:31], -v[24:25]
	v_add_f64 v[34:35], v[24:25], -v[34:35]
	s_delay_alu instid0(VALU_DEP_2) | instskip(NEXT) | instid1(VALU_DEP_2)
	v_add_f64 v[30:31], v[30:31], -v[32:33]
	v_add_f64 v[22:23], v[34:35], -v[22:23]
	s_delay_alu instid0(VALU_DEP_2) | instskip(NEXT) | instid1(VALU_DEP_1)
	v_add_f64 v[24:25], v[30:31], -v[24:25]
	v_add_f64 v[22:23], v[22:23], v[24:25]
	s_delay_alu instid0(VALU_DEP_1) | instskip(NEXT) | instid1(VALU_DEP_1)
	v_add_f64 v[22:23], v[32:33], v[22:23]
	v_mul_f64 v[22:23], v[26:27], v[22:23]
	s_delay_alu instid0(VALU_DEP_1) | instskip(NEXT) | instid1(VALU_DEP_1)
	v_add_f64 v[24:25], v[28:29], v[22:23]
	v_add_f64 v[26:27], v[24:25], -v[28:29]
	v_mul_f64 v[28:29], v[24:25], v[24:25]
	s_delay_alu instid0(VALU_DEP_2) | instskip(NEXT) | instid1(VALU_DEP_2)
	v_add_f64 v[22:23], v[22:23], -v[26:27]
	v_fma_f64 v[26:27], v[24:25], v[24:25], -v[28:29]
	s_delay_alu instid0(VALU_DEP_2) | instskip(NEXT) | instid1(VALU_DEP_1)
	v_add_f64 v[30:31], v[22:23], v[22:23]
	v_fma_f64 v[26:27], v[24:25], v[30:31], v[26:27]
	s_delay_alu instid0(VALU_DEP_1) | instskip(NEXT) | instid1(VALU_DEP_1)
	v_add_f64 v[30:31], v[28:29], v[26:27]
	v_fma_f64 v[32:33], v[30:31], s[30:31], s[28:29]
	v_add_f64 v[28:29], v[30:31], -v[28:29]
	v_mul_f64 v[38:39], v[24:25], v[30:31]
	s_delay_alu instid0(VALU_DEP_3) | instskip(NEXT) | instid1(VALU_DEP_3)
	v_fma_f64 v[32:33], v[30:31], v[32:33], s[34:35]
	v_add_f64 v[26:27], v[26:27], -v[28:29]
	s_delay_alu instid0(VALU_DEP_2) | instskip(NEXT) | instid1(VALU_DEP_1)
	v_fma_f64 v[32:33], v[30:31], v[32:33], s[36:37]
	v_fma_f64 v[32:33], v[30:31], v[32:33], s[38:39]
	s_delay_alu instid0(VALU_DEP_1) | instskip(NEXT) | instid1(VALU_DEP_1)
	v_fma_f64 v[32:33], v[30:31], v[32:33], s[40:41]
	v_fma_f64 v[32:33], v[30:31], v[32:33], s[42:43]
	s_delay_alu instid0(VALU_DEP_1) | instskip(NEXT) | instid1(VALU_DEP_1)
	;; [unrolled: 3-line block ×3, first 2 shown]
	v_mul_f64 v[34:35], v[30:31], v[32:33]
	v_fma_f64 v[28:29], v[30:31], v[32:33], -v[34:35]
	s_delay_alu instid0(VALU_DEP_1) | instskip(NEXT) | instid1(VALU_DEP_1)
	v_fma_f64 v[28:29], v[26:27], v[32:33], v[28:29]
	v_add_f64 v[32:33], v[34:35], v[28:29]
	s_delay_alu instid0(VALU_DEP_1) | instskip(SKIP_1) | instid1(VALU_DEP_2)
	v_add_f64 v[36:37], v[32:33], s[18:19]
	v_add_f64 v[34:35], v[32:33], -v[34:35]
	v_add_f64 v[40:41], v[36:37], s[50:51]
	s_delay_alu instid0(VALU_DEP_2) | instskip(SKIP_1) | instid1(VALU_DEP_3)
	v_add_f64 v[28:29], v[28:29], -v[34:35]
	v_fma_f64 v[34:35], v[30:31], v[24:25], -v[38:39]
	v_add_f64 v[32:33], v[32:33], -v[40:41]
	s_delay_alu instid0(VALU_DEP_3) | instskip(NEXT) | instid1(VALU_DEP_3)
	v_add_f64 v[28:29], v[28:29], s[48:49]
	v_fma_f64 v[30:31], v[30:31], v[22:23], v[34:35]
	v_ldexp_f64 v[22:23], v[22:23], 1
	s_delay_alu instid0(VALU_DEP_3) | instskip(NEXT) | instid1(VALU_DEP_3)
	v_add_f64 v[28:29], v[28:29], v[32:33]
	v_fma_f64 v[26:27], v[26:27], v[24:25], v[30:31]
	v_ldexp_f64 v[24:25], v[24:25], 1
	s_delay_alu instid0(VALU_DEP_3) | instskip(NEXT) | instid1(VALU_DEP_3)
	v_add_f64 v[30:31], v[36:37], v[28:29]
	v_add_f64 v[32:33], v[38:39], v[26:27]
	s_delay_alu instid0(VALU_DEP_2) | instskip(NEXT) | instid1(VALU_DEP_2)
	v_add_f64 v[34:35], v[36:37], -v[30:31]
	v_mul_f64 v[36:37], v[32:33], v[30:31]
	v_add_f64 v[38:39], v[32:33], -v[38:39]
	s_delay_alu instid0(VALU_DEP_3) | instskip(NEXT) | instid1(VALU_DEP_3)
	v_add_f64 v[28:29], v[28:29], v[34:35]
	v_fma_f64 v[34:35], v[32:33], v[30:31], -v[36:37]
	s_delay_alu instid0(VALU_DEP_3) | instskip(NEXT) | instid1(VALU_DEP_2)
	v_add_f64 v[26:27], v[26:27], -v[38:39]
	v_fma_f64 v[28:29], v[32:33], v[28:29], v[34:35]
	s_delay_alu instid0(VALU_DEP_1) | instskip(SKIP_1) | instid1(VALU_DEP_2)
	v_fma_f64 v[26:27], v[26:27], v[30:31], v[28:29]
	v_cvt_f64_i32_e32 v[30:31], v2
	v_add_f64 v[28:29], v[36:37], v[26:27]
	s_delay_alu instid0(VALU_DEP_1) | instskip(SKIP_1) | instid1(VALU_DEP_4)
	v_add_f64 v[32:33], v[24:25], v[28:29]
	v_add_f64 v[34:35], v[28:29], -v[36:37]
	v_mul_f64 v[36:37], v[30:31], s[20:21]
	s_delay_alu instid0(VALU_DEP_3) | instskip(NEXT) | instid1(VALU_DEP_3)
	v_add_f64 v[24:25], v[32:33], -v[24:25]
	v_add_f64 v[26:27], v[26:27], -v[34:35]
	s_delay_alu instid0(VALU_DEP_3) | instskip(NEXT) | instid1(VALU_DEP_3)
	v_fma_f64 v[34:35], v[30:31], s[20:21], -v[36:37]
	v_add_f64 v[24:25], v[28:29], -v[24:25]
	s_delay_alu instid0(VALU_DEP_3) | instskip(NEXT) | instid1(VALU_DEP_3)
	v_add_f64 v[22:23], v[22:23], v[26:27]
	v_fma_f64 v[26:27], v[30:31], s[26:27], v[34:35]
	s_delay_alu instid0(VALU_DEP_2) | instskip(NEXT) | instid1(VALU_DEP_2)
	v_add_f64 v[22:23], v[22:23], v[24:25]
	v_add_f64 v[24:25], v[36:37], v[26:27]
	s_delay_alu instid0(VALU_DEP_2) | instskip(NEXT) | instid1(VALU_DEP_2)
	v_add_f64 v[28:29], v[32:33], v[22:23]
	v_add_f64 v[36:37], v[24:25], -v[36:37]
	s_delay_alu instid0(VALU_DEP_2) | instskip(SKIP_1) | instid1(VALU_DEP_3)
	v_add_f64 v[30:31], v[24:25], v[28:29]
	v_add_f64 v[32:33], v[28:29], -v[32:33]
	v_add_f64 v[26:27], v[26:27], -v[36:37]
	s_delay_alu instid0(VALU_DEP_3) | instskip(NEXT) | instid1(VALU_DEP_3)
	v_add_f64 v[34:35], v[30:31], -v[24:25]
	v_add_f64 v[22:23], v[22:23], -v[32:33]
	s_delay_alu instid0(VALU_DEP_2) | instskip(SKIP_1) | instid1(VALU_DEP_3)
	v_add_f64 v[38:39], v[30:31], -v[34:35]
	v_add_f64 v[28:29], v[28:29], -v[34:35]
	v_add_f64 v[32:33], v[26:27], v[22:23]
	s_delay_alu instid0(VALU_DEP_3) | instskip(NEXT) | instid1(VALU_DEP_1)
	v_add_f64 v[24:25], v[24:25], -v[38:39]
	v_add_f64 v[24:25], v[28:29], v[24:25]
	s_delay_alu instid0(VALU_DEP_3) | instskip(NEXT) | instid1(VALU_DEP_2)
	v_add_f64 v[28:29], v[32:33], -v[26:27]
	v_add_f64 v[24:25], v[32:33], v[24:25]
	s_delay_alu instid0(VALU_DEP_2) | instskip(SKIP_1) | instid1(VALU_DEP_3)
	v_add_f64 v[32:33], v[32:33], -v[28:29]
	v_add_f64 v[22:23], v[22:23], -v[28:29]
	v_add_f64 v[34:35], v[30:31], v[24:25]
	s_delay_alu instid0(VALU_DEP_3) | instskip(NEXT) | instid1(VALU_DEP_2)
	v_add_f64 v[26:27], v[26:27], -v[32:33]
	v_add_f64 v[28:29], v[34:35], -v[30:31]
	s_delay_alu instid0(VALU_DEP_2) | instskip(NEXT) | instid1(VALU_DEP_2)
	v_add_f64 v[22:23], v[22:23], v[26:27]
	v_add_f64 v[24:25], v[24:25], -v[28:29]
	s_delay_alu instid0(VALU_DEP_1) | instskip(NEXT) | instid1(VALU_DEP_1)
	v_add_f64 v[22:23], v[22:23], v[24:25]
	v_add_f64 v[24:25], v[34:35], v[22:23]
	s_delay_alu instid0(VALU_DEP_1) | instskip(SKIP_1) | instid1(VALU_DEP_2)
	v_add_f64 v[26:27], v[24:25], -v[34:35]
	v_mul_f64 v[28:29], v[11:12], v[24:25]
	v_add_f64 v[22:23], v[22:23], -v[26:27]
	s_delay_alu instid0(VALU_DEP_2) | instskip(SKIP_1) | instid1(VALU_DEP_2)
	v_fma_f64 v[24:25], v[11:12], v[24:25], -v[28:29]
	v_cmp_class_f64_e64 s4, v[28:29], 0x204
	v_fma_f64 v[22:23], v[11:12], v[22:23], v[24:25]
	s_delay_alu instid0(VALU_DEP_1) | instskip(NEXT) | instid1(VALU_DEP_1)
	v_add_f64 v[24:25], v[28:29], v[22:23]
	v_cndmask_b32_e64 v27, v25, v29, s4
	s_delay_alu instid0(VALU_DEP_2) | instskip(SKIP_1) | instid1(VALU_DEP_2)
	v_cndmask_b32_e64 v26, v24, v28, s4
	v_add_f64 v[24:25], v[24:25], -v[28:29]
	v_mul_f64 v[30:31], v[26:27], s[52:53]
	v_cmp_lt_f64_e64 s4, 0x40900000, v[26:27]
	v_cmp_neq_f64_e64 s5, 0x7ff00000, |v[26:27]|
	v_cmp_ngt_f64_e64 s6, 0xc090cc00, v[26:27]
	v_add_f64 v[22:23], v[22:23], -v[24:25]
	v_mul_f64 v[24:25], v[11:12], 0.5
	v_rndne_f64_e32 v[30:31], v[30:31]
	s_delay_alu instid0(VALU_DEP_3) | instskip(NEXT) | instid1(VALU_DEP_4)
	v_cndmask_b32_e64 v23, 0, v23, s5
	v_cndmask_b32_e64 v22, 0, v22, s5
	s_delay_alu instid0(VALU_DEP_3) | instskip(SKIP_1) | instid1(VALU_DEP_2)
	v_fma_f64 v[32:33], v[30:31], s[74:75], v[26:27]
	v_cvt_i32_f64_e32 v2, v[30:31]
	v_fma_f64 v[32:33], v[30:31], s[76:77], v[32:33]
	s_delay_alu instid0(VALU_DEP_1) | instskip(NEXT) | instid1(VALU_DEP_1)
	v_fma_f64 v[34:35], v[32:33], s[56:57], s[54:55]
	v_fma_f64 v[34:35], v[32:33], v[34:35], s[58:59]
	s_delay_alu instid0(VALU_DEP_1) | instskip(NEXT) | instid1(VALU_DEP_1)
	v_fma_f64 v[34:35], v[32:33], v[34:35], s[60:61]
	;; [unrolled: 3-line block ×5, first 2 shown]
	v_fma_f64 v[34:35], v[32:33], v[34:35], 1.0
	s_delay_alu instid0(VALU_DEP_1) | instskip(SKIP_1) | instid1(VALU_DEP_2)
	v_fma_f64 v[30:31], v[32:33], v[34:35], 1.0
	v_cndmask_b32_e64 v32, s81, v21, s3
	v_ldexp_f64 v[28:29], v[30:31], v2
	s_delay_alu instid0(VALU_DEP_1) | instskip(SKIP_1) | instid1(VALU_DEP_3)
	v_cndmask_b32_e64 v30, v29, 0x7ff00000, s4
	v_and_b32_e32 v29, 0x7fffffff, v29
	v_cndmask_b32_e64 v2, v28, 0, s4
	s_delay_alu instid0(VALU_DEP_3) | instskip(NEXT) | instid1(VALU_DEP_3)
	v_cndmask_b32_e64 v27, 0, v30, s6
	v_cmp_eq_f64_e64 s5, 0x7ff00000, v[28:29]
	v_trunc_f64_e32 v[28:29], v[24:25]
	v_trunc_f64_e32 v[30:31], v[11:12]
	v_cndmask_b32_e64 v26, 0, v2, s6
	s_delay_alu instid0(VALU_DEP_1) | instskip(SKIP_1) | instid1(VALU_DEP_4)
	v_fma_f64 v[22:23], v[26:27], v[22:23], v[26:27]
	s_or_b32 s5, s4, s5
	v_cmp_neq_f64_e64 s4, v[28:29], v[24:25]
	s_and_b32 s5, s6, s5
	s_delay_alu instid0(VALU_DEP_4) | instskip(SKIP_1) | instid1(VALU_DEP_4)
	v_cmp_eq_f64_e64 s6, v[30:31], v[11:12]
	v_cndmask_b32_e64 v31, s22, 0, s3
	v_cndmask_b32_e64 v2, v22, v26, s5
	s_delay_alu instid0(VALU_DEP_2)
	v_cmp_neq_f64_e64 s3, v[11:12], v[31:32]
	v_cndmask_b32_e64 v22, v23, v27, s5
	v_cmp_gt_f64_e64 s5, 0, v[11:12]
	s_and_b32 s4, s6, s4
	v_cndmask_b32_e64 v23, 0, v2, s6
	v_cndmask_b32_e64 v24, 0x3ff00000, v10, s4
	s_xor_b32 s2, s3, s7
	s_delay_alu instid0(VALU_DEP_1)
	v_bfi_b32 v22, 0x7fffffff, v22, v24
	v_cndmask_b32_e64 v24, v31, 0, s2
	v_cndmask_b32_e64 v25, v32, 0, s2
	v_cmp_eq_f64_e64 s2, 1.0, v[13:14]
	v_cmp_gt_f64_e64 s3, 0, v[9:10]
	v_cndmask_b32_e64 v26, 0x7ff80000, v22, s6
	v_cmp_eq_f64_e64 s6, 0, v[9:10]
	s_delay_alu instid0(VALU_DEP_4)
	v_cndmask_b32_e64 v25, v25, v14, s2
	v_cndmask_b32_e64 v24, v24, v13, s2
	v_cmp_eq_f64_e64 s2, 0x7ff00000, v[31:32]
	v_cndmask_b32_e64 v22, v22, v26, s3
	v_cndmask_b32_e64 v2, v2, v23, s3
	v_cmp_eq_f64_e64 s3, 0x7ff00000, v[13:14]
	s_xor_b32 s5, s5, s6
	v_cndmask_b32_e64 v14, 0, v10, s4
	v_cndmask_b32_e64 v13, 0x7ff00000, 0, s5
	s_delay_alu instid0(VALU_DEP_1)
	v_bfi_b32 v13, 0x7fffffff, v13, v14
	v_cndmask_b32_e64 v2, v2, v24, s2
	v_cndmask_b32_e64 v14, v22, v25, s2
	s_or_b32 s2, s3, s6
	s_delay_alu instid0(VALU_DEP_2) | instid1(SALU_CYCLE_1)
	v_cndmask_b32_e64 v2, v2, 0, s2
	s_delay_alu instid0(VALU_DEP_2) | instskip(SKIP_1) | instid1(VALU_DEP_1)
	v_cndmask_b32_e64 v13, v14, v13, s2
	v_cmp_o_f64_e64 s2, v[9:10], v[11:12]
	v_cndmask_b32_e64 v9, 0, v2, s2
	s_delay_alu instid0(VALU_DEP_3) | instskip(SKIP_1) | instid1(VALU_DEP_1)
	v_cndmask_b32_e64 v10, 0x7ff80000, v13, s2
	v_add_co_u32 v11, s2, v3, s80
	v_add_co_ci_u32_e64 v12, s2, 0, v4, s2
	global_store_b64 v[11:12], v[9:10], off
	s_or_b32 exec_lo, exec_lo, s8
	s_and_saveexec_b32 s7, vcc_lo
	s_cbranch_execz .LBB77_3
.LBB77_19:                              ;   in Loop: Header=BB77_4 Depth=1
	s_waitcnt vmcnt(0)
	v_cmp_eq_f64_e64 s2, 1.0, v[7:8]
	v_and_b32_e32 v2, 0x7fffffff, v8
	s_mov_b32 s50, s18
	s_mov_b32 s74, s20
	;; [unrolled: 1-line block ×3, first 2 shown]
	s_delay_alu instid0(VALU_DEP_2) | instskip(SKIP_1) | instid1(VALU_DEP_1)
	v_cndmask_b32_e64 v10, s23, v21, s2
	v_cndmask_b32_e64 v9, s22, 0, s2
	v_cmp_eq_f64_e32 vcc_lo, 0, v[9:10]
	v_cndmask_b32_e64 v12, v2, 0x3ff00000, vcc_lo
	v_cndmask_b32_e64 v11, v7, 0, vcc_lo
	;; [unrolled: 1-line block ×4, first 2 shown]
	s_delay_alu instid0(VALU_DEP_3) | instskip(SKIP_2) | instid1(VALU_DEP_3)
	v_frexp_mant_f64_e32 v[13:14], v[11:12]
	v_cmp_gt_f64_e64 s6, 1.0, v[11:12]
	v_cmp_eq_f64_e32 vcc_lo, 1.0, v[11:12]
	v_cmp_gt_f64_e64 s3, s[18:19], v[13:14]
	s_delay_alu instid0(VALU_DEP_1) | instskip(NEXT) | instid1(VALU_DEP_1)
	v_cndmask_b32_e64 v2, 0x3ff00000, 2.0, s3
	v_mul_f64 v[13:14], v[13:14], v[1:2]
	v_frexp_exp_i32_f64_e32 v2, v[11:12]
	s_delay_alu instid0(VALU_DEP_2) | instskip(SKIP_1) | instid1(VALU_DEP_3)
	v_add_f64 v[22:23], v[13:14], 1.0
	v_add_f64 v[28:29], v[13:14], -1.0
	v_subrev_co_ci_u32_e64 v2, s3, 0, v2, s3
	s_delay_alu instid0(VALU_DEP_3) | instskip(SKIP_1) | instid1(VALU_DEP_1)
	v_rcp_f64_e32 v[24:25], v[22:23]
	v_add_f64 v[30:31], v[22:23], -1.0
	v_add_f64 v[13:14], v[13:14], -v[30:31]
	s_waitcnt_depctr 0xfff
	v_fma_f64 v[26:27], -v[22:23], v[24:25], 1.0
	s_delay_alu instid0(VALU_DEP_1) | instskip(NEXT) | instid1(VALU_DEP_1)
	v_fma_f64 v[24:25], v[26:27], v[24:25], v[24:25]
	v_fma_f64 v[26:27], -v[22:23], v[24:25], 1.0
	s_delay_alu instid0(VALU_DEP_1) | instskip(NEXT) | instid1(VALU_DEP_1)
	v_fma_f64 v[24:25], v[26:27], v[24:25], v[24:25]
	v_mul_f64 v[26:27], v[28:29], v[24:25]
	s_delay_alu instid0(VALU_DEP_1) | instskip(NEXT) | instid1(VALU_DEP_1)
	v_mul_f64 v[32:33], v[22:23], v[26:27]
	v_fma_f64 v[22:23], v[26:27], v[22:23], -v[32:33]
	s_delay_alu instid0(VALU_DEP_1) | instskip(NEXT) | instid1(VALU_DEP_1)
	v_fma_f64 v[13:14], v[26:27], v[13:14], v[22:23]
	v_add_f64 v[22:23], v[32:33], v[13:14]
	s_delay_alu instid0(VALU_DEP_1) | instskip(SKIP_1) | instid1(VALU_DEP_2)
	v_add_f64 v[30:31], v[28:29], -v[22:23]
	v_add_f64 v[32:33], v[22:23], -v[32:33]
	;; [unrolled: 1-line block ×3, first 2 shown]
	s_delay_alu instid0(VALU_DEP_2) | instskip(NEXT) | instid1(VALU_DEP_2)
	v_add_f64 v[13:14], v[32:33], -v[13:14]
	v_add_f64 v[22:23], v[28:29], -v[22:23]
	s_delay_alu instid0(VALU_DEP_1) | instskip(NEXT) | instid1(VALU_DEP_1)
	v_add_f64 v[13:14], v[13:14], v[22:23]
	v_add_f64 v[13:14], v[30:31], v[13:14]
	s_delay_alu instid0(VALU_DEP_1) | instskip(NEXT) | instid1(VALU_DEP_1)
	v_mul_f64 v[13:14], v[24:25], v[13:14]
	v_add_f64 v[22:23], v[26:27], v[13:14]
	s_delay_alu instid0(VALU_DEP_1) | instskip(SKIP_1) | instid1(VALU_DEP_2)
	v_add_f64 v[24:25], v[22:23], -v[26:27]
	v_mul_f64 v[26:27], v[22:23], v[22:23]
	v_add_f64 v[13:14], v[13:14], -v[24:25]
	s_delay_alu instid0(VALU_DEP_2) | instskip(NEXT) | instid1(VALU_DEP_2)
	v_fma_f64 v[24:25], v[22:23], v[22:23], -v[26:27]
	v_add_f64 v[28:29], v[13:14], v[13:14]
	s_delay_alu instid0(VALU_DEP_1) | instskip(NEXT) | instid1(VALU_DEP_1)
	v_fma_f64 v[24:25], v[22:23], v[28:29], v[24:25]
	v_add_f64 v[28:29], v[26:27], v[24:25]
	s_delay_alu instid0(VALU_DEP_1) | instskip(SKIP_2) | instid1(VALU_DEP_3)
	v_fma_f64 v[30:31], v[28:29], s[30:31], s[28:29]
	v_add_f64 v[26:27], v[28:29], -v[26:27]
	v_mul_f64 v[36:37], v[22:23], v[28:29]
	v_fma_f64 v[30:31], v[28:29], v[30:31], s[34:35]
	s_delay_alu instid0(VALU_DEP_3) | instskip(NEXT) | instid1(VALU_DEP_2)
	v_add_f64 v[24:25], v[24:25], -v[26:27]
	v_fma_f64 v[30:31], v[28:29], v[30:31], s[36:37]
	s_delay_alu instid0(VALU_DEP_1) | instskip(NEXT) | instid1(VALU_DEP_1)
	v_fma_f64 v[30:31], v[28:29], v[30:31], s[38:39]
	v_fma_f64 v[30:31], v[28:29], v[30:31], s[40:41]
	s_delay_alu instid0(VALU_DEP_1) | instskip(NEXT) | instid1(VALU_DEP_1)
	v_fma_f64 v[30:31], v[28:29], v[30:31], s[42:43]
	;; [unrolled: 3-line block ×3, first 2 shown]
	v_mul_f64 v[32:33], v[28:29], v[30:31]
	s_delay_alu instid0(VALU_DEP_1) | instskip(NEXT) | instid1(VALU_DEP_1)
	v_fma_f64 v[26:27], v[28:29], v[30:31], -v[32:33]
	v_fma_f64 v[26:27], v[24:25], v[30:31], v[26:27]
	s_delay_alu instid0(VALU_DEP_1) | instskip(NEXT) | instid1(VALU_DEP_1)
	v_add_f64 v[30:31], v[32:33], v[26:27]
	v_add_f64 v[34:35], v[30:31], s[18:19]
	v_add_f64 v[32:33], v[30:31], -v[32:33]
	s_delay_alu instid0(VALU_DEP_2) | instskip(NEXT) | instid1(VALU_DEP_2)
	v_add_f64 v[38:39], v[34:35], s[50:51]
	v_add_f64 v[26:27], v[26:27], -v[32:33]
	v_fma_f64 v[32:33], v[28:29], v[22:23], -v[36:37]
	s_delay_alu instid0(VALU_DEP_3) | instskip(NEXT) | instid1(VALU_DEP_3)
	v_add_f64 v[30:31], v[30:31], -v[38:39]
	v_add_f64 v[26:27], v[26:27], s[48:49]
	s_delay_alu instid0(VALU_DEP_3) | instskip(SKIP_1) | instid1(VALU_DEP_3)
	v_fma_f64 v[28:29], v[28:29], v[13:14], v[32:33]
	v_ldexp_f64 v[13:14], v[13:14], 1
	v_add_f64 v[26:27], v[26:27], v[30:31]
	s_delay_alu instid0(VALU_DEP_3) | instskip(SKIP_1) | instid1(VALU_DEP_3)
	v_fma_f64 v[24:25], v[24:25], v[22:23], v[28:29]
	v_ldexp_f64 v[22:23], v[22:23], 1
	v_add_f64 v[28:29], v[34:35], v[26:27]
	s_delay_alu instid0(VALU_DEP_3) | instskip(NEXT) | instid1(VALU_DEP_2)
	v_add_f64 v[30:31], v[36:37], v[24:25]
	v_add_f64 v[32:33], v[34:35], -v[28:29]
	s_delay_alu instid0(VALU_DEP_2) | instskip(SKIP_1) | instid1(VALU_DEP_3)
	v_mul_f64 v[34:35], v[30:31], v[28:29]
	v_add_f64 v[36:37], v[30:31], -v[36:37]
	v_add_f64 v[26:27], v[26:27], v[32:33]
	s_delay_alu instid0(VALU_DEP_3) | instskip(NEXT) | instid1(VALU_DEP_3)
	v_fma_f64 v[32:33], v[30:31], v[28:29], -v[34:35]
	v_add_f64 v[24:25], v[24:25], -v[36:37]
	s_delay_alu instid0(VALU_DEP_2) | instskip(NEXT) | instid1(VALU_DEP_1)
	v_fma_f64 v[26:27], v[30:31], v[26:27], v[32:33]
	v_fma_f64 v[24:25], v[24:25], v[28:29], v[26:27]
	v_cvt_f64_i32_e32 v[28:29], v2
	s_delay_alu instid0(VALU_DEP_2) | instskip(NEXT) | instid1(VALU_DEP_1)
	v_add_f64 v[26:27], v[34:35], v[24:25]
	v_add_f64 v[30:31], v[22:23], v[26:27]
	v_add_f64 v[32:33], v[26:27], -v[34:35]
	s_delay_alu instid0(VALU_DEP_4) | instskip(NEXT) | instid1(VALU_DEP_3)
	v_mul_f64 v[34:35], v[28:29], s[20:21]
	v_add_f64 v[22:23], v[30:31], -v[22:23]
	s_delay_alu instid0(VALU_DEP_3) | instskip(NEXT) | instid1(VALU_DEP_3)
	v_add_f64 v[24:25], v[24:25], -v[32:33]
	v_fma_f64 v[32:33], v[28:29], s[20:21], -v[34:35]
	s_delay_alu instid0(VALU_DEP_3) | instskip(NEXT) | instid1(VALU_DEP_3)
	v_add_f64 v[22:23], v[26:27], -v[22:23]
	v_add_f64 v[13:14], v[13:14], v[24:25]
	s_delay_alu instid0(VALU_DEP_3) | instskip(NEXT) | instid1(VALU_DEP_2)
	v_fma_f64 v[24:25], v[28:29], s[26:27], v[32:33]
	v_add_f64 v[13:14], v[13:14], v[22:23]
	s_delay_alu instid0(VALU_DEP_2) | instskip(NEXT) | instid1(VALU_DEP_2)
	v_add_f64 v[22:23], v[34:35], v[24:25]
	v_add_f64 v[26:27], v[30:31], v[13:14]
	s_delay_alu instid0(VALU_DEP_2) | instskip(NEXT) | instid1(VALU_DEP_2)
	v_add_f64 v[34:35], v[22:23], -v[34:35]
	v_add_f64 v[28:29], v[22:23], v[26:27]
	v_add_f64 v[30:31], v[26:27], -v[30:31]
	s_delay_alu instid0(VALU_DEP_3) | instskip(NEXT) | instid1(VALU_DEP_3)
	v_add_f64 v[24:25], v[24:25], -v[34:35]
	v_add_f64 v[32:33], v[28:29], -v[22:23]
	s_delay_alu instid0(VALU_DEP_3) | instskip(NEXT) | instid1(VALU_DEP_2)
	v_add_f64 v[13:14], v[13:14], -v[30:31]
	v_add_f64 v[36:37], v[28:29], -v[32:33]
	;; [unrolled: 1-line block ×3, first 2 shown]
	s_delay_alu instid0(VALU_DEP_3) | instskip(NEXT) | instid1(VALU_DEP_3)
	v_add_f64 v[30:31], v[24:25], v[13:14]
	v_add_f64 v[22:23], v[22:23], -v[36:37]
	s_delay_alu instid0(VALU_DEP_1) | instskip(NEXT) | instid1(VALU_DEP_3)
	v_add_f64 v[22:23], v[26:27], v[22:23]
	v_add_f64 v[26:27], v[30:31], -v[24:25]
	s_delay_alu instid0(VALU_DEP_2) | instskip(NEXT) | instid1(VALU_DEP_2)
	v_add_f64 v[22:23], v[30:31], v[22:23]
	v_add_f64 v[30:31], v[30:31], -v[26:27]
	v_add_f64 v[13:14], v[13:14], -v[26:27]
	s_delay_alu instid0(VALU_DEP_3) | instskip(NEXT) | instid1(VALU_DEP_3)
	v_add_f64 v[32:33], v[28:29], v[22:23]
	v_add_f64 v[24:25], v[24:25], -v[30:31]
	s_delay_alu instid0(VALU_DEP_2) | instskip(NEXT) | instid1(VALU_DEP_2)
	v_add_f64 v[26:27], v[32:33], -v[28:29]
	v_add_f64 v[13:14], v[13:14], v[24:25]
	s_delay_alu instid0(VALU_DEP_2) | instskip(NEXT) | instid1(VALU_DEP_1)
	v_add_f64 v[22:23], v[22:23], -v[26:27]
	v_add_f64 v[13:14], v[13:14], v[22:23]
	s_delay_alu instid0(VALU_DEP_1) | instskip(NEXT) | instid1(VALU_DEP_1)
	v_add_f64 v[22:23], v[32:33], v[13:14]
	v_add_f64 v[24:25], v[22:23], -v[32:33]
	v_mul_f64 v[26:27], v[9:10], v[22:23]
	s_delay_alu instid0(VALU_DEP_2) | instskip(NEXT) | instid1(VALU_DEP_2)
	v_add_f64 v[13:14], v[13:14], -v[24:25]
	v_fma_f64 v[22:23], v[9:10], v[22:23], -v[26:27]
	v_cmp_class_f64_e64 s3, v[26:27], 0x204
	s_delay_alu instid0(VALU_DEP_2) | instskip(NEXT) | instid1(VALU_DEP_1)
	v_fma_f64 v[13:14], v[9:10], v[13:14], v[22:23]
	v_add_f64 v[22:23], v[26:27], v[13:14]
	s_delay_alu instid0(VALU_DEP_1) | instskip(NEXT) | instid1(VALU_DEP_2)
	v_cndmask_b32_e64 v25, v23, v27, s3
	v_cndmask_b32_e64 v24, v22, v26, s3
	v_add_f64 v[22:23], v[22:23], -v[26:27]
	s_delay_alu instid0(VALU_DEP_2)
	v_mul_f64 v[28:29], v[24:25], s[52:53]
	v_cmp_lt_f64_e64 s3, 0x40900000, v[24:25]
	v_cmp_neq_f64_e64 s4, 0x7ff00000, |v[24:25]|
	v_cmp_ngt_f64_e64 s5, 0xc090cc00, v[24:25]
	v_add_f64 v[13:14], v[13:14], -v[22:23]
	v_mul_f64 v[22:23], v[9:10], 0.5
	v_rndne_f64_e32 v[28:29], v[28:29]
	s_delay_alu instid0(VALU_DEP_3) | instskip(NEXT) | instid1(VALU_DEP_4)
	v_cndmask_b32_e64 v14, 0, v14, s4
	v_cndmask_b32_e64 v13, 0, v13, s4
	s_delay_alu instid0(VALU_DEP_3) | instskip(SKIP_1) | instid1(VALU_DEP_2)
	v_fma_f64 v[30:31], v[28:29], s[74:75], v[24:25]
	v_cvt_i32_f64_e32 v2, v[28:29]
	v_fma_f64 v[30:31], v[28:29], s[76:77], v[30:31]
	s_delay_alu instid0(VALU_DEP_1) | instskip(NEXT) | instid1(VALU_DEP_1)
	v_fma_f64 v[32:33], v[30:31], s[56:57], s[54:55]
	v_fma_f64 v[32:33], v[30:31], v[32:33], s[58:59]
	s_delay_alu instid0(VALU_DEP_1) | instskip(NEXT) | instid1(VALU_DEP_1)
	v_fma_f64 v[32:33], v[30:31], v[32:33], s[60:61]
	;; [unrolled: 3-line block ×5, first 2 shown]
	v_fma_f64 v[32:33], v[30:31], v[32:33], 1.0
	s_delay_alu instid0(VALU_DEP_1) | instskip(SKIP_1) | instid1(VALU_DEP_2)
	v_fma_f64 v[28:29], v[30:31], v[32:33], 1.0
	v_cndmask_b32_e64 v30, s81, v21, s2
	v_ldexp_f64 v[26:27], v[28:29], v2
	s_delay_alu instid0(VALU_DEP_1) | instskip(SKIP_1) | instid1(VALU_DEP_3)
	v_cndmask_b32_e64 v28, v27, 0x7ff00000, s3
	v_and_b32_e32 v27, 0x7fffffff, v27
	v_cndmask_b32_e64 v2, v26, 0, s3
	s_delay_alu instid0(VALU_DEP_3) | instskip(NEXT) | instid1(VALU_DEP_3)
	v_cndmask_b32_e64 v25, 0, v28, s5
	v_cmp_eq_f64_e64 s4, 0x7ff00000, v[26:27]
	v_trunc_f64_e32 v[26:27], v[22:23]
	v_trunc_f64_e32 v[28:29], v[9:10]
	v_cndmask_b32_e64 v24, 0, v2, s5
	s_delay_alu instid0(VALU_DEP_1) | instskip(SKIP_1) | instid1(VALU_DEP_4)
	v_fma_f64 v[13:14], v[24:25], v[13:14], v[24:25]
	s_or_b32 s4, s3, s4
	v_cmp_neq_f64_e64 s3, v[26:27], v[22:23]
	s_and_b32 s4, s5, s4
	s_delay_alu instid0(VALU_DEP_4) | instskip(SKIP_1) | instid1(VALU_DEP_4)
	v_cmp_eq_f64_e64 s5, v[28:29], v[9:10]
	v_cndmask_b32_e64 v29, s22, 0, s2
	v_cndmask_b32_e64 v2, v13, v24, s4
	s_delay_alu instid0(VALU_DEP_2)
	v_cmp_neq_f64_e64 s2, v[9:10], v[29:30]
	v_cndmask_b32_e64 v13, v14, v25, s4
	v_cmp_gt_f64_e64 s4, 0, v[9:10]
	s_and_b32 s3, s5, s3
	v_cndmask_b32_e64 v14, 0, v2, s5
	v_cndmask_b32_e64 v22, 0x3ff00000, v8, s3
	s_xor_b32 s2, s2, s6
	s_delay_alu instid0(VALU_DEP_1) | instskip(SKIP_3) | instid1(VALU_DEP_4)
	v_bfi_b32 v13, 0x7fffffff, v13, v22
	v_cndmask_b32_e64 v22, v29, 0, s2
	v_cndmask_b32_e64 v23, v30, 0, s2
	v_cmp_gt_f64_e64 s2, 0, v[7:8]
	v_cndmask_b32_e64 v24, 0x7ff80000, v13, s5
	v_cmp_eq_f64_e64 s5, 0, v[7:8]
	s_delay_alu instid0(VALU_DEP_4) | instskip(SKIP_1) | instid1(VALU_DEP_4)
	v_dual_cndmask_b32 v23, v23, v12 :: v_dual_cndmask_b32 v22, v22, v11
	v_cmp_eq_f64_e32 vcc_lo, 0x7ff00000, v[29:30]
	v_cndmask_b32_e64 v13, v13, v24, s2
	v_cndmask_b32_e64 v2, v2, v14, s2
	v_cmp_eq_f64_e64 s2, 0x7ff00000, v[11:12]
	s_xor_b32 s4, s4, s5
	v_cndmask_b32_e64 v12, 0, v8, s3
	v_cndmask_b32_e64 v11, 0x7ff00000, 0, s4
	v_cndmask_b32_e32 v2, v2, v22, vcc_lo
	s_delay_alu instid0(VALU_DEP_2) | instskip(SKIP_2) | instid1(VALU_DEP_1)
	v_bfi_b32 v11, 0x7fffffff, v11, v12
	v_cndmask_b32_e32 v12, v13, v23, vcc_lo
	s_or_b32 vcc_lo, s2, s5
	v_cndmask_b32_e32 v11, v12, v11, vcc_lo
	v_cndmask_b32_e64 v2, v2, 0, vcc_lo
	v_cmp_o_f64_e32 vcc_lo, v[7:8], v[9:10]
	s_delay_alu instid0(VALU_DEP_2) | instskip(NEXT) | instid1(VALU_DEP_4)
	v_cndmask_b32_e32 v7, 0, v2, vcc_lo
	v_cndmask_b32_e32 v8, 0x7ff80000, v11, vcc_lo
	v_add_co_u32 v9, vcc_lo, v3, s78
	v_add_co_ci_u32_e32 v10, vcc_lo, 0, v4, vcc_lo
	global_store_b64 v[9:10], v[7:8], off
	s_branch .LBB77_3
.LBB77_20:
	s_cbranch_execz .LBB77_22
	s_branch .LBB77_25
.LBB77_21:
.LBB77_22:
	s_waitcnt vmcnt(0)
	v_dual_mov_b32 v8, 0 :: v_dual_lshlrev_b32 v1, 2, v0
	s_mov_b32 s21, 0
	s_mov_b32 s2, exec_lo
	s_delay_alu instid0(VALU_DEP_1) | instskip(NEXT) | instid1(VALU_DEP_1)
	v_mov_b32_e32 v2, v8
	v_cmpx_gt_i64_e64 s[24:25], v[1:2]
	s_cbranch_execz .LBB77_25
; %bb.23:
	s_load_b32 s0, s[0:1], 0xf54
	v_lshlrev_b32_e32 v1, 5, v0
	v_dual_mov_b32 v11, v8 :: v_dual_mov_b32 v30, 0x3ff00000
	s_mov_b32 s26, 0x55555555
	s_mov_b32 s28, 0x968915a9
	;; [unrolled: 1-line block ×16, first 2 shown]
	s_waitcnt lgkmcnt(0)
	s_and_b32 s0, s0, 0xffff
	s_mov_b32 s64, 0x623fde64
	s_lshl_b32 s33, s0, 2
	s_add_u32 s1, s10, s12
	v_add_lshl_u32 v10, v0, s0, 2
	s_addc_u32 s2, s11, s13
	v_add_co_u32 v0, s1, s1, v1
	s_delay_alu instid0(VALU_DEP_1) | instskip(SKIP_1) | instid1(VALU_DEP_2)
	v_add_co_ci_u32_e64 v1, null, s2, 0, s1
	s_mov_b32 s66, 0x7c89e6b0
	v_add_co_u32 v12, vcc_lo, v0, 16
	s_delay_alu instid0(VALU_DEP_2)
	v_add_co_ci_u32_e32 v13, vcc_lo, 0, v1, vcc_lo
	s_mov_b32 s68, 0x14761f6e
	s_mov_b32 s70, 0x1852b7b0
	;; [unrolled: 1-line block ×13, first 2 shown]
	s_lshl_b32 s82, s0, 5
	s_mov_b32 s43, 0x3fcc71c7
	s_mov_b32 s45, 0x3fd24924
	;; [unrolled: 1-line block ×23, first 2 shown]
	s_and_b32 s83, s23, 0x7fffffff
.LBB77_24:                              ; =>This Inner Loop Header: Depth=1
	s_clause 0x1
	global_load_b128 v[4:7], v[12:13], off offset:-16
	global_load_b128 v[0:3], v[12:13], off
	s_waitcnt vmcnt(1)
	v_cmp_eq_f64_e32 vcc_lo, 1.0, v[4:5]
	v_cmp_eq_f64_e64 s0, 1.0, v[6:7]
	v_and_b32_e32 v20, 0x7fffffff, v7
	s_waitcnt vmcnt(0)
	v_cmp_eq_f64_e64 s1, 1.0, v[0:1]
	v_cmp_eq_f64_e64 s2, 1.0, v[2:3]
	v_cndmask_b32_e32 v17, s23, v30, vcc_lo
	v_cndmask_b32_e64 v16, s22, 0, vcc_lo
	v_cndmask_b32_e64 v15, s23, v30, s0
	v_cndmask_b32_e64 v14, s22, 0, s0
	;; [unrolled: 1-line block ×3, first 2 shown]
	s_delay_alu instid0(VALU_DEP_4) | instskip(NEXT) | instid1(VALU_DEP_3)
	v_cmp_eq_f64_e64 s3, 0, v[16:17]
	v_cmp_eq_f64_e64 s4, 0, v[14:15]
	s_delay_alu instid0(VALU_DEP_2) | instskip(NEXT) | instid1(VALU_DEP_2)
	v_cndmask_b32_e64 v4, v4, 0, s3
	v_cndmask_b32_e64 v18, v6, 0, s4
	v_and_b32_e32 v9, 0x7fffffff, v5
	v_cndmask_b32_e64 v25, v20, 0x3ff00000, s4
	s_delay_alu instid0(VALU_DEP_4)
	v_mov_b32_e32 v22, v4
	v_cndmask_b32_e64 v19, v7, 0x3ff00000, s4
	v_mov_b32_e32 v24, v18
	v_cndmask_b32_e64 v23, v9, 0x3ff00000, s3
	v_cndmask_b32_e64 v5, v5, 0x3ff00000, s3
	;; [unrolled: 1-line block ×4, first 2 shown]
	v_frexp_mant_f64_e32 v[28:29], v[24:25]
	v_frexp_mant_f64_e32 v[26:27], v[22:23]
	v_cndmask_b32_e64 v6, s22, 0, s2
	v_cmp_eq_f64_e64 s5, 0, v[20:21]
	s_delay_alu instid0(VALU_DEP_2) | instskip(SKIP_2) | instid1(VALU_DEP_4)
	v_cmp_eq_f64_e64 s6, 0, v[6:7]
	v_cmp_gt_f64_e64 s3, s[26:27], v[28:29]
	v_cmp_gt_f64_e64 s4, s[26:27], v[26:27]
	v_cndmask_b32_e64 v0, v0, 0, s5
	s_delay_alu instid0(VALU_DEP_4) | instskip(NEXT) | instid1(VALU_DEP_3)
	v_cndmask_b32_e64 v2, v2, 0, s6
	v_cndmask_b32_e64 v9, 0x3ff00000, 2.0, s4
	s_delay_alu instid0(VALU_DEP_1) | instskip(SKIP_2) | instid1(VALU_DEP_2)
	v_mul_f64 v[31:32], v[26:27], v[8:9]
	v_cndmask_b32_e64 v9, 0x3ff00000, 2.0, s3
	v_mov_b32_e32 v26, v0
	v_mul_f64 v[33:34], v[28:29], v[8:9]
	v_and_b32_e32 v9, 0x7fffffff, v1
	v_and_b32_e32 v28, 0x7fffffff, v3
	v_cndmask_b32_e64 v1, v1, 0x3ff00000, s5
	v_cndmask_b32_e64 v3, v3, 0x3ff00000, s6
	s_delay_alu instid0(VALU_DEP_4) | instskip(NEXT) | instid1(VALU_DEP_4)
	v_cndmask_b32_e64 v27, v9, 0x3ff00000, s5
	v_cndmask_b32_e64 v29, v28, 0x3ff00000, s6
	v_mov_b32_e32 v28, v2
	s_delay_alu instid0(VALU_DEP_3) | instskip(SKIP_1) | instid1(VALU_DEP_3)
	v_frexp_mant_f64_e32 v[35:36], v[26:27]
	v_cmp_gt_f64_e64 s16, 1.0, v[26:27]
	v_frexp_mant_f64_e32 v[37:38], v[28:29]
	v_cmp_gt_f64_e64 s18, 1.0, v[28:29]
	v_add_f64 v[39:40], v[31:32], 1.0
	v_add_f64 v[41:42], v[33:34], 1.0
	v_cmp_gt_f64_e64 s5, s[26:27], v[35:36]
	v_cmp_gt_f64_e64 s6, s[26:27], v[37:38]
	s_delay_alu instid0(VALU_DEP_4) | instskip(NEXT) | instid1(VALU_DEP_3)
	v_rcp_f64_e32 v[43:44], v[39:40]
	v_rcp_f64_e32 v[45:46], v[41:42]
	v_add_f64 v[73:74], v[41:42], -1.0
	s_delay_alu instid0(VALU_DEP_3) | instskip(NEXT) | instid1(VALU_DEP_1)
	v_cndmask_b32_e64 v9, 0x3ff00000, 2.0, s5
	v_mul_f64 v[35:36], v[35:36], v[8:9]
	s_delay_alu instid0(VALU_DEP_4) | instskip(NEXT) | instid1(VALU_DEP_1)
	v_cndmask_b32_e64 v9, 0x3ff00000, 2.0, s6
	v_mul_f64 v[37:38], v[37:38], v[8:9]
	v_frexp_exp_i32_f64_e32 v9, v[22:23]
	s_delay_alu instid0(TRANS32_DEP_2) | instskip(NEXT) | instid1(TRANS32_DEP_1)
	v_fma_f64 v[49:50], -v[39:40], v[43:44], 1.0
	v_fma_f64 v[53:54], -v[41:42], v[45:46], 1.0
	v_add_f64 v[47:48], v[35:36], 1.0
	v_add_f64 v[67:68], v[35:36], -1.0
	v_add_f64 v[51:52], v[37:38], 1.0
	v_add_f64 v[69:70], v[37:38], -1.0
	v_subrev_co_ci_u32_e64 v9, s4, 0, v9, s4
	v_fma_f64 v[43:44], v[49:50], v[43:44], v[43:44]
	v_fma_f64 v[45:46], v[53:54], v[45:46], v[45:46]
	v_rcp_f64_e32 v[55:56], v[47:48]
	v_rcp_f64_e32 v[49:50], v[51:52]
	s_delay_alu instid0(VALU_DEP_2) | instskip(NEXT) | instid1(VALU_DEP_2)
	v_fma_f64 v[57:58], -v[39:40], v[43:44], 1.0
	v_fma_f64 v[59:60], -v[41:42], v[45:46], 1.0
	s_waitcnt_depctr 0xfff
	v_fma_f64 v[53:54], -v[47:48], v[55:56], 1.0
	v_fma_f64 v[61:62], -v[51:52], v[49:50], 1.0
	v_fma_f64 v[43:44], v[57:58], v[43:44], v[43:44]
	v_add_f64 v[57:58], v[33:34], -1.0
	v_add_f64 v[33:34], v[33:34], -v[73:74]
	v_add_f64 v[73:74], v[47:48], -1.0
	v_fma_f64 v[45:46], v[59:60], v[45:46], v[45:46]
	v_fma_f64 v[53:54], v[53:54], v[55:56], v[55:56]
	v_add_f64 v[55:56], v[31:32], -1.0
	v_fma_f64 v[49:50], v[61:62], v[49:50], v[49:50]
	v_add_f64 v[35:36], v[35:36], -v[73:74]
	v_mul_f64 v[63:64], v[57:58], v[45:46]
	v_fma_f64 v[59:60], -v[47:48], v[53:54], 1.0
	v_mul_f64 v[61:62], v[55:56], v[43:44]
	v_fma_f64 v[65:66], -v[51:52], v[49:50], 1.0
	s_delay_alu instid0(VALU_DEP_4) | instskip(NEXT) | instid1(VALU_DEP_4)
	v_mul_f64 v[75:76], v[41:42], v[63:64]
	v_fma_f64 v[53:54], v[59:60], v[53:54], v[53:54]
	v_add_f64 v[59:60], v[39:40], -1.0
	v_mul_f64 v[71:72], v[39:40], v[61:62]
	v_fma_f64 v[49:50], v[65:66], v[49:50], v[49:50]
	v_fma_f64 v[41:42], v[63:64], v[41:42], -v[75:76]
	v_mul_f64 v[65:66], v[67:68], v[53:54]
	v_add_f64 v[31:32], v[31:32], -v[59:60]
	v_fma_f64 v[39:40], v[61:62], v[39:40], -v[71:72]
	v_mul_f64 v[59:60], v[69:70], v[49:50]
	v_fma_f64 v[33:34], v[63:64], v[33:34], v[41:42]
	v_mul_f64 v[77:78], v[47:48], v[65:66]
	s_delay_alu instid0(VALU_DEP_4) | instskip(SKIP_2) | instid1(VALU_DEP_4)
	v_fma_f64 v[31:32], v[61:62], v[31:32], v[39:40]
	v_add_f64 v[39:40], v[51:52], -1.0
	v_mul_f64 v[41:42], v[51:52], v[59:60]
	v_fma_f64 v[47:48], v[65:66], v[47:48], -v[77:78]
	s_delay_alu instid0(VALU_DEP_4) | instskip(NEXT) | instid1(VALU_DEP_4)
	v_add_f64 v[73:74], v[71:72], v[31:32]
	v_add_f64 v[37:38], v[37:38], -v[39:40]
	v_add_f64 v[39:40], v[75:76], v[33:34]
	v_fma_f64 v[51:52], v[59:60], v[51:52], -v[41:42]
	v_fma_f64 v[35:36], v[65:66], v[35:36], v[47:48]
	v_add_f64 v[47:48], v[55:56], -v[73:74]
	v_add_f64 v[71:72], v[73:74], -v[71:72]
	;; [unrolled: 1-line block ×4, first 2 shown]
	v_fma_f64 v[37:38], v[59:60], v[37:38], v[51:52]
	v_add_f64 v[51:52], v[77:78], v[35:36]
	v_add_f64 v[55:56], v[55:56], -v[47:48]
	v_add_f64 v[31:32], v[71:72], -v[31:32]
	;; [unrolled: 1-line block ×4, first 2 shown]
	v_add_f64 v[81:82], v[41:42], v[37:38]
	v_add_f64 v[83:84], v[67:68], -v[51:52]
	v_add_f64 v[71:72], v[51:52], -v[77:78]
	;; [unrolled: 1-line block ×8, first 2 shown]
	v_add_f64 v[31:32], v[31:32], v[55:56]
	v_add_f64 v[33:34], v[33:34], v[39:40]
	v_add_f64 v[39:40], v[69:70], -v[57:58]
	v_add_f64 v[37:38], v[41:42], -v[37:38]
	;; [unrolled: 1-line block ×3, first 2 shown]
	v_add_f64 v[31:32], v[47:48], v[31:32]
	v_add_f64 v[33:34], v[79:80], v[33:34]
	v_add_f64 v[39:40], v[39:40], -v[81:82]
	s_delay_alu instid0(VALU_DEP_4) | instskip(NEXT) | instid1(VALU_DEP_4)
	v_add_f64 v[35:36], v[35:36], v[51:52]
	v_mul_f64 v[31:32], v[43:44], v[31:32]
	s_delay_alu instid0(VALU_DEP_4) | instskip(NEXT) | instid1(VALU_DEP_4)
	v_mul_f64 v[33:34], v[45:46], v[33:34]
	v_add_f64 v[37:38], v[37:38], v[39:40]
	s_delay_alu instid0(VALU_DEP_4) | instskip(NEXT) | instid1(VALU_DEP_4)
	v_add_f64 v[35:36], v[83:84], v[35:36]
	v_add_f64 v[39:40], v[61:62], v[31:32]
	s_delay_alu instid0(VALU_DEP_4) | instskip(NEXT) | instid1(VALU_DEP_4)
	v_add_f64 v[41:42], v[63:64], v[33:34]
	v_add_f64 v[37:38], v[57:58], v[37:38]
	s_delay_alu instid0(VALU_DEP_4) | instskip(NEXT) | instid1(VALU_DEP_4)
	v_mul_f64 v[35:36], v[53:54], v[35:36]
	v_add_f64 v[43:44], v[39:40], -v[61:62]
	s_delay_alu instid0(VALU_DEP_4) | instskip(NEXT) | instid1(VALU_DEP_4)
	v_add_f64 v[45:46], v[41:42], -v[63:64]
	v_mul_f64 v[37:38], v[49:50], v[37:38]
	v_mul_f64 v[49:50], v[39:40], v[39:40]
	v_add_f64 v[47:48], v[65:66], v[35:36]
	v_add_f64 v[31:32], v[31:32], -v[43:44]
	v_mul_f64 v[43:44], v[41:42], v[41:42]
	v_add_f64 v[33:34], v[33:34], -v[45:46]
	v_add_f64 v[45:46], v[59:60], v[37:38]
	v_fma_f64 v[53:54], v[39:40], v[39:40], -v[49:50]
	v_add_f64 v[51:52], v[47:48], -v[65:66]
	v_mul_f64 v[63:64], v[47:48], v[47:48]
	v_add_f64 v[55:56], v[31:32], v[31:32]
	v_fma_f64 v[57:58], v[41:42], v[41:42], -v[43:44]
	v_add_f64 v[61:62], v[33:34], v[33:34]
	v_add_f64 v[59:60], v[45:46], -v[59:60]
	v_add_f64 v[35:36], v[35:36], -v[51:52]
	v_fma_f64 v[51:52], v[39:40], v[55:56], v[53:54]
	v_mul_f64 v[53:54], v[45:46], v[45:46]
	v_fma_f64 v[55:56], v[41:42], v[61:62], v[57:58]
	v_fma_f64 v[57:58], v[47:48], v[47:48], -v[63:64]
	v_add_f64 v[37:38], v[37:38], -v[59:60]
	v_add_f64 v[59:60], v[35:36], v[35:36]
	v_add_f64 v[61:62], v[49:50], v[51:52]
	v_fma_f64 v[65:66], v[45:46], v[45:46], -v[53:54]
	v_add_f64 v[67:68], v[43:44], v[55:56]
	v_add_f64 v[69:70], v[37:38], v[37:38]
	v_fma_f64 v[57:58], v[47:48], v[59:60], v[57:58]
	v_fma_f64 v[59:60], v[61:62], s[30:31], s[28:29]
	v_add_f64 v[49:50], v[61:62], -v[49:50]
	v_fma_f64 v[71:72], v[67:68], s[30:31], s[28:29]
	v_mul_f64 v[79:80], v[39:40], v[61:62]
	v_fma_f64 v[65:66], v[45:46], v[69:70], v[65:66]
	v_add_f64 v[43:44], v[67:68], -v[43:44]
	v_mul_f64 v[81:82], v[41:42], v[67:68]
	v_add_f64 v[69:70], v[63:64], v[57:58]
	v_fma_f64 v[59:60], v[61:62], v[59:60], s[34:35]
	v_add_f64 v[49:50], v[51:52], -v[49:50]
	v_fma_f64 v[71:72], v[67:68], v[71:72], s[34:35]
	v_fma_f64 v[51:52], v[61:62], v[39:40], -v[79:80]
	v_add_f64 v[73:74], v[53:54], v[65:66]
	v_add_f64 v[43:44], v[55:56], -v[43:44]
	v_fma_f64 v[55:56], v[67:68], v[41:42], -v[81:82]
	v_fma_f64 v[75:76], v[69:70], s[30:31], s[28:29]
	v_add_f64 v[63:64], v[69:70], -v[63:64]
	v_fma_f64 v[59:60], v[61:62], v[59:60], s[36:37]
	v_mul_f64 v[87:88], v[47:48], v[69:70]
	v_fma_f64 v[71:72], v[67:68], v[71:72], s[36:37]
	v_fma_f64 v[51:52], v[61:62], v[31:32], v[51:52]
	;; [unrolled: 1-line block ×3, first 2 shown]
	v_add_f64 v[53:54], v[73:74], -v[53:54]
	v_mul_f64 v[89:90], v[45:46], v[73:74]
	v_fma_f64 v[55:56], v[67:68], v[33:34], v[55:56]
	v_ldexp_f64 v[31:32], v[31:32], 1
	v_ldexp_f64 v[33:34], v[33:34], 1
	v_fma_f64 v[75:76], v[69:70], v[75:76], s[34:35]
	v_add_f64 v[57:58], v[57:58], -v[63:64]
	v_fma_f64 v[59:60], v[61:62], v[59:60], s[38:39]
	v_fma_f64 v[71:72], v[67:68], v[71:72], s[38:39]
	;; [unrolled: 1-line block ×3, first 2 shown]
	v_add_f64 v[53:54], v[65:66], -v[53:54]
	v_fma_f64 v[75:76], v[69:70], v[75:76], s[36:37]
	v_fma_f64 v[59:60], v[61:62], v[59:60], s[40:41]
	;; [unrolled: 1-line block ×4, first 2 shown]
	s_delay_alu instid0(VALU_DEP_4) | instskip(NEXT) | instid1(VALU_DEP_4)
	v_fma_f64 v[75:76], v[69:70], v[75:76], s[38:39]
	v_fma_f64 v[59:60], v[61:62], v[59:60], s[42:43]
	s_delay_alu instid0(VALU_DEP_4) | instskip(NEXT) | instid1(VALU_DEP_4)
	v_fma_f64 v[71:72], v[67:68], v[71:72], s[42:43]
	v_fma_f64 v[77:78], v[73:74], v[77:78], s[38:39]
	;; [unrolled: 3-line block ×6, first 2 shown]
	s_delay_alu instid0(VALU_DEP_4) | instskip(NEXT) | instid1(VALU_DEP_4)
	v_fma_f64 v[75:76], v[69:70], v[75:76], s[44:45]
	v_mul_f64 v[83:84], v[61:62], v[59:60]
	s_delay_alu instid0(VALU_DEP_4) | instskip(NEXT) | instid1(VALU_DEP_4)
	v_mul_f64 v[85:86], v[67:68], v[71:72]
	v_fma_f64 v[77:78], v[73:74], v[77:78], s[44:45]
	s_delay_alu instid0(VALU_DEP_4) | instskip(NEXT) | instid1(VALU_DEP_4)
	v_fma_f64 v[75:76], v[69:70], v[75:76], s[46:47]
	v_fma_f64 v[63:64], v[61:62], v[59:60], -v[83:84]
	v_fma_f64 v[61:62], v[69:70], v[47:48], -v[87:88]
	;; [unrolled: 1-line block ×3, first 2 shown]
	v_fma_f64 v[77:78], v[73:74], v[77:78], s[46:47]
	v_mul_f64 v[67:68], v[69:70], v[75:76]
	v_fma_f64 v[59:60], v[49:50], v[59:60], v[63:64]
	v_fma_f64 v[63:64], v[73:74], v[45:46], -v[89:90]
	v_fma_f64 v[65:66], v[43:44], v[71:72], v[65:66]
	v_fma_f64 v[61:62], v[69:70], v[35:36], v[61:62]
	v_mul_f64 v[71:72], v[73:74], v[77:78]
	v_fma_f64 v[49:50], v[49:50], v[39:40], v[51:52]
	v_fma_f64 v[43:44], v[43:44], v[41:42], v[55:56]
	v_ldexp_f64 v[39:40], v[39:40], 1
	v_ldexp_f64 v[41:42], v[41:42], 1
	;; [unrolled: 1-line block ×3, first 2 shown]
	v_fma_f64 v[69:70], v[69:70], v[75:76], -v[67:68]
	v_fma_f64 v[63:64], v[73:74], v[37:38], v[63:64]
	v_ldexp_f64 v[37:38], v[37:38], 1
	v_fma_f64 v[73:74], v[73:74], v[77:78], -v[71:72]
	s_delay_alu instid0(VALU_DEP_4)
	v_fma_f64 v[69:70], v[57:58], v[75:76], v[69:70]
	v_add_f64 v[75:76], v[83:84], v[59:60]
	v_fma_f64 v[57:58], v[57:58], v[47:48], v[61:62]
	v_ldexp_f64 v[47:48], v[47:48], 1
	v_fma_f64 v[73:74], v[53:54], v[77:78], v[73:74]
	v_add_f64 v[77:78], v[85:86], v[65:66]
	v_fma_f64 v[53:54], v[53:54], v[45:46], v[63:64]
	v_ldexp_f64 v[45:46], v[45:46], 1
	v_add_f64 v[51:52], v[67:68], v[69:70]
	v_add_f64 v[83:84], v[75:76], -v[83:84]
	v_add_f64 v[55:56], v[71:72], v[73:74]
	v_add_f64 v[85:86], v[77:78], -v[85:86]
	s_delay_alu instid0(VALU_DEP_4) | instskip(NEXT) | instid1(VALU_DEP_4)
	v_add_f64 v[67:68], v[51:52], -v[67:68]
	v_add_f64 v[59:60], v[59:60], -v[83:84]
	v_add_f64 v[83:84], v[75:76], s[26:27]
	v_add_f64 v[71:72], v[55:56], -v[71:72]
	v_add_f64 v[65:66], v[65:66], -v[85:86]
	v_add_f64 v[85:86], v[77:78], s[26:27]
	v_add_f64 v[67:68], v[69:70], -v[67:68]
	v_add_f64 v[59:60], v[59:60], s[54:55]
	v_add_f64 v[69:70], v[83:84], s[52:53]
	v_add_f64 v[71:72], v[73:74], -v[71:72]
	v_add_f64 v[65:66], v[65:66], s[54:55]
	v_add_f64 v[73:74], v[85:86], s[52:53]
	;; [unrolled: 1-line block ×3, first 2 shown]
	v_add_f64 v[69:70], v[75:76], -v[69:70]
	v_add_f64 v[75:76], v[51:52], s[26:27]
	v_add_f64 v[63:64], v[71:72], s[54:55]
	v_add_f64 v[73:74], v[77:78], -v[73:74]
	v_add_f64 v[77:78], v[55:56], s[26:27]
	v_add_f64 v[59:60], v[59:60], v[69:70]
	;; [unrolled: 1-line block ×3, first 2 shown]
	s_delay_alu instid0(VALU_DEP_4) | instskip(NEXT) | instid1(VALU_DEP_4)
	v_add_f64 v[65:66], v[65:66], v[73:74]
	v_add_f64 v[73:74], v[77:78], s[52:53]
	s_delay_alu instid0(VALU_DEP_4) | instskip(NEXT) | instid1(VALU_DEP_4)
	v_add_f64 v[67:68], v[83:84], v[59:60]
	v_add_f64 v[51:52], v[51:52], -v[69:70]
	v_add_f64 v[69:70], v[79:80], v[49:50]
	v_add_f64 v[71:72], v[85:86], v[65:66]
	v_add_f64 v[55:56], v[55:56], -v[73:74]
	v_add_f64 v[73:74], v[81:82], v[43:44]
	v_add_f64 v[51:52], v[61:62], v[51:52]
	v_add_f64 v[61:62], v[83:84], -v[67:68]
	v_mul_f64 v[83:84], v[69:70], v[67:68]
	v_add_f64 v[79:80], v[69:70], -v[79:80]
	v_add_f64 v[55:56], v[63:64], v[55:56]
	v_add_f64 v[63:64], v[85:86], -v[71:72]
	v_mul_f64 v[85:86], v[73:74], v[71:72]
	v_add_f64 v[81:82], v[73:74], -v[81:82]
	v_add_f64 v[59:60], v[59:60], v[61:62]
	v_fma_f64 v[61:62], v[69:70], v[67:68], -v[83:84]
	v_add_f64 v[49:50], v[49:50], -v[79:80]
	v_add_f64 v[63:64], v[65:66], v[63:64]
	v_fma_f64 v[65:66], v[73:74], v[71:72], -v[85:86]
	v_add_f64 v[43:44], v[43:44], -v[81:82]
	v_fma_f64 v[59:60], v[69:70], v[59:60], v[61:62]
	v_add_f64 v[61:62], v[75:76], v[51:52]
	v_add_f64 v[69:70], v[87:88], v[57:58]
	v_fma_f64 v[63:64], v[73:74], v[63:64], v[65:66]
	v_add_f64 v[65:66], v[77:78], v[55:56]
	v_add_f64 v[73:74], v[89:90], v[53:54]
	v_fma_f64 v[49:50], v[49:50], v[67:68], v[59:60]
	v_add_f64 v[75:76], v[75:76], -v[61:62]
	v_mul_f64 v[79:80], v[69:70], v[61:62]
	v_add_f64 v[87:88], v[69:70], -v[87:88]
	v_fma_f64 v[43:44], v[43:44], v[71:72], v[63:64]
	v_add_f64 v[77:78], v[77:78], -v[65:66]
	v_mul_f64 v[81:82], v[73:74], v[65:66]
	v_add_f64 v[89:90], v[73:74], -v[89:90]
	v_frexp_exp_i32_f64_e32 v71, v[28:29]
	v_add_f64 v[51:52], v[51:52], v[75:76]
	v_fma_f64 v[75:76], v[69:70], v[61:62], -v[79:80]
	v_add_f64 v[57:58], v[57:58], -v[87:88]
	v_add_f64 v[55:56], v[55:56], v[77:78]
	v_fma_f64 v[77:78], v[73:74], v[65:66], -v[81:82]
	v_add_f64 v[53:54], v[53:54], -v[89:90]
	v_fma_f64 v[51:52], v[69:70], v[51:52], v[75:76]
	v_frexp_exp_i32_f64_e32 v69, v[24:25]
	v_frexp_exp_i32_f64_e32 v70, v[26:27]
	v_fma_f64 v[55:56], v[73:74], v[55:56], v[77:78]
	s_delay_alu instid0(VALU_DEP_4)
	v_fma_f64 v[51:52], v[57:58], v[61:62], v[51:52]
	v_add_f64 v[57:58], v[85:86], v[43:44]
	v_cvt_f64_i32_e32 v[61:62], v9
	v_subrev_co_ci_u32_e64 v9, s3, 0, v69, s3
	v_subrev_co_ci_u32_e64 v75, s3, 0, v70, s5
	v_fma_f64 v[53:54], v[53:54], v[65:66], v[55:56]
	v_add_f64 v[55:56], v[83:84], v[49:50]
	s_delay_alu instid0(VALU_DEP_4) | instskip(SKIP_2) | instid1(VALU_DEP_2)
	v_cvt_f64_i32_e32 v[69:70], v9
	v_subrev_co_ci_u32_e64 v9, s3, 0, v71, s6
	v_cvt_f64_i32_e32 v[75:76], v75
	v_cvt_f64_i32_e32 v[77:78], v9
	v_add_f64 v[59:60], v[79:80], v[51:52]
	v_add_f64 v[71:72], v[41:42], v[57:58]
	v_add_f64 v[73:74], v[57:58], -v[85:86]
	v_add_f64 v[63:64], v[81:82], v[53:54]
	v_add_f64 v[65:66], v[39:40], v[55:56]
	v_add_f64 v[67:68], v[55:56], -v[83:84]
	v_mul_f64 v[83:84], v[61:62], s[48:49]
	v_mul_f64 v[89:90], v[77:78], s[48:49]
	v_add_f64 v[79:80], v[59:60], -v[79:80]
	v_add_f64 v[85:86], v[47:48], v[59:60]
	v_add_f64 v[41:42], v[71:72], -v[41:42]
	v_add_f64 v[43:44], v[43:44], -v[73:74]
	v_mul_f64 v[73:74], v[75:76], s[48:49]
	v_add_f64 v[87:88], v[45:46], v[63:64]
	v_add_f64 v[39:40], v[65:66], -v[39:40]
	v_add_f64 v[49:50], v[49:50], -v[67:68]
	;; [unrolled: 1-line block ×3, first 2 shown]
	v_mul_f64 v[81:82], v[69:70], s[48:49]
	v_add_f64 v[51:52], v[51:52], -v[79:80]
	v_fma_f64 v[79:80], v[61:62], s[48:49], -v[83:84]
	v_add_f64 v[47:48], v[85:86], -v[47:48]
	v_add_f64 v[41:42], v[57:58], -v[41:42]
	v_add_f64 v[33:34], v[33:34], v[43:44]
	v_fma_f64 v[43:44], v[75:76], s[48:49], -v[73:74]
	v_add_f64 v[45:46], v[87:88], -v[45:46]
	v_add_f64 v[39:40], v[55:56], -v[39:40]
	v_add_f64 v[31:32], v[31:32], v[49:50]
	v_add_f64 v[49:50], v[53:54], -v[67:68]
	v_fma_f64 v[53:54], v[69:70], s[48:49], -v[81:82]
	v_fma_f64 v[55:56], v[77:78], s[48:49], -v[89:90]
	v_add_f64 v[35:36], v[35:36], v[51:52]
	v_fma_f64 v[57:58], v[61:62], s[50:51], v[79:80]
	v_add_f64 v[47:48], v[59:60], -v[47:48]
	v_add_f64 v[33:34], v[33:34], v[41:42]
	v_fma_f64 v[41:42], v[75:76], s[50:51], v[43:44]
	v_add_f64 v[45:46], v[63:64], -v[45:46]
	v_add_f64 v[31:32], v[31:32], v[39:40]
	v_add_f64 v[37:38], v[37:38], v[49:50]
	v_fma_f64 v[39:40], v[69:70], s[50:51], v[53:54]
	v_fma_f64 v[43:44], v[77:78], s[50:51], v[55:56]
	v_add_f64 v[35:36], v[35:36], v[47:48]
	v_add_f64 v[47:48], v[83:84], v[57:58]
	;; [unrolled: 1-line block ×9, first 2 shown]
	v_add_f64 v[69:70], v[47:48], -v[83:84]
	v_add_f64 v[71:72], v[51:52], -v[71:72]
	v_add_f64 v[73:74], v[53:54], -v[73:74]
	v_add_f64 v[61:62], v[47:48], v[49:50]
	v_add_f64 v[63:64], v[87:88], v[37:38]
	;; [unrolled: 1-line block ×3, first 2 shown]
	v_add_f64 v[75:76], v[45:46], -v[81:82]
	v_add_f64 v[65:66], v[49:50], -v[65:66]
	;; [unrolled: 1-line block ×3, first 2 shown]
	v_add_f64 v[77:78], v[53:54], v[55:56]
	v_add_f64 v[57:58], v[57:58], -v[69:70]
	v_add_f64 v[33:34], v[33:34], -v[71:72]
	;; [unrolled: 1-line block ×5, first 2 shown]
	v_add_f64 v[81:82], v[59:60], v[63:64]
	v_add_f64 v[83:84], v[67:68], -v[45:46]
	v_add_f64 v[39:40], v[39:40], -v[75:76]
	;; [unrolled: 1-line block ×20, first 2 shown]
	v_add_f64 v[47:48], v[49:50], v[47:48]
	v_add_f64 v[59:60], v[59:60], -v[65:66]
	v_add_f64 v[65:66], v[57:58], v[31:32]
	v_add_f64 v[49:50], v[39:40], v[33:34]
	;; [unrolled: 1-line block ×7, first 2 shown]
	v_add_f64 v[63:64], v[65:66], -v[57:58]
	v_add_f64 v[47:48], v[65:66], v[47:48]
	v_add_f64 v[69:70], v[49:50], -v[39:40]
	v_add_f64 v[45:46], v[49:50], v[45:46]
	;; [unrolled: 2-line block ×6, first 2 shown]
	v_add_f64 v[51:52], v[51:52], -v[71:72]
	v_add_f64 v[31:32], v[31:32], -v[63:64]
	;; [unrolled: 1-line block ×4, first 2 shown]
	v_add_f64 v[83:84], v[77:78], v[53:54]
	v_add_f64 v[55:56], v[55:56], -v[73:74]
	v_add_f64 v[37:38], v[37:38], -v[73:74]
	v_add_f64 v[85:86], v[81:82], v[59:60]
	v_add_f64 v[57:58], v[57:58], -v[65:66]
	v_add_f64 v[61:62], v[75:76], -v[61:62]
	;; [unrolled: 1-line block ×8, first 2 shown]
	v_add_f64 v[31:32], v[31:32], v[57:58]
	v_add_f64 v[47:48], v[47:48], -v[61:62]
	v_add_f64 v[33:34], v[33:34], v[39:40]
	v_add_f64 v[39:40], v[45:46], -v[49:50]
	;; [unrolled: 2-line block ×4, first 2 shown]
	v_add_f64 v[31:32], v[31:32], v[47:48]
	v_add_f64 v[33:34], v[33:34], v[39:40]
	v_add_f64 v[35:36], v[35:36], v[41:42]
	s_delay_alu instid0(VALU_DEP_4) | instskip(NEXT) | instid1(VALU_DEP_4)
	v_add_f64 v[37:38], v[37:38], v[43:44]
	v_add_f64 v[39:40], v[75:76], v[31:32]
	s_delay_alu instid0(VALU_DEP_4) | instskip(NEXT) | instid1(VALU_DEP_4)
	v_add_f64 v[41:42], v[79:80], v[33:34]
	v_add_f64 v[43:44], v[83:84], v[35:36]
	s_delay_alu instid0(VALU_DEP_4) | instskip(NEXT) | instid1(VALU_DEP_4)
	v_add_f64 v[45:46], v[85:86], v[37:38]
	v_add_f64 v[47:48], v[39:40], -v[75:76]
	v_mul_f64 v[49:50], v[16:17], v[39:40]
	v_add_f64 v[51:52], v[41:42], -v[79:80]
	v_mul_f64 v[53:54], v[14:15], v[41:42]
	;; [unrolled: 2-line block ×4, first 2 shown]
	v_add_f64 v[31:32], v[31:32], -v[47:48]
	v_fma_f64 v[39:40], v[16:17], v[39:40], -v[49:50]
	v_add_f64 v[33:34], v[33:34], -v[51:52]
	v_fma_f64 v[41:42], v[14:15], v[41:42], -v[53:54]
	v_cmp_class_f64_e64 s3, v[49:50], 0x204
	v_cmp_class_f64_e64 s4, v[53:54], 0x204
	v_add_f64 v[35:36], v[35:36], -v[55:56]
	v_fma_f64 v[43:44], v[20:21], v[43:44], -v[57:58]
	v_cmp_class_f64_e64 s5, v[57:58], 0x204
	v_add_f64 v[37:38], v[37:38], -v[59:60]
	v_fma_f64 v[45:46], v[6:7], v[45:46], -v[61:62]
	v_cmp_class_f64_e64 s6, v[61:62], 0x204
	v_fma_f64 v[31:32], v[16:17], v[31:32], v[39:40]
	v_fma_f64 v[33:34], v[14:15], v[33:34], v[41:42]
	v_fma_f64 v[35:36], v[20:21], v[35:36], v[43:44]
	v_fma_f64 v[37:38], v[6:7], v[37:38], v[45:46]
	s_delay_alu instid0(VALU_DEP_4) | instskip(NEXT) | instid1(VALU_DEP_4)
	v_add_f64 v[39:40], v[49:50], v[31:32]
	v_add_f64 v[41:42], v[53:54], v[33:34]
	s_delay_alu instid0(VALU_DEP_4) | instskip(NEXT) | instid1(VALU_DEP_4)
	v_add_f64 v[43:44], v[57:58], v[35:36]
	v_add_f64 v[45:46], v[61:62], v[37:38]
	s_delay_alu instid0(VALU_DEP_4)
	v_cndmask_b32_e64 v48, v40, v50, s3
	v_cndmask_b32_e64 v47, v39, v49, s3
	;; [unrolled: 1-line block ×4, first 2 shown]
	v_add_f64 v[39:40], v[39:40], -v[49:50]
	v_add_f64 v[41:42], v[41:42], -v[53:54]
	v_mul_f64 v[55:56], v[47:48], s[56:57]
	v_cmp_lt_f64_e64 s3, 0x40900000, v[47:48]
	v_mul_f64 v[59:60], v[51:52], s[56:57]
	v_cmp_lt_f64_e64 s4, 0x40900000, v[51:52]
	v_cmp_neq_f64_e64 s7, 0x7ff00000, |v[47:48]|
	v_cmp_neq_f64_e64 s8, 0x7ff00000, |v[51:52]|
	v_cmp_ngt_f64_e64 s10, 0xc090cc00, v[47:48]
	v_cmp_ngt_f64_e64 s11, 0xc090cc00, v[51:52]
	v_cndmask_b32_e64 v64, v44, v58, s5
	v_cndmask_b32_e64 v63, v43, v57, s5
	v_add_f64 v[43:44], v[43:44], -v[57:58]
	s_delay_alu instid0(VALU_DEP_2)
	v_mul_f64 v[67:68], v[63:64], s[56:57]
	v_cmp_lt_f64_e64 s5, 0x40900000, v[63:64]
	v_cndmask_b32_e64 v66, v46, v62, s6
	v_cndmask_b32_e64 v65, v45, v61, s6
	v_add_f64 v[45:46], v[45:46], -v[61:62]
	v_mul_f64 v[61:62], v[14:15], 0.5
	v_cmp_neq_f64_e64 s9, 0x7ff00000, |v[63:64]|
	v_cmp_ngt_f64_e64 s13, 0xc090cc00, v[63:64]
	v_mul_f64 v[69:70], v[65:66], s[56:57]
	v_cmp_lt_f64_e64 s6, 0x40900000, v[65:66]
	v_rndne_f64_e32 v[55:56], v[55:56]
	v_add_f64 v[31:32], v[31:32], -v[39:40]
	v_rndne_f64_e32 v[59:60], v[59:60]
	v_add_f64 v[33:34], v[33:34], -v[41:42]
	v_cmp_ngt_f64_e64 s14, 0xc090cc00, v[65:66]
	v_cmp_neq_f64_e64 s12, 0x7ff00000, |v[65:66]|
	v_cndmask_b32_e32 v40, s83, v30, vcc_lo
	v_cndmask_b32_e64 v39, s22, 0, vcc_lo
	v_trunc_f64_e32 v[41:42], v[16:17]
	v_add_f64 v[35:36], v[35:36], -v[43:44]
	v_trunc_f64_e32 v[43:44], v[14:15]
	v_rndne_f64_e32 v[67:68], v[67:68]
	v_add_f64 v[37:38], v[37:38], -v[45:46]
	v_rndne_f64_e32 v[69:70], v[69:70]
	v_fma_f64 v[71:72], v[55:56], s[58:59], v[47:48]
	v_cvt_i32_f64_e32 v9, v[55:56]
	v_fma_f64 v[73:74], v[59:60], s[58:59], v[51:52]
	v_cndmask_b32_e64 v32, 0, v32, s7
	v_cndmask_b32_e64 v31, 0, v31, s7
	v_trunc_f64_e32 v[47:48], v[61:62]
	v_cndmask_b32_e64 v34, 0, v34, s8
	v_cndmask_b32_e64 v33, 0, v33, s8
	;; [unrolled: 1-line block ×4, first 2 shown]
	v_fma_f64 v[75:76], v[67:68], s[58:59], v[63:64]
	v_cndmask_b32_e64 v38, 0, v38, s12
	v_cndmask_b32_e64 v37, 0, v37, s12
	v_cmp_gt_f64_e64 s12, 1.0, v[24:25]
	v_fma_f64 v[77:78], v[69:70], s[58:59], v[65:66]
	v_fma_f64 v[71:72], v[55:56], s[80:81], v[71:72]
	;; [unrolled: 1-line block ×4, first 2 shown]
	s_delay_alu instid0(VALU_DEP_4) | instskip(NEXT) | instid1(VALU_DEP_4)
	v_fma_f64 v[77:78], v[69:70], s[80:81], v[77:78]
	v_fma_f64 v[79:80], v[71:72], s[62:63], s[60:61]
	s_delay_alu instid0(VALU_DEP_4) | instskip(NEXT) | instid1(VALU_DEP_4)
	v_fma_f64 v[81:82], v[73:74], s[62:63], s[60:61]
	v_fma_f64 v[83:84], v[75:76], s[62:63], s[60:61]
	;; [unrolled: 3-line block ×18, first 2 shown]
	s_delay_alu instid0(VALU_DEP_4) | instskip(NEXT) | instid1(VALU_DEP_4)
	v_fma_f64 v[85:86], v[77:78], v[85:86], s[78:79]
	v_fma_f64 v[79:80], v[71:72], v[79:80], 1.0
	s_delay_alu instid0(VALU_DEP_4) | instskip(NEXT) | instid1(VALU_DEP_4)
	v_fma_f64 v[81:82], v[73:74], v[81:82], 1.0
	v_fma_f64 v[83:84], v[75:76], v[83:84], 1.0
	s_delay_alu instid0(VALU_DEP_4) | instskip(NEXT) | instid1(VALU_DEP_4)
	v_fma_f64 v[85:86], v[77:78], v[85:86], 1.0
	v_fma_f64 v[55:56], v[71:72], v[79:80], 1.0
	v_cvt_i32_f64_e32 v71, v[59:60]
	v_fma_f64 v[59:60], v[73:74], v[81:82], 1.0
	v_cvt_i32_f64_e32 v72, v[67:68]
	v_cvt_i32_f64_e32 v73, v[69:70]
	v_fma_f64 v[67:68], v[75:76], v[83:84], 1.0
	v_fma_f64 v[69:70], v[77:78], v[85:86], 1.0
	v_cndmask_b32_e64 v78, s83, v30, s2
	v_ldexp_f64 v[49:50], v[55:56], v9
	v_ldexp_f64 v[53:54], v[59:60], v71
	v_mul_f64 v[59:60], v[16:17], 0.5
	v_ldexp_f64 v[55:56], v[67:68], v72
	v_mul_f64 v[67:68], v[20:21], 0.5
	;; [unrolled: 2-line block ×3, first 2 shown]
	v_cndmask_b32_e64 v71, v50, 0x7ff00000, s3
	v_and_b32_e32 v50, 0x7fffffff, v50
	v_cndmask_b32_e64 v73, v54, 0x7ff00000, s4
	v_and_b32_e32 v54, 0x7fffffff, v54
	v_cndmask_b32_e64 v72, v53, 0, s4
	v_cndmask_b32_e64 v9, v49, 0, s3
	v_cmp_eq_f64_e32 vcc_lo, 0x7ff00000, v[49:50]
	v_trunc_f64_e32 v[45:46], v[59:60]
	v_cmp_eq_f64_e64 s7, 0x7ff00000, v[53:54]
	v_cndmask_b32_e64 v66, 0, v71, s10
	v_cndmask_b32_e64 v49, 0, v72, s11
	v_trunc_f64_e32 v[71:72], v[20:21]
	v_cndmask_b32_e64 v50, 0, v73, s11
	v_cndmask_b32_e64 v65, 0, v9, s10
	s_delay_alu instid0(VALU_DEP_2) | instskip(NEXT) | instid1(VALU_DEP_2)
	v_fma_f64 v[33:34], v[49:50], v[33:34], v[49:50]
	v_fma_f64 v[31:32], v[65:66], v[31:32], v[65:66]
	v_cndmask_b32_e64 v75, v56, 0x7ff00000, s5
	v_and_b32_e32 v56, 0x7fffffff, v56
	v_cndmask_b32_e64 v74, v55, 0, s5
	v_trunc_f64_e32 v[51:52], v[67:68]
	s_delay_alu instid0(VALU_DEP_4) | instskip(NEXT) | instid1(VALU_DEP_4)
	v_cndmask_b32_e64 v54, 0, v75, s13
	v_cmp_eq_f64_e64 s8, 0x7ff00000, v[55:56]
	s_delay_alu instid0(VALU_DEP_4)
	v_cndmask_b32_e64 v53, 0, v74, s13
	v_cndmask_b32_e64 v77, v58, 0x7ff00000, s6
	v_and_b32_e32 v58, 0x7fffffff, v58
	v_trunc_f64_e32 v[63:64], v[69:70]
	v_trunc_f64_e32 v[73:74], v[6:7]
	v_cndmask_b32_e64 v76, v57, 0, s6
	v_cndmask_b32_e64 v75, s22, 0, s1
	v_cmp_eq_f64_e64 s9, 0x7ff00000, v[57:58]
	v_cndmask_b32_e64 v58, s83, v30, s0
	v_cndmask_b32_e64 v57, s22, 0, s0
	v_cndmask_b32_e64 v55, 0, v76, s14
	v_cndmask_b32_e64 v76, s83, v30, s1
	v_cndmask_b32_e64 v56, 0, v77, s14
	v_cndmask_b32_e64 v77, s22, 0, s2
	v_cmp_neq_f64_e64 s0, v[16:17], v[39:40]
	v_cmp_gt_f64_e64 s1, 1.0, v[22:23]
	v_cmp_neq_f64_e64 s2, v[14:15], v[57:58]
	v_cmp_neq_f64_e64 s15, v[20:21], v[75:76]
	s_or_b32 s3, s3, vcc_lo
	s_or_b32 s7, s4, s7
	v_cmp_neq_f64_e64 s19, v[45:46], v[59:60]
	s_and_b32 vcc_lo, s10, s3
	v_cmp_eq_f64_e64 s3, v[41:42], v[16:17]
	v_cmp_neq_f64_e64 s4, v[47:48], v[61:62]
	s_and_b32 s7, s11, s7
	v_cmp_eq_f64_e64 s10, v[43:44], v[14:15]
	v_fma_f64 v[35:36], v[53:54], v[35:36], v[53:54]
	v_fma_f64 v[37:38], v[55:56], v[37:38], v[55:56]
	v_cmp_neq_f64_e64 s17, v[6:7], v[77:78]
	v_dual_cndmask_b32 v9, v31, v65 :: v_dual_cndmask_b32 v32, v32, v66
	v_cndmask_b32_e64 v31, v33, v49, s7
	v_cndmask_b32_e64 v34, v34, v50, s7
	v_cmp_gt_f64_e64 s7, 0, v[18:19]
	v_cmp_neq_f64_e64 s11, v[51:52], v[67:68]
	s_or_b32 s5, s5, s8
	s_delay_alu instid0(SALU_CYCLE_1)
	s_and_b32 s5, s13, s5
	v_cmp_gt_f64_e64 s13, 0, v[14:15]
	v_cmp_neq_f64_e64 s20, v[63:64], v[69:70]
	s_or_b32 s8, s6, s9
	v_cmp_eq_f64_e64 s6, v[71:72], v[20:21]
	v_cmp_eq_f64_e64 s9, v[73:74], v[6:7]
	s_and_b32 s8, s14, s8
	v_cmp_eq_f64_e64 s14, 0, v[18:19]
	s_xor_b32 s0, s0, s1
	s_xor_b32 s1, s2, s12
	;; [unrolled: 1-line block ×3, first 2 shown]
	v_cndmask_b32_e64 v41, v57, 0, s1
	v_cndmask_b32_e64 v42, v75, 0, s2
	v_cndmask_b32_e64 v46, v76, 0, s2
	v_cndmask_b32_e64 v44, v40, 0, s0
	s_and_b32 vcc_lo, s3, s19
	v_cndmask_b32_e64 v45, v58, 0, s1
	v_cndmask_b32_e32 v48, 0x3ff00000, v5, vcc_lo
	s_and_b32 s2, s10, s4
	v_cndmask_b32_e64 v36, v36, v54, s5
	v_cndmask_b32_e64 v33, v35, v53, s5
	;; [unrolled: 1-line block ×4, first 2 shown]
	v_cmp_eq_f64_e64 s0, 1.0, v[22:23]
	v_cmp_eq_f64_e64 s1, 1.0, v[24:25]
	v_cndmask_b32_e64 v50, 0x3ff00000, v19, s2
	v_bfi_b32 v32, 0x7fffffff, v32, v48
	v_cndmask_b32_e64 v38, v38, v56, s8
	v_cndmask_b32_e64 v47, 0, v9, s3
	v_cmp_eq_f64_e64 s8, 1.0, v[26:27]
	v_bfi_b32 v34, 0x7fffffff, v34, v50
	v_cndmask_b32_e64 v50, 0x7ff80000, v32, s3
	v_cmp_gt_f64_e64 s3, 0, v[4:5]
	s_xor_b32 s12, s17, s18
	v_cndmask_b32_e64 v49, 0, v31, s10
	v_cndmask_b32_e64 v43, v77, 0, s12
	;; [unrolled: 1-line block ×3, first 2 shown]
	v_cmp_eq_f64_e64 s10, 1.0, v[28:29]
	v_cmp_gt_f64_e64 s15, 0, v[20:21]
	s_and_b32 s4, s6, s11
	s_and_b32 s5, s9, s20
	v_cndmask_b32_e64 v52, 0x3ff00000, v1, s4
	v_cndmask_b32_e64 v54, 0x3ff00000, v3, s5
	;; [unrolled: 1-line block ×4, first 2 shown]
	v_cmp_gt_f64_e64 s11, 0, v[16:17]
	v_bfi_b32 v36, 0x7fffffff, v36, v52
	v_bfi_b32 v38, 0x7fffffff, v38, v54
	v_cndmask_b32_e64 v52, v78, 0, s12
	v_cmp_eq_f64_e64 s12, 0, v[4:5]
	v_cmp_eq_f64_e64 s16, 0, v[0:1]
	v_cndmask_b32_e64 v54, 0x7ff80000, v36, s6
	v_cmp_gt_f64_e64 s6, 0, v[0:1]
	v_cndmask_b32_e64 v55, 0x7ff80000, v38, s9
	v_cmp_gt_f64_e64 s9, 0, v[2:3]
	v_cmp_gt_f64_e64 s17, 0, v[6:7]
	v_cmp_eq_f64_e64 s18, 0, v[2:3]
	v_cmp_eq_f64_e64 s19, 0x7ff00000, v[22:23]
	;; [unrolled: 1-line block ×3, first 2 shown]
	v_cndmask_b32_e64 v34, v34, v53, s7
	v_cndmask_b32_e64 v31, v31, v49, s7
	;; [unrolled: 1-line block ×6, first 2 shown]
	v_cmp_eq_f64_e64 s0, 0x7ff00000, v[39:40]
	v_cmp_eq_f64_e64 s1, 0x7ff00000, v[57:58]
	v_cndmask_b32_e64 v37, v46, v27, s8
	v_cndmask_b32_e64 v40, v42, v0, s8
	v_cmp_eq_f64_e64 s7, 0x7ff00000, v[26:27]
	v_cndmask_b32_e64 v32, v32, v50, s3
	v_cndmask_b32_e64 v9, v9, v47, s3
	v_cmp_eq_f64_e64 s3, 0x7ff00000, v[75:76]
	v_cmp_eq_f64_e64 s8, 0x7ff00000, v[28:29]
	v_cndmask_b32_e32 v42, 0, v5, vcc_lo
	v_cndmask_b32_e64 v41, v43, v2, s10
	v_cndmask_b32_e64 v43, 0, v19, s2
	v_cndmask_b32_e64 v39, v52, v29, s10
	v_cndmask_b32_e64 v44, 0, v1, s4
	v_cndmask_b32_e64 v45, 0, v3, s5
	v_cmp_lt_u64_e64 s4, 0xffff, v[10:11]
	v_cndmask_b32_e64 v36, v36, v54, s6
	v_cndmask_b32_e64 v33, v33, v48, s6
	v_cmp_eq_f64_e64 s6, 0x7ff00000, v[77:78]
	v_cndmask_b32_e64 v38, v38, v55, s9
	v_cndmask_b32_e64 v35, v35, v51, s9
	s_xor_b32 s9, s11, s12
	s_or_b32 vcc_lo, s19, s12
	v_cndmask_b32_e64 v26, 0x7ff00000, 0, s9
	s_xor_b32 s9, s13, s14
	s_delay_alu instid0(SALU_CYCLE_1) | instskip(SKIP_1) | instid1(VALU_DEP_2)
	v_cndmask_b32_e64 v27, 0x7ff00000, 0, s9
	s_xor_b32 s9, s15, s16
	v_bfi_b32 v26, 0x7fffffff, v26, v42
	v_cndmask_b32_e64 v28, 0x7ff00000, 0, s9
	s_xor_b32 s9, s17, s18
	v_bfi_b32 v27, 0x7fffffff, v27, v43
	v_cndmask_b32_e64 v29, 0x7ff00000, 0, s9
	v_cndmask_b32_e64 v9, v9, v24, s0
	v_cndmask_b32_e64 v24, v31, v25, s1
	v_cndmask_b32_e64 v22, v32, v22, s0
	v_cndmask_b32_e64 v23, v34, v23, s1
	s_or_b32 s0, s20, s14
	v_bfi_b32 v28, 0x7fffffff, v28, v44
	v_bfi_b32 v29, 0x7fffffff, v29, v45
	v_cndmask_b32_e64 v25, v33, v40, s3
	v_cndmask_b32_e32 v22, v22, v26, vcc_lo
	v_cndmask_b32_e64 v9, v9, 0, vcc_lo
	v_cmp_o_f64_e32 vcc_lo, v[4:5], v[16:17]
	v_cndmask_b32_e64 v5, v23, v27, s0
	v_cndmask_b32_e64 v4, v36, v37, s3
	;; [unrolled: 1-line block ×3, first 2 shown]
	v_cmp_o_f64_e64 s0, v[18:19], v[14:15]
	s_or_b32 s1, s7, s16
	s_or_b32 s2, s8, s18
	v_cndmask_b32_e64 v15, v4, v28, s1
	v_cndmask_b32_e64 v4, v25, 0, s1
	v_cmp_o_f64_e64 s1, v[0:1], v[20:21]
	v_cmp_le_i64_e64 s3, s[24:25], v[10:11]
	v_cndmask_b32_e64 v31, v35, v41, s6
	v_cndmask_b32_e64 v14, v38, v39, s6
	s_delay_alu instid0(VALU_DEP_2) | instskip(NEXT) | instid1(VALU_DEP_2)
	v_cndmask_b32_e64 v1, v31, 0, s2
	v_cndmask_b32_e64 v14, v14, v29, s2
	v_cmp_o_f64_e64 s2, v[2:3], v[6:7]
	v_cndmask_b32_e32 v0, 0, v9, vcc_lo
	v_cndmask_b32_e64 v2, 0, v16, s0
	v_cndmask_b32_e64 v3, 0x7ff80000, v5, s0
	s_or_b32 s0, s3, s4
	s_delay_alu instid0(SALU_CYCLE_1)
	s_and_b32 s0, exec_lo, s0
	v_cndmask_b32_e64 v4, 0, v4, s1
	v_cndmask_b32_e64 v5, 0x7ff80000, v15, s1
	s_or_b32 s21, s0, s21
	v_cndmask_b32_e64 v6, 0, v1, s2
	v_cndmask_b32_e32 v1, 0x7ff80000, v22, vcc_lo
	v_cndmask_b32_e64 v7, 0x7ff80000, v14, s2
	v_add_co_u32 v10, vcc_lo, v10, s33
	v_add_co_ci_u32_e32 v11, vcc_lo, 0, v11, vcc_lo
	s_clause 0x1
	global_store_b128 v[12:13], v[0:3], off offset:-16
	global_store_b128 v[12:13], v[4:7], off
	v_add_co_u32 v12, vcc_lo, v12, s82
	v_add_co_ci_u32_e32 v13, vcc_lo, 0, v13, vcc_lo
	s_and_not1_b32 exec_lo, exec_lo, s21
	s_cbranch_execnz .LBB77_24
.LBB77_25:
	s_nop 0
	s_sendmsg sendmsg(MSG_DEALLOC_VGPRS)
	s_endpgm
	.section	.rodata,"a",@progbits
	.p2align	6, 0x0
	.amdhsa_kernel _ZN2at6native12_GLOBAL__N_125multi_tensor_apply_kernelINS1_28TensorListScalarListMetadataIdLi1EEENS1_25BinaryOpScalarListFunctorIdLi1ELi1ELi0EEEJNS1_13power_functorIdEEEEEvT_T0_DpT1_
		.amdhsa_group_segment_fixed_size 0
		.amdhsa_private_segment_fixed_size 0
		.amdhsa_kernarg_size 4168
		.amdhsa_user_sgpr_count 15
		.amdhsa_user_sgpr_dispatch_ptr 0
		.amdhsa_user_sgpr_queue_ptr 0
		.amdhsa_user_sgpr_kernarg_segment_ptr 1
		.amdhsa_user_sgpr_dispatch_id 0
		.amdhsa_user_sgpr_private_segment_size 0
		.amdhsa_wavefront_size32 1
		.amdhsa_uses_dynamic_stack 0
		.amdhsa_enable_private_segment 0
		.amdhsa_system_sgpr_workgroup_id_x 1
		.amdhsa_system_sgpr_workgroup_id_y 0
		.amdhsa_system_sgpr_workgroup_id_z 0
		.amdhsa_system_sgpr_workgroup_info 0
		.amdhsa_system_vgpr_workitem_id 0
		.amdhsa_next_free_vgpr 91
		.amdhsa_next_free_sgpr 84
		.amdhsa_reserve_vcc 1
		.amdhsa_float_round_mode_32 0
		.amdhsa_float_round_mode_16_64 0
		.amdhsa_float_denorm_mode_32 3
		.amdhsa_float_denorm_mode_16_64 3
		.amdhsa_dx10_clamp 1
		.amdhsa_ieee_mode 1
		.amdhsa_fp16_overflow 0
		.amdhsa_workgroup_processor_mode 1
		.amdhsa_memory_ordered 1
		.amdhsa_forward_progress 0
		.amdhsa_shared_vgpr_count 0
		.amdhsa_exception_fp_ieee_invalid_op 0
		.amdhsa_exception_fp_denorm_src 0
		.amdhsa_exception_fp_ieee_div_zero 0
		.amdhsa_exception_fp_ieee_overflow 0
		.amdhsa_exception_fp_ieee_underflow 0
		.amdhsa_exception_fp_ieee_inexact 0
		.amdhsa_exception_int_div_zero 0
	.end_amdhsa_kernel
	.section	.text._ZN2at6native12_GLOBAL__N_125multi_tensor_apply_kernelINS1_28TensorListScalarListMetadataIdLi1EEENS1_25BinaryOpScalarListFunctorIdLi1ELi1ELi0EEEJNS1_13power_functorIdEEEEEvT_T0_DpT1_,"axG",@progbits,_ZN2at6native12_GLOBAL__N_125multi_tensor_apply_kernelINS1_28TensorListScalarListMetadataIdLi1EEENS1_25BinaryOpScalarListFunctorIdLi1ELi1ELi0EEEJNS1_13power_functorIdEEEEEvT_T0_DpT1_,comdat
.Lfunc_end77:
	.size	_ZN2at6native12_GLOBAL__N_125multi_tensor_apply_kernelINS1_28TensorListScalarListMetadataIdLi1EEENS1_25BinaryOpScalarListFunctorIdLi1ELi1ELi0EEEJNS1_13power_functorIdEEEEEvT_T0_DpT1_, .Lfunc_end77-_ZN2at6native12_GLOBAL__N_125multi_tensor_apply_kernelINS1_28TensorListScalarListMetadataIdLi1EEENS1_25BinaryOpScalarListFunctorIdLi1ELi1ELi0EEEJNS1_13power_functorIdEEEEEvT_T0_DpT1_
                                        ; -- End function
	.section	.AMDGPU.csdata,"",@progbits
; Kernel info:
; codeLenInByte = 16272
; NumSgprs: 86
; NumVgprs: 91
; ScratchSize: 0
; MemoryBound: 0
; FloatMode: 240
; IeeeMode: 1
; LDSByteSize: 0 bytes/workgroup (compile time only)
; SGPRBlocks: 10
; VGPRBlocks: 11
; NumSGPRsForWavesPerEU: 86
; NumVGPRsForWavesPerEU: 91
; Occupancy: 16
; WaveLimiterHint : 1
; COMPUTE_PGM_RSRC2:SCRATCH_EN: 0
; COMPUTE_PGM_RSRC2:USER_SGPR: 15
; COMPUTE_PGM_RSRC2:TRAP_HANDLER: 0
; COMPUTE_PGM_RSRC2:TGID_X_EN: 1
; COMPUTE_PGM_RSRC2:TGID_Y_EN: 0
; COMPUTE_PGM_RSRC2:TGID_Z_EN: 0
; COMPUTE_PGM_RSRC2:TIDIG_COMP_CNT: 0
	.section	.text._ZN2at6native12_GLOBAL__N_125multi_tensor_apply_kernelINS1_28TensorListScalarListMetadataIfLi1EEENS1_25BinaryOpScalarListFunctorIfLi1ELi1ELi0EEEJNS1_13power_functorIfEEEEEvT_T0_DpT1_,"axG",@progbits,_ZN2at6native12_GLOBAL__N_125multi_tensor_apply_kernelINS1_28TensorListScalarListMetadataIfLi1EEENS1_25BinaryOpScalarListFunctorIfLi1ELi1ELi0EEEJNS1_13power_functorIfEEEEEvT_T0_DpT1_,comdat
	.globl	_ZN2at6native12_GLOBAL__N_125multi_tensor_apply_kernelINS1_28TensorListScalarListMetadataIfLi1EEENS1_25BinaryOpScalarListFunctorIfLi1ELi1ELi0EEEJNS1_13power_functorIfEEEEEvT_T0_DpT1_ ; -- Begin function _ZN2at6native12_GLOBAL__N_125multi_tensor_apply_kernelINS1_28TensorListScalarListMetadataIfLi1EEENS1_25BinaryOpScalarListFunctorIfLi1ELi1ELi0EEEJNS1_13power_functorIfEEEEEvT_T0_DpT1_
	.p2align	8
	.type	_ZN2at6native12_GLOBAL__N_125multi_tensor_apply_kernelINS1_28TensorListScalarListMetadataIfLi1EEENS1_25BinaryOpScalarListFunctorIfLi1ELi1ELi0EEEJNS1_13power_functorIfEEEEEvT_T0_DpT1_,@function
_ZN2at6native12_GLOBAL__N_125multi_tensor_apply_kernelINS1_28TensorListScalarListMetadataIfLi1EEENS1_25BinaryOpScalarListFunctorIfLi1ELi1ELi0EEEJNS1_13power_functorIfEEEEEvT_T0_DpT1_: ; @_ZN2at6native12_GLOBAL__N_125multi_tensor_apply_kernelINS1_28TensorListScalarListMetadataIfLi1EEENS1_25BinaryOpScalarListFunctorIfLi1ELi1ELi0EEEJNS1_13power_functorIfEEEEEvT_T0_DpT1_
; %bb.0:
	v_mov_b32_e32 v1, s15
	s_add_u32 s2, s0, s15
	s_mul_i32 s3, s15, 3
	s_mul_hi_u32 s4, s15, 3
	s_addc_u32 s5, s1, 0
	global_load_u8 v1, v1, s[0:1] offset:1920
	s_add_u32 s2, s2, s3
	s_addc_u32 s3, s5, s4
	s_load_b32 s2, s[2:3], 0x8c0
	s_waitcnt vmcnt(0)
	v_readfirstlane_b32 s3, v1
	v_lshlrev_b32_e32 v1, 2, v1
	s_delay_alu instid0(VALU_DEP_2)
	s_lshl_b32 s6, s3, 3
	s_waitcnt lgkmcnt(0)
	s_ashr_i32 s3, s2, 31
	s_clause 0x1
	s_load_b64 s[4:5], s[0:1], s6 offset:0x300
	s_load_b64 s[10:11], s[0:1], s6 offset:0x0
	s_add_u32 s6, s0, s6
	s_addc_u32 s7, s1, 0
	v_sub_co_u32 v1, s6, s6, v1
	s_delay_alu instid0(VALU_DEP_1) | instskip(SKIP_1) | instid1(VALU_DEP_2)
	v_sub_co_ci_u32_e64 v2, null, s7, 0, s6
	s_lshl_b64 s[12:13], s[2:3], 18
	v_readfirstlane_b32 s6, v1
	s_lshl_b64 s[2:3], s[2:3], 16
	s_delay_alu instid0(VALU_DEP_2)
	v_readfirstlane_b32 s7, v2
	s_load_b32 s30, s[6:7], 0x600
	s_waitcnt lgkmcnt(0)
	s_and_b32 s6, s10, 15
	s_sub_u32 s28, s4, s2
	s_subb_u32 s29, s5, s3
	s_and_b32 s2, s4, 3
	s_mov_b32 s3, 0
	s_or_b32 s2, s6, s2
	s_delay_alu instid0(SALU_CYCLE_1)
	s_cmp_eq_u64 s[2:3], 0
	s_cbranch_scc1 .LBB78_21
; %bb.1:
	v_cmp_lt_i64_e64 s2, s[28:29], 1
	s_delay_alu instid0(VALU_DEP_1)
	s_and_b32 vcc_lo, exec_lo, s2
	s_cbranch_vccnz .LBB78_20
; %bb.2:
	s_load_b32 s2, s[0:1], 0xdd4
	v_cmp_gt_u64_e64 s3, 0x10000, s[28:29]
	v_lshlrev_b32_e32 v1, 2, v0
	s_mov_b64 s[16:17], 0
	s_mov_b32 s21, 0x3e76c4e1
	s_waitcnt lgkmcnt(0)
	s_and_b32 s2, s2, 0xffff
	s_and_b32 s3, s3, exec_lo
	v_add_co_u32 v5, s5, v0, s2
	s_cselect_b32 s15, s29, 0
	s_cselect_b32 s14, s28, 0x10000
	s_lshl_b32 s3, s2, 1
	s_lshl_b32 s9, s2, 2
	v_lshlrev_b32_e32 v3, 2, v5
	v_add_co_ci_u32_e64 v6, null, 0, 0, s5
	s_add_u32 s5, s10, s12
	v_add_co_u32 v9, s3, s3, v0
	s_mul_i32 s4, s2, 3
	s_addc_u32 s6, s11, s13
	v_add_co_ci_u32_e64 v10, null, 0, 0, s3
	v_add_co_u32 v1, s3, s5, v1
	v_add_co_u32 v7, s4, s4, v0
	v_add_co_ci_u32_e64 v2, null, s6, 0, s3
	v_add_co_u32 v3, s3, s5, v3
	v_add_co_ci_u32_e64 v8, null, 0, 0, s4
	v_add_co_ci_u32_e64 v4, null, s6, 0, s3
	s_mul_i32 s18, s2, 12
	s_lshl_b32 s19, s2, 4
	s_lshl_b32 s20, s2, 3
	s_branch .LBB78_4
.LBB78_3:                               ;   in Loop: Header=BB78_4 Depth=1
	s_or_b32 exec_lo, exec_lo, s6
	s_add_u32 s16, s16, s9
	s_addc_u32 s17, s17, 0
	v_add_co_u32 v1, vcc_lo, v1, s19
	v_cmp_lt_i64_e64 s2, s[16:17], s[28:29]
	v_cmp_gt_u64_e64 s3, 0x10000, s[16:17]
	v_add_co_ci_u32_e32 v2, vcc_lo, 0, v2, vcc_lo
	v_add_co_u32 v3, vcc_lo, v3, s19
	v_add_co_ci_u32_e32 v4, vcc_lo, 0, v4, vcc_lo
	s_delay_alu instid0(VALU_DEP_4) | instskip(NEXT) | instid1(SALU_CYCLE_1)
	s_and_b32 s2, s2, s3
	s_and_b32 vcc_lo, exec_lo, s2
	s_cbranch_vccz .LBB78_20
.LBB78_4:                               ; =>This Inner Loop Header: Depth=1
	s_waitcnt vmcnt(0)
	v_add_co_u32 v11, s2, v0, s16
	s_delay_alu instid0(VALU_DEP_1) | instskip(SKIP_1) | instid1(VALU_DEP_2)
	v_add_co_ci_u32_e64 v12, null, 0, s17, s2
	v_mov_b32_e32 v14, 0
	v_cmp_gt_u64_e64 s4, s[14:15], v[11:12]
	s_delay_alu instid0(VALU_DEP_1)
	s_and_saveexec_b32 s2, s4
	s_cbranch_execz .LBB78_6
; %bb.5:                                ;   in Loop: Header=BB78_4 Depth=1
	global_load_b32 v14, v[1:2], off
.LBB78_6:                               ;   in Loop: Header=BB78_4 Depth=1
	s_or_b32 exec_lo, exec_lo, s2
	v_add_co_u32 v11, vcc_lo, v5, s16
	v_add_co_ci_u32_e32 v12, vcc_lo, s17, v6, vcc_lo
	v_mov_b32_e32 v13, 0
	s_delay_alu instid0(VALU_DEP_2) | instskip(NEXT) | instid1(VALU_DEP_1)
	v_cmp_gt_u64_e64 s3, s[14:15], v[11:12]
	s_and_saveexec_b32 s2, s3
	s_cbranch_execz .LBB78_8
; %bb.7:                                ;   in Loop: Header=BB78_4 Depth=1
	global_load_b32 v13, v[3:4], off
.LBB78_8:                               ;   in Loop: Header=BB78_4 Depth=1
	s_or_b32 exec_lo, exec_lo, s2
	v_add_co_u32 v11, vcc_lo, v9, s16
	v_add_co_ci_u32_e32 v12, vcc_lo, s17, v10, vcc_lo
	s_delay_alu instid0(VALU_DEP_1) | instskip(SKIP_1) | instid1(VALU_DEP_2)
	v_cmp_gt_u64_e64 s2, s[14:15], v[11:12]
	v_dual_mov_b32 v11, 0 :: v_dual_mov_b32 v12, 0
	s_and_saveexec_b32 s5, s2
	s_cbranch_execz .LBB78_10
; %bb.9:                                ;   in Loop: Header=BB78_4 Depth=1
	v_add_co_u32 v15, vcc_lo, v1, s20
	v_add_co_ci_u32_e32 v16, vcc_lo, 0, v2, vcc_lo
	global_load_b32 v12, v[15:16], off
.LBB78_10:                              ;   in Loop: Header=BB78_4 Depth=1
	s_or_b32 exec_lo, exec_lo, s5
	v_add_co_u32 v15, vcc_lo, v7, s16
	v_add_co_ci_u32_e32 v16, vcc_lo, s17, v8, vcc_lo
	s_delay_alu instid0(VALU_DEP_1)
	v_cmp_gt_u64_e32 vcc_lo, s[14:15], v[15:16]
	s_and_saveexec_b32 s6, vcc_lo
	s_cbranch_execnz .LBB78_15
; %bb.11:                               ;   in Loop: Header=BB78_4 Depth=1
	s_or_b32 exec_lo, exec_lo, s6
	s_and_saveexec_b32 s22, s4
	s_cbranch_execnz .LBB78_16
.LBB78_12:                              ;   in Loop: Header=BB78_4 Depth=1
	s_or_b32 exec_lo, exec_lo, s22
	s_and_saveexec_b32 s8, s3
	s_cbranch_execnz .LBB78_17
.LBB78_13:                              ;   in Loop: Header=BB78_4 Depth=1
	s_or_b32 exec_lo, exec_lo, s8
	s_and_saveexec_b32 s7, s2
	s_cbranch_execnz .LBB78_18
.LBB78_14:                              ;   in Loop: Header=BB78_4 Depth=1
	s_or_b32 exec_lo, exec_lo, s7
	s_and_saveexec_b32 s6, vcc_lo
	s_cbranch_execz .LBB78_3
	s_branch .LBB78_19
.LBB78_15:                              ;   in Loop: Header=BB78_4 Depth=1
	v_add_co_u32 v15, s5, v1, s18
	s_delay_alu instid0(VALU_DEP_1)
	v_add_co_ci_u32_e64 v16, s5, 0, v2, s5
	global_load_b32 v11, v[15:16], off
	s_or_b32 exec_lo, exec_lo, s6
	s_and_saveexec_b32 s22, s4
	s_cbranch_execz .LBB78_12
.LBB78_16:                              ;   in Loop: Header=BB78_4 Depth=1
	s_waitcnt vmcnt(0)
	v_cmp_eq_f32_e64 s4, 1.0, v14
	s_delay_alu instid0(VALU_DEP_1) | instskip(NEXT) | instid1(VALU_DEP_1)
	v_cndmask_b32_e64 v16, s30, 1.0, s4
	v_cmp_eq_f32_e64 s5, 0, v16
	v_cmp_gt_f32_e64 s7, 0, v16
	s_delay_alu instid0(VALU_DEP_2) | instskip(SKIP_1) | instid1(VALU_DEP_2)
	v_cndmask_b32_e64 v18, |v14|, 1.0, s5
	v_cndmask_b32_e64 v17, v14, 1.0, s5
	v_cvt_f64_f32_e32 v[14:15], v18
	s_delay_alu instid0(VALU_DEP_2) | instskip(NEXT) | instid1(VALU_DEP_2)
	v_cmp_eq_f32_e64 s8, 0, v17
	v_frexp_exp_i32_f64_e32 v14, v[14:15]
	v_frexp_mant_f32_e32 v15, v18
	s_delay_alu instid0(VALU_DEP_1) | instskip(NEXT) | instid1(VALU_DEP_1)
	v_cmp_gt_f32_e64 s5, 0x3f2aaaab, v15
	v_cndmask_b32_e64 v19, 1.0, 2.0, s5
	s_delay_alu instid0(VALU_DEP_1) | instskip(NEXT) | instid1(VALU_DEP_1)
	v_mul_f32_e32 v15, v15, v19
	v_add_f32_e32 v19, 1.0, v15
	v_add_f32_e32 v21, -1.0, v15
	s_delay_alu instid0(VALU_DEP_2) | instskip(SKIP_3) | instid1(VALU_DEP_2)
	v_rcp_f32_e32 v20, v19
	s_waitcnt_depctr 0xfff
	v_dual_mul_f32 v22, v21, v20 :: v_dual_add_f32 v23, -1.0, v19
	v_subrev_co_ci_u32_e64 v14, s6, 0, v14, s5
	v_mul_f32_e32 v24, v19, v22
	s_delay_alu instid0(VALU_DEP_3) | instskip(NEXT) | instid1(VALU_DEP_3)
	v_sub_f32_e32 v15, v15, v23
	v_cvt_f32_i32_e32 v14, v14
	s_delay_alu instid0(VALU_DEP_3) | instskip(NEXT) | instid1(VALU_DEP_1)
	v_fma_f32 v19, v22, v19, -v24
	v_fmac_f32_e32 v19, v22, v15
	s_delay_alu instid0(VALU_DEP_1) | instskip(NEXT) | instid1(VALU_DEP_1)
	v_add_f32_e32 v15, v24, v19
	v_dual_sub_f32 v23, v21, v15 :: v_dual_sub_f32 v24, v15, v24
	s_delay_alu instid0(VALU_DEP_1) | instskip(NEXT) | instid1(VALU_DEP_2)
	v_sub_f32_e32 v21, v21, v23
	v_sub_f32_e32 v19, v24, v19
	s_delay_alu instid0(VALU_DEP_2) | instskip(NEXT) | instid1(VALU_DEP_1)
	v_sub_f32_e32 v15, v21, v15
	v_add_f32_e32 v15, v19, v15
	s_delay_alu instid0(VALU_DEP_1) | instskip(NEXT) | instid1(VALU_DEP_1)
	v_add_f32_e32 v15, v23, v15
	v_mul_f32_e32 v15, v20, v15
	s_delay_alu instid0(VALU_DEP_1) | instskip(NEXT) | instid1(VALU_DEP_1)
	v_add_f32_e32 v19, v22, v15
	v_sub_f32_e32 v20, v19, v22
	v_mul_f32_e32 v21, v19, v19
	s_delay_alu instid0(VALU_DEP_2) | instskip(NEXT) | instid1(VALU_DEP_2)
	v_sub_f32_e32 v15, v15, v20
	v_fma_f32 v20, v19, v19, -v21
	s_delay_alu instid0(VALU_DEP_2) | instskip(NEXT) | instid1(VALU_DEP_1)
	v_add_f32_e32 v22, v15, v15
	v_fmac_f32_e32 v20, v19, v22
	s_delay_alu instid0(VALU_DEP_1) | instskip(NEXT) | instid1(VALU_DEP_1)
	v_add_f32_e32 v22, v21, v20
	v_mul_f32_e32 v26, v19, v22
	v_fmaak_f32 v23, s21, v22, 0x3e91f4c4
	v_sub_f32_e32 v21, v22, v21
	s_delay_alu instid0(VALU_DEP_3) | instskip(NEXT) | instid1(VALU_DEP_2)
	v_fma_f32 v27, v22, v19, -v26
	v_dual_fmaak_f32 v23, v22, v23, 0x3ecccdef :: v_dual_sub_f32 v20, v20, v21
	s_delay_alu instid0(VALU_DEP_1) | instskip(NEXT) | instid1(VALU_DEP_3)
	v_mul_f32_e32 v24, v22, v23
	v_fmac_f32_e32 v27, v22, v15
	v_ldexp_f32 v15, v15, 1
	s_delay_alu instid0(VALU_DEP_3) | instskip(NEXT) | instid1(VALU_DEP_3)
	v_fma_f32 v21, v22, v23, -v24
	v_fmac_f32_e32 v27, v20, v19
	v_ldexp_f32 v19, v19, 1
	s_delay_alu instid0(VALU_DEP_3) | instskip(NEXT) | instid1(VALU_DEP_1)
	v_fmac_f32_e32 v21, v20, v23
	v_dual_add_f32 v22, v26, v27 :: v_dual_add_f32 v23, v24, v21
	s_delay_alu instid0(VALU_DEP_1) | instskip(NEXT) | instid1(VALU_DEP_1)
	v_dual_sub_f32 v24, v23, v24 :: v_dual_add_f32 v25, 0x3f2aaaaa, v23
	v_dual_sub_f32 v21, v21, v24 :: v_dual_add_f32 v24, 0xbf2aaaaa, v25
	s_delay_alu instid0(VALU_DEP_1) | instskip(NEXT) | instid1(VALU_DEP_2)
	v_add_f32_e32 v21, 0x31739010, v21
	v_sub_f32_e32 v23, v23, v24
	s_delay_alu instid0(VALU_DEP_1) | instskip(NEXT) | instid1(VALU_DEP_1)
	v_add_f32_e32 v21, v21, v23
	v_add_f32_e32 v20, v25, v21
	s_delay_alu instid0(VALU_DEP_1) | instskip(SKIP_2) | instid1(VALU_DEP_3)
	v_sub_f32_e32 v23, v25, v20
	v_mul_f32_e32 v24, v22, v20
	v_sub_f32_e32 v25, v22, v26
	v_add_f32_e32 v21, v21, v23
	s_delay_alu instid0(VALU_DEP_3) | instskip(NEXT) | instid1(VALU_DEP_3)
	v_fma_f32 v23, v22, v20, -v24
	v_sub_f32_e32 v25, v27, v25
	s_delay_alu instid0(VALU_DEP_2) | instskip(NEXT) | instid1(VALU_DEP_1)
	v_fmac_f32_e32 v23, v22, v21
	v_fmac_f32_e32 v23, v25, v20
	s_delay_alu instid0(VALU_DEP_1) | instskip(NEXT) | instid1(VALU_DEP_1)
	v_add_f32_e32 v20, v24, v23
	v_sub_f32_e32 v21, v20, v24
	v_add_f32_e32 v22, v19, v20
	s_delay_alu instid0(VALU_DEP_2) | instskip(NEXT) | instid1(VALU_DEP_2)
	v_dual_mul_f32 v24, 0x3f317218, v14 :: v_dual_sub_f32 v21, v23, v21
	v_sub_f32_e32 v19, v22, v19
	s_delay_alu instid0(VALU_DEP_2) | instskip(NEXT) | instid1(VALU_DEP_3)
	v_fma_f32 v23, 0x3f317218, v14, -v24
	v_add_f32_e32 v15, v15, v21
	s_delay_alu instid0(VALU_DEP_3) | instskip(NEXT) | instid1(VALU_DEP_1)
	v_sub_f32_e32 v19, v20, v19
	v_dual_fmac_f32 v23, 0xb102e308, v14 :: v_dual_add_f32 v14, v15, v19
	s_delay_alu instid0(VALU_DEP_1) | instskip(NEXT) | instid1(VALU_DEP_1)
	v_add_f32_e32 v15, v24, v23
	v_dual_add_f32 v19, v22, v14 :: v_dual_sub_f32 v24, v15, v24
	s_delay_alu instid0(VALU_DEP_1) | instskip(SKIP_1) | instid1(VALU_DEP_3)
	v_add_f32_e32 v20, v15, v19
	v_sub_f32_e32 v22, v19, v22
	v_sub_f32_e32 v23, v23, v24
	s_delay_alu instid0(VALU_DEP_2) | instskip(NEXT) | instid1(VALU_DEP_1)
	v_dual_sub_f32 v21, v20, v15 :: v_dual_sub_f32 v14, v14, v22
	v_sub_f32_e32 v25, v20, v21
	v_sub_f32_e32 v19, v19, v21
	s_delay_alu instid0(VALU_DEP_3) | instskip(NEXT) | instid1(VALU_DEP_3)
	v_add_f32_e32 v21, v23, v14
	v_sub_f32_e32 v15, v15, v25
	s_delay_alu instid0(VALU_DEP_1) | instskip(NEXT) | instid1(VALU_DEP_3)
	v_add_f32_e32 v15, v19, v15
	v_sub_f32_e32 v19, v21, v23
	s_delay_alu instid0(VALU_DEP_2) | instskip(NEXT) | instid1(VALU_DEP_2)
	v_add_f32_e32 v15, v21, v15
	v_sub_f32_e32 v21, v21, v19
	v_sub_f32_e32 v14, v14, v19
	s_delay_alu instid0(VALU_DEP_2) | instskip(NEXT) | instid1(VALU_DEP_1)
	v_dual_add_f32 v22, v20, v15 :: v_dual_sub_f32 v19, v23, v21
	v_sub_f32_e32 v20, v22, v20
	s_delay_alu instid0(VALU_DEP_1) | instskip(NEXT) | instid1(VALU_DEP_1)
	v_dual_add_f32 v14, v14, v19 :: v_dual_sub_f32 v15, v15, v20
	v_add_f32_e32 v14, v14, v15
	s_delay_alu instid0(VALU_DEP_1) | instskip(NEXT) | instid1(VALU_DEP_1)
	v_add_f32_e32 v15, v22, v14
	v_dual_sub_f32 v19, v15, v22 :: v_dual_mul_f32 v20, v16, v15
	s_delay_alu instid0(VALU_DEP_1) | instskip(NEXT) | instid1(VALU_DEP_2)
	v_sub_f32_e32 v14, v14, v19
	v_fma_f32 v15, v16, v15, -v20
	v_cmp_class_f32_e64 s5, v20, 0x204
	s_delay_alu instid0(VALU_DEP_2) | instskip(NEXT) | instid1(VALU_DEP_1)
	v_fmac_f32_e32 v15, v16, v14
	v_add_f32_e32 v14, v20, v15
	s_delay_alu instid0(VALU_DEP_1) | instskip(SKIP_1) | instid1(VALU_DEP_2)
	v_cndmask_b32_e64 v19, v14, v20, s5
	v_sub_f32_e32 v14, v14, v20
	v_cmp_eq_f32_e64 s5, 0x42b17218, v19
	s_delay_alu instid0(VALU_DEP_2) | instskip(SKIP_1) | instid1(VALU_DEP_3)
	v_sub_f32_e32 v14, v15, v14
	v_trunc_f32_e32 v15, v16
	v_cndmask_b32_e64 v21, 0, 0x37000000, s5
	v_cmp_neq_f32_e64 s5, 0x7f800000, |v19|
	s_delay_alu instid0(VALU_DEP_2) | instskip(NEXT) | instid1(VALU_DEP_2)
	v_sub_f32_e32 v22, v19, v21
	v_cndmask_b32_e64 v14, 0, v14, s5
	s_delay_alu instid0(VALU_DEP_2) | instskip(NEXT) | instid1(VALU_DEP_2)
	v_mul_f32_e32 v23, 0x3fb8aa3b, v22
	v_add_f32_e32 v14, v21, v14
	v_cmp_ngt_f32_e64 s5, 0xc2ce8ed0, v22
	v_cmp_nlt_f32_e64 s6, 0x42b17218, v22
	s_delay_alu instid0(VALU_DEP_4) | instskip(SKIP_1) | instid1(VALU_DEP_1)
	v_fma_f32 v24, 0x3fb8aa3b, v22, -v23
	v_rndne_f32_e32 v25, v23
	v_dual_fmac_f32 v24, 0x32a5705f, v22 :: v_dual_sub_f32 v23, v23, v25
	v_cvt_i32_f32_e32 v20, v25
	s_delay_alu instid0(VALU_DEP_2) | instskip(NEXT) | instid1(VALU_DEP_1)
	v_add_f32_e32 v23, v23, v24
	v_exp_f32_e32 v23, v23
	s_waitcnt_depctr 0xfff
	v_ldexp_f32 v20, v23, v20
	v_mul_f32_e32 v23, 0.5, v16
	s_delay_alu instid0(VALU_DEP_2) | instskip(NEXT) | instid1(VALU_DEP_2)
	v_cndmask_b32_e64 v19, 0, v20, s5
	v_trunc_f32_e32 v20, v23
	v_cmp_eq_f32_e64 s5, v15, v16
	s_delay_alu instid0(VALU_DEP_3) | instskip(NEXT) | instid1(VALU_DEP_3)
	v_cndmask_b32_e64 v15, 0x7f800000, v19, s6
	v_cmp_neq_f32_e64 s6, v20, v23
	v_cndmask_b32_e64 v19, |s30|, 1.0, s4
	s_delay_alu instid0(VALU_DEP_3) | instskip(NEXT) | instid1(VALU_DEP_3)
	v_fma_f32 v14, v15, v14, v15
	s_and_b32 s4, s5, s6
	v_cmp_gt_f32_e64 s6, 1.0, v18
	v_cndmask_b32_e64 v20, 0, v17, s4
	v_cndmask_b32_e64 v21, 1.0, v17, s4
	v_cmp_class_f32_e64 s4, v15, 0x204
	s_delay_alu instid0(VALU_DEP_1) | instskip(SKIP_1) | instid1(VALU_DEP_2)
	v_cndmask_b32_e64 v14, v14, v15, s4
	v_cmp_neq_f32_e64 s4, v16, v19
	v_bfi_b32 v14, 0x7fffffff, v14, v21
	s_delay_alu instid0(VALU_DEP_2) | instskip(NEXT) | instid1(SALU_CYCLE_1)
	s_xor_b32 s4, s4, s6
	v_cndmask_b32_e64 v15, v19, 0, s4
	s_xor_b32 s4, s7, s8
	s_delay_alu instid0(VALU_DEP_2) | instskip(SKIP_3) | instid1(VALU_DEP_2)
	v_cndmask_b32_e64 v21, 0x7fc00000, v14, s5
	v_cndmask_b32_e64 v22, 0x7f800000, 0, s4
	v_cmp_eq_f32_e64 s4, 1.0, v18
	v_cmp_eq_f32_e64 s5, 0x7f800000, v19
	v_cndmask_b32_e64 v15, v15, v18, s4
	v_cmp_gt_f32_e64 s4, 0, v17
	s_delay_alu instid0(VALU_DEP_1) | instskip(SKIP_2) | instid1(VALU_DEP_3)
	v_cndmask_b32_e64 v14, v14, v21, s4
	v_cmp_eq_f32_e64 s4, 0x7f800000, v18
	v_bfi_b32 v18, 0x7fffffff, v22, v20
	v_cndmask_b32_e64 v14, v14, v15, s5
	s_delay_alu instid0(VALU_DEP_3)
	s_or_b32 s4, s4, s8
	s_delay_alu instid0(VALU_DEP_1) | instid1(SALU_CYCLE_1)
	v_cndmask_b32_e64 v14, v14, v18, s4
	v_cmp_o_f32_e64 s4, v17, v16
	s_delay_alu instid0(VALU_DEP_1)
	v_cndmask_b32_e64 v14, 0x7fc00000, v14, s4
	global_store_b32 v[1:2], v14, off
	s_or_b32 exec_lo, exec_lo, s22
	s_and_saveexec_b32 s8, s3
	s_cbranch_execz .LBB78_13
.LBB78_17:                              ;   in Loop: Header=BB78_4 Depth=1
	s_waitcnt vmcnt(0)
	v_cmp_eq_f32_e64 s4, 1.0, v13
	s_delay_alu instid0(VALU_DEP_1) | instskip(NEXT) | instid1(VALU_DEP_1)
	v_cndmask_b32_e64 v16, s30, 1.0, s4
	v_cmp_eq_f32_e64 s3, 0, v16
	v_cmp_gt_f32_e64 s7, 0, v16
	s_delay_alu instid0(VALU_DEP_2) | instskip(SKIP_1) | instid1(VALU_DEP_2)
	v_cndmask_b32_e64 v17, |v13|, 1.0, s3
	v_cndmask_b32_e64 v13, v13, 1.0, s3
	v_frexp_mant_f32_e32 v14, v17
	s_delay_alu instid0(VALU_DEP_1) | instskip(NEXT) | instid1(VALU_DEP_1)
	v_cmp_gt_f32_e64 s5, 0x3f2aaaab, v14
	v_cndmask_b32_e64 v15, 1.0, 2.0, s5
	s_delay_alu instid0(VALU_DEP_1) | instskip(NEXT) | instid1(VALU_DEP_1)
	v_mul_f32_e32 v14, v14, v15
	v_add_f32_e32 v15, 1.0, v14
	v_add_f32_e32 v19, -1.0, v14
	s_delay_alu instid0(VALU_DEP_2) | instskip(NEXT) | instid1(VALU_DEP_1)
	v_add_f32_e32 v21, -1.0, v15
	v_sub_f32_e32 v14, v14, v21
	v_rcp_f32_e32 v18, v15
	s_waitcnt_depctr 0xfff
	v_mul_f32_e32 v20, v19, v18
	s_delay_alu instid0(VALU_DEP_1) | instskip(NEXT) | instid1(VALU_DEP_1)
	v_mul_f32_e32 v22, v15, v20
	v_fma_f32 v15, v20, v15, -v22
	s_delay_alu instid0(VALU_DEP_1) | instskip(NEXT) | instid1(VALU_DEP_1)
	v_fmac_f32_e32 v15, v20, v14
	v_add_f32_e32 v14, v22, v15
	s_delay_alu instid0(VALU_DEP_1) | instskip(NEXT) | instid1(VALU_DEP_1)
	v_sub_f32_e32 v21, v19, v14
	v_dual_sub_f32 v22, v14, v22 :: v_dual_sub_f32 v19, v19, v21
	s_delay_alu instid0(VALU_DEP_1) | instskip(NEXT) | instid1(VALU_DEP_1)
	v_dual_sub_f32 v15, v22, v15 :: v_dual_sub_f32 v14, v19, v14
	v_add_f32_e32 v14, v15, v14
	s_delay_alu instid0(VALU_DEP_1) | instskip(NEXT) | instid1(VALU_DEP_1)
	v_add_f32_e32 v14, v21, v14
	v_mul_f32_e32 v14, v18, v14
	s_delay_alu instid0(VALU_DEP_1) | instskip(NEXT) | instid1(VALU_DEP_1)
	v_add_f32_e32 v18, v20, v14
	v_sub_f32_e32 v15, v18, v20
	s_delay_alu instid0(VALU_DEP_1) | instskip(NEXT) | instid1(VALU_DEP_1)
	v_sub_f32_e32 v20, v14, v15
	v_dual_mul_f32 v19, v18, v18 :: v_dual_add_f32 v14, v20, v20
	s_delay_alu instid0(VALU_DEP_1) | instskip(NEXT) | instid1(VALU_DEP_1)
	v_fma_f32 v21, v18, v18, -v19
	v_fmac_f32_e32 v21, v18, v14
	v_cvt_f64_f32_e32 v[14:15], v17
	s_delay_alu instid0(VALU_DEP_2) | instskip(NEXT) | instid1(VALU_DEP_1)
	v_add_f32_e32 v22, v19, v21
	v_fmaak_f32 v23, s21, v22, 0x3e91f4c4
	v_sub_f32_e32 v19, v22, v19
	s_delay_alu instid0(VALU_DEP_2) | instskip(NEXT) | instid1(VALU_DEP_2)
	v_fmaak_f32 v23, v22, v23, 0x3ecccdef
	v_sub_f32_e32 v19, v21, v19
	s_delay_alu instid0(VALU_DEP_2) | instskip(NEXT) | instid1(VALU_DEP_1)
	v_mul_f32_e32 v24, v22, v23
	v_fma_f32 v21, v22, v23, -v24
	s_delay_alu instid0(VALU_DEP_1) | instskip(NEXT) | instid1(VALU_DEP_1)
	v_dual_fmac_f32 v21, v19, v23 :: v_dual_mul_f32 v26, v18, v22
	v_add_f32_e32 v23, v24, v21
	v_frexp_exp_i32_f64_e32 v14, v[14:15]
	s_delay_alu instid0(VALU_DEP_2) | instskip(NEXT) | instid1(VALU_DEP_1)
	v_sub_f32_e32 v24, v23, v24
	v_sub_f32_e32 v15, v21, v24
	v_fma_f32 v24, v22, v18, -v26
	s_delay_alu instid0(VALU_DEP_1) | instskip(NEXT) | instid1(VALU_DEP_1)
	v_dual_add_f32 v25, 0x3f2aaaaa, v23 :: v_dual_fmac_f32 v24, v22, v20
	v_add_f32_e32 v21, 0xbf2aaaaa, v25
	v_ldexp_f32 v20, v20, 1
	s_delay_alu instid0(VALU_DEP_3) | instskip(NEXT) | instid1(VALU_DEP_3)
	v_dual_fmac_f32 v24, v19, v18 :: v_dual_add_f32 v15, 0x31739010, v15
	v_sub_f32_e32 v21, v23, v21
	s_delay_alu instid0(VALU_DEP_1) | instskip(NEXT) | instid1(VALU_DEP_1)
	v_add_f32_e32 v15, v15, v21
	v_add_f32_e32 v19, v25, v15
	s_delay_alu instid0(VALU_DEP_1) | instskip(SKIP_1) | instid1(VALU_DEP_2)
	v_sub_f32_e32 v22, v25, v19
	v_subrev_co_ci_u32_e64 v14, s5, 0, v14, s5
	v_add_f32_e32 v15, v15, v22
	s_delay_alu instid0(VALU_DEP_2) | instskip(SKIP_1) | instid1(VALU_DEP_1)
	v_cvt_f32_i32_e32 v14, v14
	v_add_f32_e32 v21, v26, v24
	v_mul_f32_e32 v23, v21, v19
	v_sub_f32_e32 v25, v21, v26
	s_delay_alu instid0(VALU_DEP_2) | instskip(NEXT) | instid1(VALU_DEP_2)
	v_fma_f32 v22, v21, v19, -v23
	v_sub_f32_e32 v24, v24, v25
	s_delay_alu instid0(VALU_DEP_2) | instskip(SKIP_1) | instid1(VALU_DEP_2)
	v_fmac_f32_e32 v22, v21, v15
	v_ldexp_f32 v15, v18, 1
	v_fmac_f32_e32 v22, v24, v19
	s_delay_alu instid0(VALU_DEP_1) | instskip(NEXT) | instid1(VALU_DEP_1)
	v_add_f32_e32 v18, v23, v22
	v_add_f32_e32 v19, v15, v18
	v_sub_f32_e32 v21, v18, v23
	v_mul_f32_e32 v23, 0x3f317218, v14
	s_delay_alu instid0(VALU_DEP_3) | instskip(NEXT) | instid1(VALU_DEP_3)
	v_sub_f32_e32 v15, v19, v15
	v_sub_f32_e32 v21, v22, v21
	s_delay_alu instid0(VALU_DEP_3) | instskip(NEXT) | instid1(VALU_DEP_2)
	v_fma_f32 v22, 0x3f317218, v14, -v23
	v_dual_sub_f32 v15, v18, v15 :: v_dual_add_f32 v18, v20, v21
	s_delay_alu instid0(VALU_DEP_2) | instskip(NEXT) | instid1(VALU_DEP_2)
	v_fmac_f32_e32 v22, 0xb102e308, v14
	v_add_f32_e32 v14, v18, v15
	s_delay_alu instid0(VALU_DEP_1) | instskip(NEXT) | instid1(VALU_DEP_1)
	v_add_f32_e32 v18, v19, v14
	v_sub_f32_e32 v19, v18, v19
	s_delay_alu instid0(VALU_DEP_1) | instskip(NEXT) | instid1(VALU_DEP_1)
	v_dual_sub_f32 v14, v14, v19 :: v_dual_add_f32 v15, v23, v22
	v_sub_f32_e32 v23, v15, v23
	s_delay_alu instid0(VALU_DEP_1) | instskip(SKIP_1) | instid1(VALU_DEP_2)
	v_sub_f32_e32 v22, v22, v23
	v_add_f32_e32 v20, v15, v18
	v_add_f32_e32 v19, v22, v14
	s_delay_alu instid0(VALU_DEP_2) | instskip(NEXT) | instid1(VALU_DEP_1)
	v_sub_f32_e32 v21, v20, v15
	v_sub_f32_e32 v24, v20, v21
	s_delay_alu instid0(VALU_DEP_1) | instskip(NEXT) | instid1(VALU_DEP_1)
	v_dual_sub_f32 v18, v18, v21 :: v_dual_sub_f32 v15, v15, v24
	v_dual_add_f32 v15, v18, v15 :: v_dual_sub_f32 v18, v19, v22
	s_delay_alu instid0(VALU_DEP_1) | instskip(NEXT) | instid1(VALU_DEP_2)
	v_add_f32_e32 v15, v19, v15
	v_sub_f32_e32 v19, v19, v18
	s_delay_alu instid0(VALU_DEP_2) | instskip(NEXT) | instid1(VALU_DEP_1)
	v_dual_sub_f32 v14, v14, v18 :: v_dual_add_f32 v21, v20, v15
	v_dual_sub_f32 v18, v22, v19 :: v_dual_sub_f32 v19, v21, v20
	s_delay_alu instid0(VALU_DEP_1) | instskip(NEXT) | instid1(VALU_DEP_1)
	v_dual_add_f32 v14, v14, v18 :: v_dual_sub_f32 v15, v15, v19
	v_add_f32_e32 v14, v14, v15
	s_delay_alu instid0(VALU_DEP_1) | instskip(NEXT) | instid1(VALU_DEP_1)
	v_add_f32_e32 v15, v21, v14
	v_dual_sub_f32 v18, v15, v21 :: v_dual_mul_f32 v19, v16, v15
	s_delay_alu instid0(VALU_DEP_1) | instskip(NEXT) | instid1(VALU_DEP_2)
	v_sub_f32_e32 v14, v14, v18
	v_fma_f32 v15, v16, v15, -v19
	v_cmp_class_f32_e64 s5, v19, 0x204
	s_delay_alu instid0(VALU_DEP_2) | instskip(NEXT) | instid1(VALU_DEP_1)
	v_fmac_f32_e32 v15, v16, v14
	v_add_f32_e32 v14, v19, v15
	s_delay_alu instid0(VALU_DEP_1) | instskip(NEXT) | instid1(VALU_DEP_1)
	v_cndmask_b32_e64 v18, v14, v19, s5
	v_cmp_eq_f32_e64 s5, 0x42b17218, v18
	s_delay_alu instid0(VALU_DEP_1) | instskip(SKIP_1) | instid1(VALU_DEP_2)
	v_cndmask_b32_e64 v20, 0, 0x37000000, s5
	v_cmp_neq_f32_e64 s5, 0x7f800000, |v18|
	v_sub_f32_e32 v21, v18, v20
	v_sub_f32_e32 v14, v14, v19
	s_delay_alu instid0(VALU_DEP_2) | instskip(NEXT) | instid1(VALU_DEP_2)
	v_mul_f32_e32 v22, 0x3fb8aa3b, v21
	v_sub_f32_e32 v14, v15, v14
	v_trunc_f32_e32 v15, v16
	s_delay_alu instid0(VALU_DEP_3) | instskip(SKIP_1) | instid1(VALU_DEP_4)
	v_fma_f32 v23, 0x3fb8aa3b, v21, -v22
	v_rndne_f32_e32 v24, v22
	v_cndmask_b32_e64 v14, 0, v14, s5
	v_cmp_ngt_f32_e64 s5, 0xc2ce8ed0, v21
	s_delay_alu instid0(VALU_DEP_3) | instskip(SKIP_1) | instid1(VALU_DEP_4)
	v_dual_fmac_f32 v23, 0x32a5705f, v21 :: v_dual_sub_f32 v22, v22, v24
	v_cvt_i32_f32_e32 v19, v24
	v_add_f32_e32 v14, v20, v14
	s_delay_alu instid0(VALU_DEP_3) | instskip(NEXT) | instid1(VALU_DEP_1)
	v_add_f32_e32 v22, v22, v23
	v_exp_f32_e32 v22, v22
	s_waitcnt_depctr 0xfff
	v_ldexp_f32 v19, v22, v19
	v_mul_f32_e32 v22, 0.5, v16
	s_delay_alu instid0(VALU_DEP_2) | instskip(SKIP_2) | instid1(VALU_DEP_4)
	v_cndmask_b32_e64 v18, 0, v19, s5
	v_cndmask_b32_e64 v19, |s30|, 1.0, s4
	v_cmp_nlt_f32_e64 s4, 0x42b17218, v21
	v_trunc_f32_e32 v23, v22
	s_delay_alu instid0(VALU_DEP_3) | instskip(NEXT) | instid1(VALU_DEP_3)
	v_cmp_neq_f32_e64 s3, v16, v19
	v_cndmask_b32_e64 v18, 0x7f800000, v18, s4
	v_cmp_eq_f32_e64 s4, v15, v16
	s_delay_alu instid0(VALU_DEP_4) | instskip(NEXT) | instid1(VALU_DEP_3)
	v_cmp_neq_f32_e64 s5, v23, v22
	v_fma_f32 v14, v18, v14, v18
	v_cmp_class_f32_e64 s6, v18, 0x204
	s_delay_alu instid0(VALU_DEP_3) | instskip(NEXT) | instid1(SALU_CYCLE_1)
	s_and_b32 s5, s4, s5
	v_cndmask_b32_e64 v15, 1.0, v13, s5
	s_delay_alu instid0(VALU_DEP_2) | instskip(SKIP_1) | instid1(VALU_DEP_2)
	v_cndmask_b32_e64 v14, v14, v18, s6
	v_cmp_gt_f32_e64 s6, 1.0, v17
	v_bfi_b32 v14, 0x7fffffff, v14, v15
	s_delay_alu instid0(VALU_DEP_2) | instskip(NEXT) | instid1(SALU_CYCLE_1)
	s_xor_b32 s3, s3, s6
	v_cndmask_b32_e64 v15, v19, 0, s3
	v_cmp_eq_f32_e64 s3, 0, v13
	s_delay_alu instid0(VALU_DEP_3) | instskip(SKIP_1) | instid1(VALU_DEP_1)
	v_cndmask_b32_e64 v18, 0x7fc00000, v14, s4
	v_cmp_eq_f32_e64 s4, 1.0, v17
	v_cndmask_b32_e64 v15, v15, v17, s4
	s_delay_alu instid0(VALU_DEP_4) | instskip(NEXT) | instid1(SALU_CYCLE_1)
	s_xor_b32 s4, s7, s3
	v_cndmask_b32_e64 v20, 0x7f800000, 0, s4
	v_cmp_gt_f32_e64 s4, 0, v13
	s_delay_alu instid0(VALU_DEP_1) | instskip(SKIP_3) | instid1(VALU_DEP_2)
	v_cndmask_b32_e64 v14, v14, v18, s4
	v_cndmask_b32_e64 v18, 0, v13, s5
	v_cmp_eq_f32_e64 s5, 0x7f800000, v19
	v_cmp_eq_f32_e64 s4, 0x7f800000, v17
	v_cndmask_b32_e64 v14, v14, v15, s5
	s_delay_alu instid0(VALU_DEP_4) | instskip(NEXT) | instid1(VALU_DEP_3)
	v_bfi_b32 v15, 0x7fffffff, v20, v18
	s_or_b32 s3, s4, s3
	s_delay_alu instid0(VALU_DEP_1) | instid1(SALU_CYCLE_1)
	v_cndmask_b32_e64 v14, v14, v15, s3
	v_cmp_o_f32_e64 s3, v13, v16
	s_delay_alu instid0(VALU_DEP_1)
	v_cndmask_b32_e64 v13, 0x7fc00000, v14, s3
	global_store_b32 v[3:4], v13, off
	s_or_b32 exec_lo, exec_lo, s8
	s_and_saveexec_b32 s7, s2
	s_cbranch_execz .LBB78_14
.LBB78_18:                              ;   in Loop: Header=BB78_4 Depth=1
	s_waitcnt vmcnt(0)
	v_cmp_eq_f32_e64 s3, 1.0, v12
	s_delay_alu instid0(VALU_DEP_1) | instskip(NEXT) | instid1(VALU_DEP_1)
	v_cndmask_b32_e64 v15, s30, 1.0, s3
	v_cmp_eq_f32_e64 s2, 0, v15
	s_delay_alu instid0(VALU_DEP_1) | instskip(SKIP_1) | instid1(VALU_DEP_2)
	v_cndmask_b32_e64 v16, |v12|, 1.0, s2
	v_cndmask_b32_e64 v12, v12, 1.0, s2
	v_frexp_mant_f32_e32 v13, v16
	v_cmp_gt_f32_e64 s5, 1.0, v16
	s_delay_alu instid0(VALU_DEP_2) | instskip(NEXT) | instid1(VALU_DEP_1)
	v_cmp_gt_f32_e64 s4, 0x3f2aaaab, v13
	v_cndmask_b32_e64 v14, 1.0, 2.0, s4
	s_delay_alu instid0(VALU_DEP_1) | instskip(NEXT) | instid1(VALU_DEP_1)
	v_mul_f32_e32 v13, v13, v14
	v_add_f32_e32 v14, 1.0, v13
	v_add_f32_e32 v18, -1.0, v13
	s_delay_alu instid0(VALU_DEP_2) | instskip(NEXT) | instid1(VALU_DEP_1)
	v_add_f32_e32 v20, -1.0, v14
	v_sub_f32_e32 v13, v13, v20
	v_rcp_f32_e32 v17, v14
	s_waitcnt_depctr 0xfff
	v_mul_f32_e32 v19, v18, v17
	s_delay_alu instid0(VALU_DEP_1) | instskip(NEXT) | instid1(VALU_DEP_1)
	v_mul_f32_e32 v21, v14, v19
	v_fma_f32 v14, v19, v14, -v21
	s_delay_alu instid0(VALU_DEP_1) | instskip(NEXT) | instid1(VALU_DEP_1)
	v_fmac_f32_e32 v14, v19, v13
	v_add_f32_e32 v13, v21, v14
	s_delay_alu instid0(VALU_DEP_1) | instskip(NEXT) | instid1(VALU_DEP_1)
	v_sub_f32_e32 v20, v18, v13
	v_dual_sub_f32 v21, v13, v21 :: v_dual_sub_f32 v18, v18, v20
	s_delay_alu instid0(VALU_DEP_1) | instskip(NEXT) | instid1(VALU_DEP_1)
	v_dual_sub_f32 v14, v21, v14 :: v_dual_sub_f32 v13, v18, v13
	v_add_f32_e32 v13, v14, v13
	s_delay_alu instid0(VALU_DEP_1) | instskip(NEXT) | instid1(VALU_DEP_1)
	v_add_f32_e32 v13, v20, v13
	v_mul_f32_e32 v13, v17, v13
	s_delay_alu instid0(VALU_DEP_1) | instskip(NEXT) | instid1(VALU_DEP_1)
	v_add_f32_e32 v17, v19, v13
	v_sub_f32_e32 v14, v17, v19
	s_delay_alu instid0(VALU_DEP_1) | instskip(NEXT) | instid1(VALU_DEP_1)
	v_sub_f32_e32 v19, v13, v14
	v_dual_mul_f32 v18, v17, v17 :: v_dual_add_f32 v13, v19, v19
	s_delay_alu instid0(VALU_DEP_1) | instskip(NEXT) | instid1(VALU_DEP_1)
	v_fma_f32 v20, v17, v17, -v18
	v_fmac_f32_e32 v20, v17, v13
	v_cvt_f64_f32_e32 v[13:14], v16
	s_delay_alu instid0(VALU_DEP_2) | instskip(NEXT) | instid1(VALU_DEP_1)
	v_add_f32_e32 v21, v18, v20
	v_fmaak_f32 v22, s21, v21, 0x3e91f4c4
	v_sub_f32_e32 v18, v21, v18
	s_delay_alu instid0(VALU_DEP_2) | instskip(NEXT) | instid1(VALU_DEP_2)
	v_fmaak_f32 v22, v21, v22, 0x3ecccdef
	v_sub_f32_e32 v18, v20, v18
	s_delay_alu instid0(VALU_DEP_2) | instskip(NEXT) | instid1(VALU_DEP_1)
	v_mul_f32_e32 v23, v21, v22
	v_fma_f32 v20, v21, v22, -v23
	s_delay_alu instid0(VALU_DEP_1) | instskip(NEXT) | instid1(VALU_DEP_1)
	v_dual_fmac_f32 v20, v18, v22 :: v_dual_mul_f32 v25, v17, v21
	v_add_f32_e32 v22, v23, v20
	v_frexp_exp_i32_f64_e32 v13, v[13:14]
	s_delay_alu instid0(VALU_DEP_2) | instskip(NEXT) | instid1(VALU_DEP_1)
	v_sub_f32_e32 v23, v22, v23
	v_sub_f32_e32 v14, v20, v23
	v_fma_f32 v23, v21, v17, -v25
	s_delay_alu instid0(VALU_DEP_1) | instskip(NEXT) | instid1(VALU_DEP_1)
	v_dual_add_f32 v24, 0x3f2aaaaa, v22 :: v_dual_fmac_f32 v23, v21, v19
	v_add_f32_e32 v20, 0xbf2aaaaa, v24
	v_ldexp_f32 v19, v19, 1
	s_delay_alu instid0(VALU_DEP_3) | instskip(NEXT) | instid1(VALU_DEP_3)
	v_dual_fmac_f32 v23, v18, v17 :: v_dual_add_f32 v14, 0x31739010, v14
	v_sub_f32_e32 v20, v22, v20
	s_delay_alu instid0(VALU_DEP_1) | instskip(NEXT) | instid1(VALU_DEP_1)
	v_add_f32_e32 v14, v14, v20
	v_add_f32_e32 v18, v24, v14
	s_delay_alu instid0(VALU_DEP_1) | instskip(SKIP_1) | instid1(VALU_DEP_2)
	v_sub_f32_e32 v21, v24, v18
	v_subrev_co_ci_u32_e64 v13, s4, 0, v13, s4
	v_add_f32_e32 v14, v14, v21
	s_delay_alu instid0(VALU_DEP_2) | instskip(SKIP_1) | instid1(VALU_DEP_1)
	v_cvt_f32_i32_e32 v13, v13
	v_add_f32_e32 v20, v25, v23
	v_mul_f32_e32 v22, v20, v18
	v_sub_f32_e32 v24, v20, v25
	s_delay_alu instid0(VALU_DEP_2) | instskip(NEXT) | instid1(VALU_DEP_2)
	v_fma_f32 v21, v20, v18, -v22
	v_sub_f32_e32 v23, v23, v24
	s_delay_alu instid0(VALU_DEP_2) | instskip(SKIP_1) | instid1(VALU_DEP_2)
	v_fmac_f32_e32 v21, v20, v14
	v_ldexp_f32 v14, v17, 1
	v_fmac_f32_e32 v21, v23, v18
	s_delay_alu instid0(VALU_DEP_1) | instskip(NEXT) | instid1(VALU_DEP_1)
	v_add_f32_e32 v17, v22, v21
	v_add_f32_e32 v18, v14, v17
	v_sub_f32_e32 v20, v17, v22
	v_mul_f32_e32 v22, 0x3f317218, v13
	s_delay_alu instid0(VALU_DEP_3) | instskip(NEXT) | instid1(VALU_DEP_3)
	v_sub_f32_e32 v14, v18, v14
	v_sub_f32_e32 v20, v21, v20
	s_delay_alu instid0(VALU_DEP_3) | instskip(NEXT) | instid1(VALU_DEP_2)
	v_fma_f32 v21, 0x3f317218, v13, -v22
	v_dual_sub_f32 v14, v17, v14 :: v_dual_add_f32 v17, v19, v20
	s_delay_alu instid0(VALU_DEP_2) | instskip(NEXT) | instid1(VALU_DEP_2)
	v_fmac_f32_e32 v21, 0xb102e308, v13
	v_add_f32_e32 v13, v17, v14
	s_delay_alu instid0(VALU_DEP_1) | instskip(NEXT) | instid1(VALU_DEP_1)
	v_add_f32_e32 v17, v18, v13
	v_sub_f32_e32 v18, v17, v18
	s_delay_alu instid0(VALU_DEP_1) | instskip(NEXT) | instid1(VALU_DEP_1)
	v_dual_sub_f32 v13, v13, v18 :: v_dual_add_f32 v14, v22, v21
	v_sub_f32_e32 v22, v14, v22
	s_delay_alu instid0(VALU_DEP_1) | instskip(SKIP_1) | instid1(VALU_DEP_2)
	v_sub_f32_e32 v21, v21, v22
	v_add_f32_e32 v19, v14, v17
	v_add_f32_e32 v18, v21, v13
	s_delay_alu instid0(VALU_DEP_2) | instskip(NEXT) | instid1(VALU_DEP_1)
	v_sub_f32_e32 v20, v19, v14
	v_sub_f32_e32 v23, v19, v20
	s_delay_alu instid0(VALU_DEP_1) | instskip(NEXT) | instid1(VALU_DEP_1)
	v_dual_sub_f32 v17, v17, v20 :: v_dual_sub_f32 v14, v14, v23
	v_dual_add_f32 v14, v17, v14 :: v_dual_sub_f32 v17, v18, v21
	s_delay_alu instid0(VALU_DEP_1) | instskip(NEXT) | instid1(VALU_DEP_2)
	v_add_f32_e32 v14, v18, v14
	v_sub_f32_e32 v18, v18, v17
	s_delay_alu instid0(VALU_DEP_2) | instskip(NEXT) | instid1(VALU_DEP_1)
	v_dual_sub_f32 v13, v13, v17 :: v_dual_add_f32 v20, v19, v14
	v_dual_sub_f32 v17, v21, v18 :: v_dual_sub_f32 v18, v20, v19
	s_delay_alu instid0(VALU_DEP_1) | instskip(NEXT) | instid1(VALU_DEP_1)
	v_dual_add_f32 v13, v13, v17 :: v_dual_sub_f32 v14, v14, v18
	v_add_f32_e32 v13, v13, v14
	s_delay_alu instid0(VALU_DEP_1) | instskip(NEXT) | instid1(VALU_DEP_1)
	v_add_f32_e32 v14, v20, v13
	v_dual_sub_f32 v17, v14, v20 :: v_dual_mul_f32 v18, v15, v14
	s_delay_alu instid0(VALU_DEP_1) | instskip(NEXT) | instid1(VALU_DEP_2)
	v_sub_f32_e32 v13, v13, v17
	v_fma_f32 v14, v15, v14, -v18
	v_cmp_class_f32_e64 s4, v18, 0x204
	s_delay_alu instid0(VALU_DEP_2) | instskip(NEXT) | instid1(VALU_DEP_1)
	v_fmac_f32_e32 v14, v15, v13
	v_add_f32_e32 v13, v18, v14
	s_delay_alu instid0(VALU_DEP_1) | instskip(NEXT) | instid1(VALU_DEP_1)
	v_cndmask_b32_e64 v17, v13, v18, s4
	v_cmp_eq_f32_e64 s4, 0x42b17218, v17
	s_delay_alu instid0(VALU_DEP_1) | instskip(SKIP_1) | instid1(VALU_DEP_2)
	v_cndmask_b32_e64 v19, 0, 0x37000000, s4
	v_cmp_neq_f32_e64 s4, 0x7f800000, |v17|
	v_sub_f32_e32 v20, v17, v19
	v_sub_f32_e32 v13, v13, v18
	s_delay_alu instid0(VALU_DEP_2) | instskip(NEXT) | instid1(VALU_DEP_2)
	v_mul_f32_e32 v21, 0x3fb8aa3b, v20
	v_sub_f32_e32 v13, v14, v13
	v_trunc_f32_e32 v14, v15
	s_delay_alu instid0(VALU_DEP_3) | instskip(SKIP_1) | instid1(VALU_DEP_4)
	v_fma_f32 v22, 0x3fb8aa3b, v20, -v21
	v_rndne_f32_e32 v23, v21
	v_cndmask_b32_e64 v13, 0, v13, s4
	v_cmp_ngt_f32_e64 s4, 0xc2ce8ed0, v20
	s_delay_alu instid0(VALU_DEP_3) | instskip(SKIP_1) | instid1(VALU_DEP_4)
	v_dual_fmac_f32 v22, 0x32a5705f, v20 :: v_dual_sub_f32 v21, v21, v23
	v_cvt_i32_f32_e32 v18, v23
	v_add_f32_e32 v13, v19, v13
	s_delay_alu instid0(VALU_DEP_3) | instskip(NEXT) | instid1(VALU_DEP_1)
	v_add_f32_e32 v21, v21, v22
	v_exp_f32_e32 v21, v21
	s_waitcnt_depctr 0xfff
	v_ldexp_f32 v18, v21, v18
	v_mul_f32_e32 v21, 0.5, v15
	s_delay_alu instid0(VALU_DEP_2) | instskip(SKIP_2) | instid1(VALU_DEP_4)
	v_cndmask_b32_e64 v17, 0, v18, s4
	v_cndmask_b32_e64 v18, |s30|, 1.0, s3
	v_cmp_nlt_f32_e64 s3, 0x42b17218, v20
	v_trunc_f32_e32 v22, v21
	s_delay_alu instid0(VALU_DEP_3) | instskip(NEXT) | instid1(VALU_DEP_3)
	v_cmp_neq_f32_e64 s2, v15, v18
	v_cndmask_b32_e64 v17, 0x7f800000, v17, s3
	v_cmp_eq_f32_e64 s3, v14, v15
	s_delay_alu instid0(VALU_DEP_4) | instskip(NEXT) | instid1(VALU_DEP_4)
	v_cmp_neq_f32_e64 s4, v22, v21
	s_xor_b32 s2, s2, s5
	s_delay_alu instid0(VALU_DEP_3) | instskip(SKIP_1) | instid1(VALU_DEP_3)
	v_fma_f32 v13, v17, v13, v17
	v_cmp_class_f32_e64 s6, v17, 0x204
	s_and_b32 s4, s3, s4
	v_cmp_eq_f32_e64 s5, 1.0, v16
	v_cndmask_b32_e64 v14, 1.0, v12, s4
	v_cndmask_b32_e64 v20, 0, v12, s4
	v_cndmask_b32_e64 v13, v13, v17, s6
	v_cmp_gt_f32_e64 s6, 0, v15
	v_cndmask_b32_e64 v17, v18, 0, s2
	v_cmp_eq_f32_e64 s2, 0, v12
	v_cmp_eq_f32_e64 s4, 0x7f800000, v18
	v_bfi_b32 v13, 0x7fffffff, v13, v14
	s_delay_alu instid0(VALU_DEP_4) | instskip(NEXT) | instid1(VALU_DEP_2)
	v_cndmask_b32_e64 v14, v17, v16, s5
	v_cndmask_b32_e64 v17, 0x7fc00000, v13, s3
	s_xor_b32 s3, s6, s2
	s_delay_alu instid0(SALU_CYCLE_1) | instskip(SKIP_1) | instid1(VALU_DEP_1)
	v_cndmask_b32_e64 v19, 0x7f800000, 0, s3
	v_cmp_gt_f32_e64 s3, 0, v12
	v_cndmask_b32_e64 v13, v13, v17, s3
	v_cmp_eq_f32_e64 s3, 0x7f800000, v16
	s_delay_alu instid0(VALU_DEP_4) | instskip(NEXT) | instid1(VALU_DEP_3)
	v_bfi_b32 v16, 0x7fffffff, v19, v20
	v_cndmask_b32_e64 v13, v13, v14, s4
	s_delay_alu instid0(VALU_DEP_3)
	s_or_b32 s2, s3, s2
	s_delay_alu instid0(VALU_DEP_1) | instid1(SALU_CYCLE_1)
	v_cndmask_b32_e64 v13, v13, v16, s2
	v_cmp_o_f32_e64 s2, v12, v15
	s_delay_alu instid0(VALU_DEP_1) | instskip(SKIP_1) | instid1(VALU_DEP_1)
	v_cndmask_b32_e64 v14, 0x7fc00000, v13, s2
	v_add_co_u32 v12, s2, v1, s20
	v_add_co_ci_u32_e64 v13, s2, 0, v2, s2
	global_store_b32 v[12:13], v14, off
	s_or_b32 exec_lo, exec_lo, s7
	s_and_saveexec_b32 s6, vcc_lo
	s_cbranch_execz .LBB78_3
.LBB78_19:                              ;   in Loop: Header=BB78_4 Depth=1
	s_waitcnt vmcnt(0)
	v_cmp_eq_f32_e64 s2, 1.0, v11
	s_delay_alu instid0(VALU_DEP_1) | instskip(NEXT) | instid1(VALU_DEP_1)
	v_cndmask_b32_e64 v14, s30, 1.0, s2
	v_cmp_eq_f32_e32 vcc_lo, 0, v14
	v_cndmask_b32_e64 v15, |v11|, 1.0, vcc_lo
	v_cndmask_b32_e64 v11, v11, 1.0, vcc_lo
	s_delay_alu instid0(VALU_DEP_2) | instskip(SKIP_1) | instid1(VALU_DEP_2)
	v_frexp_mant_f32_e32 v12, v15
	v_cmp_gt_f32_e64 s4, 1.0, v15
	v_cmp_gt_f32_e64 s3, 0x3f2aaaab, v12
	s_delay_alu instid0(VALU_DEP_1) | instskip(NEXT) | instid1(VALU_DEP_1)
	v_cndmask_b32_e64 v13, 1.0, 2.0, s3
	v_mul_f32_e32 v12, v12, v13
	s_delay_alu instid0(VALU_DEP_1) | instskip(SKIP_1) | instid1(VALU_DEP_2)
	v_add_f32_e32 v13, 1.0, v12
	v_add_f32_e32 v17, -1.0, v12
	v_add_f32_e32 v19, -1.0, v13
	s_delay_alu instid0(VALU_DEP_1) | instskip(SKIP_3) | instid1(VALU_DEP_1)
	v_sub_f32_e32 v12, v12, v19
	v_rcp_f32_e32 v16, v13
	s_waitcnt_depctr 0xfff
	v_mul_f32_e32 v18, v17, v16
	v_mul_f32_e32 v20, v13, v18
	s_delay_alu instid0(VALU_DEP_1) | instskip(NEXT) | instid1(VALU_DEP_1)
	v_fma_f32 v13, v18, v13, -v20
	v_fmac_f32_e32 v13, v18, v12
	s_delay_alu instid0(VALU_DEP_1) | instskip(NEXT) | instid1(VALU_DEP_1)
	v_add_f32_e32 v12, v20, v13
	v_sub_f32_e32 v19, v17, v12
	s_delay_alu instid0(VALU_DEP_1) | instskip(NEXT) | instid1(VALU_DEP_1)
	v_dual_sub_f32 v20, v12, v20 :: v_dual_sub_f32 v17, v17, v19
	v_dual_sub_f32 v13, v20, v13 :: v_dual_sub_f32 v12, v17, v12
	s_delay_alu instid0(VALU_DEP_1) | instskip(NEXT) | instid1(VALU_DEP_1)
	v_add_f32_e32 v12, v13, v12
	v_add_f32_e32 v12, v19, v12
	s_delay_alu instid0(VALU_DEP_1) | instskip(NEXT) | instid1(VALU_DEP_1)
	v_mul_f32_e32 v12, v16, v12
	v_add_f32_e32 v16, v18, v12
	s_delay_alu instid0(VALU_DEP_1) | instskip(NEXT) | instid1(VALU_DEP_1)
	v_sub_f32_e32 v13, v16, v18
	v_sub_f32_e32 v18, v12, v13
	s_delay_alu instid0(VALU_DEP_1) | instskip(NEXT) | instid1(VALU_DEP_1)
	v_dual_mul_f32 v17, v16, v16 :: v_dual_add_f32 v12, v18, v18
	v_fma_f32 v19, v16, v16, -v17
	s_delay_alu instid0(VALU_DEP_1) | instskip(SKIP_1) | instid1(VALU_DEP_2)
	v_fmac_f32_e32 v19, v16, v12
	v_cvt_f64_f32_e32 v[12:13], v15
	v_add_f32_e32 v20, v17, v19
	s_delay_alu instid0(VALU_DEP_1) | instskip(SKIP_1) | instid1(VALU_DEP_2)
	v_fmaak_f32 v21, s21, v20, 0x3e91f4c4
	v_sub_f32_e32 v17, v20, v17
	v_fmaak_f32 v21, v20, v21, 0x3ecccdef
	s_delay_alu instid0(VALU_DEP_2) | instskip(NEXT) | instid1(VALU_DEP_2)
	v_sub_f32_e32 v17, v19, v17
	v_mul_f32_e32 v22, v20, v21
	s_delay_alu instid0(VALU_DEP_1) | instskip(NEXT) | instid1(VALU_DEP_1)
	v_fma_f32 v19, v20, v21, -v22
	v_dual_fmac_f32 v19, v17, v21 :: v_dual_mul_f32 v24, v16, v20
	s_delay_alu instid0(VALU_DEP_1) | instskip(SKIP_1) | instid1(VALU_DEP_2)
	v_add_f32_e32 v21, v22, v19
	v_frexp_exp_i32_f64_e32 v12, v[12:13]
	v_sub_f32_e32 v22, v21, v22
	s_delay_alu instid0(VALU_DEP_1) | instskip(SKIP_1) | instid1(VALU_DEP_1)
	v_sub_f32_e32 v13, v19, v22
	v_fma_f32 v22, v20, v16, -v24
	v_dual_add_f32 v23, 0x3f2aaaaa, v21 :: v_dual_fmac_f32 v22, v20, v18
	s_delay_alu instid0(VALU_DEP_1) | instskip(SKIP_1) | instid1(VALU_DEP_3)
	v_add_f32_e32 v19, 0xbf2aaaaa, v23
	v_ldexp_f32 v18, v18, 1
	v_dual_fmac_f32 v22, v17, v16 :: v_dual_add_f32 v13, 0x31739010, v13
	s_delay_alu instid0(VALU_DEP_3) | instskip(NEXT) | instid1(VALU_DEP_1)
	v_sub_f32_e32 v19, v21, v19
	v_add_f32_e32 v13, v13, v19
	s_delay_alu instid0(VALU_DEP_1) | instskip(NEXT) | instid1(VALU_DEP_1)
	v_add_f32_e32 v17, v23, v13
	v_sub_f32_e32 v20, v23, v17
	v_subrev_co_ci_u32_e64 v12, s3, 0, v12, s3
	s_delay_alu instid0(VALU_DEP_2) | instskip(NEXT) | instid1(VALU_DEP_2)
	v_add_f32_e32 v13, v13, v20
	v_cvt_f32_i32_e32 v12, v12
	v_add_f32_e32 v19, v24, v22
	s_delay_alu instid0(VALU_DEP_1) | instskip(SKIP_1) | instid1(VALU_DEP_2)
	v_mul_f32_e32 v21, v19, v17
	v_sub_f32_e32 v23, v19, v24
	v_fma_f32 v20, v19, v17, -v21
	s_delay_alu instid0(VALU_DEP_2) | instskip(NEXT) | instid1(VALU_DEP_2)
	v_sub_f32_e32 v22, v22, v23
	v_fmac_f32_e32 v20, v19, v13
	v_ldexp_f32 v13, v16, 1
	s_delay_alu instid0(VALU_DEP_2) | instskip(NEXT) | instid1(VALU_DEP_1)
	v_fmac_f32_e32 v20, v22, v17
	v_add_f32_e32 v16, v21, v20
	s_delay_alu instid0(VALU_DEP_1) | instskip(SKIP_2) | instid1(VALU_DEP_3)
	v_add_f32_e32 v17, v13, v16
	v_sub_f32_e32 v19, v16, v21
	v_mul_f32_e32 v21, 0x3f317218, v12
	v_sub_f32_e32 v13, v17, v13
	s_delay_alu instid0(VALU_DEP_3) | instskip(NEXT) | instid1(VALU_DEP_3)
	v_sub_f32_e32 v19, v20, v19
	v_fma_f32 v20, 0x3f317218, v12, -v21
	s_delay_alu instid0(VALU_DEP_2) | instskip(NEXT) | instid1(VALU_DEP_2)
	v_dual_sub_f32 v13, v16, v13 :: v_dual_add_f32 v16, v18, v19
	v_fmac_f32_e32 v20, 0xb102e308, v12
	s_delay_alu instid0(VALU_DEP_2) | instskip(NEXT) | instid1(VALU_DEP_1)
	v_add_f32_e32 v12, v16, v13
	v_add_f32_e32 v16, v17, v12
	s_delay_alu instid0(VALU_DEP_1) | instskip(NEXT) | instid1(VALU_DEP_1)
	v_sub_f32_e32 v17, v16, v17
	v_dual_sub_f32 v12, v12, v17 :: v_dual_add_f32 v13, v21, v20
	s_delay_alu instid0(VALU_DEP_1) | instskip(NEXT) | instid1(VALU_DEP_1)
	v_sub_f32_e32 v21, v13, v21
	v_sub_f32_e32 v20, v20, v21
	v_add_f32_e32 v18, v13, v16
	s_delay_alu instid0(VALU_DEP_2) | instskip(NEXT) | instid1(VALU_DEP_2)
	v_add_f32_e32 v17, v20, v12
	v_sub_f32_e32 v19, v18, v13
	s_delay_alu instid0(VALU_DEP_1) | instskip(NEXT) | instid1(VALU_DEP_1)
	v_sub_f32_e32 v22, v18, v19
	v_dual_sub_f32 v16, v16, v19 :: v_dual_sub_f32 v13, v13, v22
	s_delay_alu instid0(VALU_DEP_1) | instskip(NEXT) | instid1(VALU_DEP_1)
	v_dual_add_f32 v13, v16, v13 :: v_dual_sub_f32 v16, v17, v20
	v_add_f32_e32 v13, v17, v13
	s_delay_alu instid0(VALU_DEP_2) | instskip(NEXT) | instid1(VALU_DEP_2)
	v_sub_f32_e32 v17, v17, v16
	v_dual_sub_f32 v12, v12, v16 :: v_dual_add_f32 v19, v18, v13
	s_delay_alu instid0(VALU_DEP_1) | instskip(NEXT) | instid1(VALU_DEP_1)
	v_dual_sub_f32 v16, v20, v17 :: v_dual_sub_f32 v17, v19, v18
	v_dual_add_f32 v12, v12, v16 :: v_dual_sub_f32 v13, v13, v17
	s_delay_alu instid0(VALU_DEP_1) | instskip(NEXT) | instid1(VALU_DEP_1)
	v_add_f32_e32 v12, v12, v13
	v_add_f32_e32 v13, v19, v12
	s_delay_alu instid0(VALU_DEP_1) | instskip(NEXT) | instid1(VALU_DEP_1)
	v_dual_sub_f32 v16, v13, v19 :: v_dual_mul_f32 v17, v14, v13
	v_sub_f32_e32 v12, v12, v16
	s_delay_alu instid0(VALU_DEP_2) | instskip(SKIP_1) | instid1(VALU_DEP_2)
	v_fma_f32 v13, v14, v13, -v17
	v_cmp_class_f32_e64 s3, v17, 0x204
	v_fmac_f32_e32 v13, v14, v12
	s_delay_alu instid0(VALU_DEP_1) | instskip(NEXT) | instid1(VALU_DEP_1)
	v_add_f32_e32 v12, v17, v13
	v_cndmask_b32_e64 v16, v12, v17, s3
	s_delay_alu instid0(VALU_DEP_1) | instskip(NEXT) | instid1(VALU_DEP_1)
	v_cmp_eq_f32_e64 s3, 0x42b17218, v16
	v_cndmask_b32_e64 v18, 0, 0x37000000, s3
	v_cmp_neq_f32_e64 s3, 0x7f800000, |v16|
	s_delay_alu instid0(VALU_DEP_2) | instskip(SKIP_1) | instid1(VALU_DEP_2)
	v_sub_f32_e32 v19, v16, v18
	v_sub_f32_e32 v12, v12, v17
	v_mul_f32_e32 v20, 0x3fb8aa3b, v19
	s_delay_alu instid0(VALU_DEP_2) | instskip(SKIP_1) | instid1(VALU_DEP_3)
	v_sub_f32_e32 v12, v13, v12
	v_trunc_f32_e32 v13, v14
	v_fma_f32 v21, 0x3fb8aa3b, v19, -v20
	v_rndne_f32_e32 v22, v20
	s_delay_alu instid0(VALU_DEP_4) | instskip(SKIP_1) | instid1(VALU_DEP_3)
	v_cndmask_b32_e64 v12, 0, v12, s3
	v_cmp_ngt_f32_e64 s3, 0xc2ce8ed0, v19
	v_dual_fmac_f32 v21, 0x32a5705f, v19 :: v_dual_sub_f32 v20, v20, v22
	v_cvt_i32_f32_e32 v17, v22
	s_delay_alu instid0(VALU_DEP_4) | instskip(NEXT) | instid1(VALU_DEP_3)
	v_add_f32_e32 v12, v18, v12
	v_add_f32_e32 v20, v20, v21
	s_delay_alu instid0(VALU_DEP_1) | instskip(SKIP_3) | instid1(VALU_DEP_2)
	v_exp_f32_e32 v20, v20
	s_waitcnt_depctr 0xfff
	v_ldexp_f32 v17, v20, v17
	v_mul_f32_e32 v20, 0.5, v14
	v_cndmask_b32_e64 v16, 0, v17, s3
	v_cndmask_b32_e64 v17, |s30|, 1.0, s2
	v_cmp_nlt_f32_e64 s2, 0x42b17218, v19
	s_delay_alu instid0(VALU_DEP_4) | instskip(NEXT) | instid1(VALU_DEP_3)
	v_trunc_f32_e32 v21, v20
	v_cmp_neq_f32_e32 vcc_lo, v14, v17
	s_delay_alu instid0(VALU_DEP_3) | instskip(SKIP_1) | instid1(VALU_DEP_4)
	v_cndmask_b32_e64 v16, 0x7f800000, v16, s2
	v_cmp_eq_f32_e64 s2, v13, v14
	v_cmp_neq_f32_e64 s3, v21, v20
	s_xor_b32 s4, vcc_lo, s4
	s_delay_alu instid0(VALU_DEP_3) | instskip(SKIP_1) | instid1(VALU_DEP_3)
	v_fma_f32 v12, v16, v12, v16
	v_cmp_class_f32_e64 s5, v16, 0x204
	s_and_b32 s3, s2, s3
	v_cmp_eq_f32_e32 vcc_lo, 0, v11
	v_cndmask_b32_e64 v13, 1.0, v11, s3
	v_cndmask_b32_e64 v19, 0, v11, s3
	v_cndmask_b32_e64 v12, v12, v16, s5
	v_cmp_gt_f32_e64 s5, 0, v14
	v_cndmask_b32_e64 v16, v17, 0, s4
	v_cmp_eq_f32_e64 s4, 1.0, v15
	v_cmp_eq_f32_e64 s3, 0x7f800000, v17
	v_bfi_b32 v12, 0x7fffffff, v12, v13
	s_delay_alu instid0(VALU_DEP_3) | instskip(NEXT) | instid1(VALU_DEP_2)
	v_cndmask_b32_e64 v13, v16, v15, s4
	v_cndmask_b32_e64 v16, 0x7fc00000, v12, s2
	s_xor_b32 s2, s5, vcc_lo
	s_delay_alu instid0(SALU_CYCLE_1) | instskip(SKIP_1) | instid1(VALU_DEP_1)
	v_cndmask_b32_e64 v18, 0x7f800000, 0, s2
	v_cmp_gt_f32_e64 s2, 0, v11
	v_cndmask_b32_e64 v12, v12, v16, s2
	v_cmp_eq_f32_e64 s2, 0x7f800000, v15
	s_delay_alu instid0(VALU_DEP_4) | instskip(NEXT) | instid1(VALU_DEP_3)
	v_bfi_b32 v15, 0x7fffffff, v18, v19
	v_cndmask_b32_e64 v12, v12, v13, s3
	s_delay_alu instid0(VALU_DEP_3) | instskip(NEXT) | instid1(VALU_DEP_1)
	s_or_b32 vcc_lo, s2, vcc_lo
	v_cndmask_b32_e32 v12, v12, v15, vcc_lo
	v_cmp_o_f32_e32 vcc_lo, v11, v14
	s_delay_alu instid0(VALU_DEP_2)
	v_cndmask_b32_e32 v13, 0x7fc00000, v12, vcc_lo
	v_add_co_u32 v11, vcc_lo, v1, s18
	v_add_co_ci_u32_e32 v12, vcc_lo, 0, v2, vcc_lo
	global_store_b32 v[11:12], v13, off
	s_branch .LBB78_3
.LBB78_20:
	s_cbranch_execz .LBB78_22
	s_branch .LBB78_25
.LBB78_21:
.LBB78_22:
	v_dual_mov_b32 v5, 0 :: v_dual_lshlrev_b32 v4, 2, v0
	s_mov_b32 s31, 0
	s_mov_b32 s2, exec_lo
	s_delay_alu instid0(VALU_DEP_1)
	v_cmpx_gt_i64_e64 s[28:29], v[4:5]
	s_cbranch_execz .LBB78_25
; %bb.23:
	s_load_b32 s0, s[0:1], 0xdd4
	v_lshlrev_b32_e32 v1, 4, v0
	s_mov_b32 s35, 0x3e76c4e1
	s_waitcnt lgkmcnt(0)
	s_and_b32 s0, s0, 0xffff
	s_delay_alu instid0(SALU_CYCLE_1) | instskip(SKIP_3) | instid1(VALU_DEP_1)
	s_lshl_b32 s33, s0, 2
	s_add_u32 s1, s10, s12
	s_addc_u32 s2, s11, s13
	v_add_co_u32 v1, s1, s1, v1
	v_add_co_ci_u32_e64 v2, null, s2, 0, s1
	v_add_lshl_u32 v4, v0, s0, 2
	s_delay_alu instid0(VALU_DEP_3) | instskip(NEXT) | instid1(VALU_DEP_3)
	v_add_co_u32 v6, vcc_lo, v1, 8
	v_add_co_ci_u32_e32 v7, vcc_lo, 0, v2, vcc_lo
	s_lshl_b32 s34, s0, 4
.LBB78_24:                              ; =>This Inner Loop Header: Depth=1
	global_load_b128 v[0:3], v[6:7], off offset:-8
	v_cmp_le_i64_e32 vcc_lo, s[28:29], v[4:5]
	v_cmp_lt_u64_e64 s0, 0xffff, v[4:5]
	s_delay_alu instid0(VALU_DEP_1)
	s_or_b32 s0, vcc_lo, s0
	s_waitcnt vmcnt(0)
	v_cmp_eq_f32_e64 s1, 1.0, v0
	v_cmp_eq_f32_e64 s2, 1.0, v1
	;; [unrolled: 1-line block ×4, first 2 shown]
	s_delay_alu instid0(VALU_DEP_4) | instskip(NEXT) | instid1(VALU_DEP_4)
	v_cndmask_b32_e64 v8, s30, 1.0, s1
	v_cndmask_b32_e64 v9, s30, 1.0, s2
	s_delay_alu instid0(VALU_DEP_4)
	v_cndmask_b32_e64 v10, s30, 1.0, s3
	v_cndmask_b32_e64 v12, |s30|, 1.0, s1
	v_cndmask_b32_e64 v11, s30, 1.0, s4
	v_cmp_eq_f32_e64 s5, 0, v8
	v_cmp_eq_f32_e64 s6, 0, v9
	v_trunc_f32_e32 v17, v8
	v_dual_mul_f32 v18, 0.5, v8 :: v_dual_mul_f32 v21, 0.5, v9
	s_delay_alu instid0(VALU_DEP_4) | instskip(NEXT) | instid1(VALU_DEP_4)
	v_cndmask_b32_e64 v16, |v0|, 1.0, s5
	v_cndmask_b32_e64 v19, |v1|, 1.0, s6
	v_cmp_eq_f32_e64 s7, 0, v10
	v_cmp_neq_f32_e64 s11, v8, v12
	v_cmp_eq_f32_e64 s9, 0, v11
	v_frexp_mant_f32_e32 v36, v16
	v_cmp_gt_f32_e64 s12, 1.0, v16
	v_cndmask_b32_e64 v13, |s30|, 1.0, s2
	v_cndmask_b32_e64 v15, |s30|, 1.0, s4
	v_cndmask_b32_e64 v0, v0, 1.0, s5
	v_cmp_eq_f32_e64 s4, v17, v8
	v_trunc_f32_e32 v17, v18
	v_frexp_mant_f32_e32 v37, v19
	v_cmp_gt_f32_e64 s23, 0x3f2aaaab, v36
	v_cndmask_b32_e64 v23, |v2|, 1.0, s7
	v_cndmask_b32_e64 v2, v2, 1.0, s7
	s_xor_b32 s7, s11, s12
	v_cndmask_b32_e64 v14, |s30|, 1.0, s3
	v_cndmask_b32_e64 v34, |v3|, 1.0, s9
	v_cmp_gt_f32_e64 s13, 0, v8
	v_cmp_neq_f32_e64 s14, v9, v13
	v_cmp_gt_f32_e64 s18, 1.0, v19
	v_cmp_neq_f32_e64 s24, v17, v18
	v_cndmask_b32_e64 v17, v12, 0, s7
	v_cmp_eq_f32_e64 s7, 0, v0
	v_cndmask_b32_e64 v1, v1, 1.0, s6
	v_cndmask_b32_e64 v40, 1.0, 2.0, s23
	v_cmp_gt_f32_e64 s25, 0x3f2aaaab, v37
	v_trunc_f32_e32 v22, v10
	v_dual_mul_f32 v24, 0.5, v10 :: v_dual_mul_f32 v35, 0.5, v11
	v_trunc_f32_e32 v25, v11
	v_frexp_mant_f32_e32 v38, v23
	v_cmp_neq_f32_e64 s19, v10, v14
	v_cmp_gt_f32_e64 s20, 1.0, v23
	v_frexp_mant_f32_e32 v39, v34
	v_cndmask_b32_e64 v3, v3, 1.0, s9
	s_xor_b32 s9, s14, s18
	s_xor_b32 s13, s13, s7
	v_cmp_gt_f32_e64 s15, 0, v9
	v_cndmask_b32_e64 v18, 1.0, 2.0, s25
	v_cndmask_b32_e64 v41, v13, 0, s9
	v_cmp_eq_f32_e64 s9, 0, v1
	v_mul_f32_e32 v36, v36, v40
	v_cmp_eq_f32_e64 s14, 1.0, v16
	v_mul_f32_e32 v37, v37, v18
	v_cndmask_b32_e64 v40, 0x7f800000, 0, s13
	v_cmp_eq_f32_e64 s13, 1.0, v19
	v_cmp_eq_f32_e64 s8, v22, v10
	v_trunc_f32_e32 v22, v24
	v_cmp_eq_f32_e64 s10, v25, v11
	v_trunc_f32_e32 v25, v35
	v_cmp_gt_f32_e64 s18, 0x3f2aaaab, v38
	s_xor_b32 s11, s19, s20
	v_cmp_gt_f32_e64 s19, 0x3f2aaaab, v39
	v_cvt_f64_f32_e32 v[26:27], v16
	v_cmp_eq_f32_e64 s1, 0x7f800000, v16
	v_cmp_neq_f32_e64 s21, v11, v15
	v_cmp_gt_f32_e64 s22, 1.0, v34
	v_cndmask_b32_e64 v16, v17, v16, s14
	v_cndmask_b32_e64 v17, v41, v19, s13
	s_xor_b32 s13, s15, s9
	v_cmp_gt_f32_e64 s16, 0, v10
	v_cndmask_b32_e64 v42, 1.0, 2.0, s18
	v_cmp_neq_f32_e64 s27, v22, v24
	v_cndmask_b32_e64 v24, v14, 0, s11
	v_cmp_eq_f32_e64 s11, 0, v2
	v_cndmask_b32_e64 v43, 1.0, 2.0, s19
	v_cmp_neq_f32_e64 s20, v25, v35
	v_cndmask_b32_e64 v25, 0x7f800000, 0, s13
	v_cmp_eq_f32_e64 s13, 1.0, v23
	s_xor_b32 s12, s21, s22
	v_dual_mul_f32 v38, v38, v42 :: v_dual_mul_f32 v39, v39, v43
	v_cndmask_b32_e64 v35, v15, 0, s12
	s_delay_alu instid0(VALU_DEP_3)
	v_cndmask_b32_e64 v18, v24, v23, s13
	s_xor_b32 s13, s16, s11
	v_cmp_eq_f32_e64 s16, 1.0, v34
	v_cvt_f64_f32_e32 v[28:29], v19
	v_cmp_eq_f32_e64 s2, 0x7f800000, v19
	v_dual_add_f32 v44, 1.0, v38 :: v_dual_add_f32 v45, 1.0, v39
	s_delay_alu instid0(VALU_DEP_4) | instskip(SKIP_1) | instid1(VALU_DEP_3)
	v_cndmask_b32_e64 v19, v35, v34, s16
	v_dual_add_f32 v35, 1.0, v36 :: v_dual_add_f32 v42, 1.0, v37
	v_rcp_f32_e32 v50, v44
	s_delay_alu instid0(VALU_DEP_3) | instskip(SKIP_1) | instid1(VALU_DEP_2)
	v_rcp_f32_e32 v51, v45
	v_cvt_f64_f32_e32 v[30:31], v23
	v_rcp_f32_e32 v47, v35
	v_cvt_f64_f32_e32 v[32:33], v34
	v_cmp_eq_f32_e64 s5, 0x7f800000, v34
	v_dual_add_f32 v34, -1.0, v36 :: v_dual_add_f32 v41, -1.0, v37
	v_dual_add_f32 v43, -1.0, v38 :: v_dual_add_f32 v46, -1.0, v35
	;; [unrolled: 1-line block ×3, first 2 shown]
	v_add_f32_e32 v52, -1.0, v44
	v_rcp_f32_e32 v49, v42
	s_delay_alu instid0(VALU_DEP_2) | instskip(NEXT) | instid1(VALU_DEP_3)
	v_dual_add_f32 v54, -1.0, v45 :: v_dual_sub_f32 v37, v37, v48
	v_dual_sub_f32 v36, v36, v46 :: v_dual_mul_f32 v55, v53, v51
	s_delay_alu instid0(VALU_DEP_2)
	v_dual_sub_f32 v38, v38, v52 :: v_dual_sub_f32 v39, v39, v54
	v_mul_f32_e32 v52, v43, v50
	v_mul_f32_e32 v46, v34, v47
	v_frexp_exp_i32_f64_e32 v26, v[26:27]
	v_cmp_gt_f32_e64 s17, 0, v11
	v_cmp_eq_f32_e64 s12, 0, v3
	s_delay_alu instid0(VALU_DEP_4) | instskip(SKIP_2) | instid1(VALU_DEP_3)
	v_dual_mul_f32 v57, v44, v52 :: v_dual_mul_f32 v54, v35, v46
	v_cndmask_b32_e64 v24, 0x7f800000, 0, s13
	s_and_b32 s13, s10, s20
	s_xor_b32 s16, s17, s12
	v_cmp_eq_f32_e64 s3, 0x7f800000, v23
	v_fma_f32 v27, v46, v35, -v54
	v_mul_f32_e32 v48, v41, v49
	v_frexp_exp_i32_f64_e32 v28, v[28:29]
	v_cndmask_b32_e64 v23, 1.0, v3, s13
	s_and_b32 s21, s4, s24
	v_fmac_f32_e32 v27, v46, v36
	v_mul_f32_e32 v56, v42, v48
	v_trunc_f32_e32 v20, v9
	s_and_b32 s15, s8, s27
	v_frexp_exp_i32_f64_e32 v30, v[30:31]
	v_cndmask_b32_e64 v22, 1.0, v2, s15
	v_fma_f32 v29, v48, v42, -v56
	v_frexp_exp_i32_f64_e32 v32, v[32:33]
	v_cmp_eq_f32_e64 s6, v20, v9
	v_trunc_f32_e32 v20, v21
	s_or_b32 s1, s1, s7
	v_fmac_f32_e32 v29, v48, v37
	v_fma_f32 v35, v52, v44, -v57
	s_delay_alu instid0(VALU_DEP_3) | instskip(SKIP_1) | instid1(VALU_DEP_3)
	v_cmp_neq_f32_e64 s26, v20, v21
	v_cndmask_b32_e64 v20, 1.0, v0, s21
	v_fmac_f32_e32 v35, v52, v38
	v_add_f32_e32 v33, v56, v29
	v_add_f32_e32 v31, v54, v27
	s_and_b32 s14, s6, s26
	s_delay_alu instid0(SALU_CYCLE_1) | instskip(NEXT) | instid1(VALU_DEP_2)
	v_cndmask_b32_e64 v21, 1.0, v1, s14
	v_sub_f32_e32 v38, v31, v54
	v_sub_f32_e32 v44, v33, v56
	s_delay_alu instid0(VALU_DEP_1) | instskip(NEXT) | instid1(VALU_DEP_1)
	v_dual_mul_f32 v58, v45, v55 :: v_dual_sub_f32 v29, v44, v29
	v_fma_f32 v42, v55, v45, -v58
	s_delay_alu instid0(VALU_DEP_1) | instskip(SKIP_3) | instid1(VALU_DEP_3)
	v_dual_sub_f32 v45, v41, v33 :: v_dual_fmac_f32 v42, v55, v39
	v_add_f32_e32 v36, v57, v35
	v_sub_f32_e32 v39, v34, v31
	v_sub_f32_e32 v27, v38, v27
	v_dual_add_f32 v37, v58, v42 :: v_dual_sub_f32 v54, v36, v57
	s_delay_alu instid0(VALU_DEP_1) | instskip(NEXT) | instid1(VALU_DEP_2)
	v_dual_sub_f32 v57, v37, v58 :: v_dual_sub_f32 v56, v43, v36
	v_dual_sub_f32 v35, v54, v35 :: v_dual_sub_f32 v58, v53, v37
	v_sub_f32_e32 v34, v34, v39
	s_delay_alu instid0(VALU_DEP_3) | instskip(NEXT) | instid1(VALU_DEP_3)
	v_dual_sub_f32 v38, v41, v45 :: v_dual_sub_f32 v41, v43, v56
	v_sub_f32_e32 v43, v53, v58
	s_delay_alu instid0(VALU_DEP_3) | instskip(NEXT) | instid1(VALU_DEP_3)
	v_dual_sub_f32 v31, v34, v31 :: v_dual_sub_f32 v42, v57, v42
	v_dual_sub_f32 v33, v38, v33 :: v_dual_sub_f32 v34, v41, v36
	s_delay_alu instid0(VALU_DEP_2) | instskip(NEXT) | instid1(VALU_DEP_2)
	v_add_f32_e32 v27, v27, v31
	v_add_f32_e32 v31, v35, v34
	v_sub_f32_e32 v36, v43, v37
	v_cndmask_b32_e64 v37, 0x7f800000, 0, s16
	v_subrev_co_ci_u32_e64 v28, s16, 0, v28, s25
	s_delay_alu instid0(VALU_DEP_4) | instskip(SKIP_1) | instid1(VALU_DEP_3)
	v_add_f32_e32 v31, v56, v31
	v_subrev_co_ci_u32_e64 v32, s16, 0, v32, s19
	v_cvt_f32_i32_e32 v28, v28
	v_add_f32_e32 v27, v39, v27
	s_delay_alu instid0(VALU_DEP_4) | instskip(SKIP_3) | instid1(VALU_DEP_3)
	v_mul_f32_e32 v31, v50, v31
	v_add_f32_e32 v29, v29, v33
	v_cvt_f32_i32_e32 v32, v32
	v_subrev_co_ci_u32_e64 v30, s16, 0, v30, s18
	v_dual_add_f32 v38, v52, v31 :: v_dual_add_f32 v29, v45, v29
	s_delay_alu instid0(VALU_DEP_3) | instskip(NEXT) | instid1(VALU_DEP_3)
	v_dual_mul_f32 v44, 0x3f317218, v32 :: v_dual_mul_f32 v27, v47, v27
	v_cvt_f32_i32_e32 v30, v30
	v_subrev_co_ci_u32_e64 v26, s16, 0, v26, s23
	s_delay_alu instid0(VALU_DEP_4) | instskip(NEXT) | instid1(VALU_DEP_4)
	v_mul_f32_e32 v29, v49, v29
	v_add_f32_e32 v35, v46, v27
	v_add_f32_e32 v33, v42, v36
	v_mul_f32_e32 v42, 0x3f317218, v28
	v_fma_f32 v60, 0x3f317218, v32, -v44
	s_delay_alu instid0(VALU_DEP_4) | instskip(NEXT) | instid1(VALU_DEP_4)
	v_dual_add_f32 v36, v48, v29 :: v_dual_sub_f32 v45, v35, v46
	v_dual_mul_f32 v46, v35, v35 :: v_dual_add_f32 v33, v58, v33
	s_delay_alu instid0(VALU_DEP_4) | instskip(NEXT) | instid1(VALU_DEP_3)
	v_fma_f32 v58, 0x3f317218, v28, -v42
	v_sub_f32_e32 v48, v36, v48
	v_fmac_f32_e32 v60, 0xb102e308, v32
	v_mul_f32_e32 v43, 0x3f317218, v30
	s_delay_alu instid0(VALU_DEP_4) | instskip(SKIP_1) | instid1(VALU_DEP_4)
	v_dual_mul_f32 v33, v51, v33 :: v_dual_fmac_f32 v58, 0xb102e308, v28
	v_cvt_f32_i32_e32 v26, v26
	v_add_f32_e32 v68, v44, v60
	s_delay_alu instid0(VALU_DEP_4) | instskip(NEXT) | instid1(VALU_DEP_4)
	v_fma_f32 v59, 0x3f317218, v30, -v43
	v_dual_add_f32 v39, v55, v33 :: v_dual_add_f32 v66, v42, v58
	v_ldexp_f32 v53, v38, 1
	v_ldexp_f32 v50, v36, 1
	s_delay_alu instid0(VALU_DEP_3)
	v_dual_fmac_f32 v59, 0xb102e308, v30 :: v_dual_sub_f32 v54, v39, v55
	v_mul_f32_e32 v55, v39, v39
	v_sub_f32_e32 v29, v29, v48
	v_ldexp_f32 v56, v39, 1
	v_cndmask_b32_e64 v34, 0, v0, s21
	v_sub_f32_e32 v33, v33, v54
	v_fma_f32 v54, v39, v39, -v55
	v_add_f32_e32 v30, v29, v29
	v_ldexp_f32 v47, v35, 1
	s_delay_alu instid0(VALU_DEP_4) | instskip(NEXT) | instid1(VALU_DEP_1)
	v_add_f32_e32 v63, v33, v33
	v_dual_mul_f32 v49, v36, v36 :: v_dual_fmac_f32 v54, v39, v63
	s_delay_alu instid0(VALU_DEP_1) | instskip(SKIP_2) | instid1(VALU_DEP_3)
	v_fma_f32 v48, v36, v36, -v49
	v_sub_f32_e32 v51, v38, v52
	v_mul_f32_e32 v52, v38, v38
	v_dual_fmac_f32 v48, v36, v30 :: v_dual_sub_f32 v27, v27, v45
	v_mul_f32_e32 v41, 0x3f317218, v26
	v_fma_f32 v45, v35, v35, -v46
	v_sub_f32_e32 v30, v66, v42
	v_add_f32_e32 v63, v55, v54
	s_delay_alu instid0(VALU_DEP_4) | instskip(NEXT) | instid1(VALU_DEP_2)
	v_fma_f32 v57, 0x3f317218, v26, -v41
	v_sub_f32_e32 v55, v63, v55
	s_delay_alu instid0(VALU_DEP_2) | instskip(SKIP_1) | instid1(VALU_DEP_1)
	v_dual_mul_f32 v76, v39, v63 :: v_dual_fmac_f32 v57, 0xb102e308, v26
	v_add_f32_e32 v26, v27, v27
	v_dual_sub_f32 v54, v54, v55 :: v_dual_fmac_f32 v45, v35, v26
	s_delay_alu instid0(VALU_DEP_1) | instskip(SKIP_2) | instid1(VALU_DEP_3)
	v_dual_add_f32 v42, v46, v45 :: v_dual_sub_f32 v31, v31, v51
	v_fma_f32 v51, v38, v38, -v52
	v_ldexp_f32 v32, v29, 1
	v_dual_sub_f32 v46, v42, v46 :: v_dual_add_f32 v61, v31, v31
	v_mul_f32_e32 v70, v35, v42
	v_ldexp_f32 v62, v31, 1
	s_delay_alu instid0(VALU_DEP_3) | instskip(NEXT) | instid1(VALU_DEP_4)
	v_sub_f32_e32 v45, v45, v46
	v_fmac_f32_e32 v51, v38, v61
	s_delay_alu instid0(VALU_DEP_4) | instskip(NEXT) | instid1(VALU_DEP_2)
	v_fma_f32 v46, v42, v35, -v70
	v_add_f32_e32 v61, v52, v51
	s_delay_alu instid0(VALU_DEP_1) | instskip(SKIP_2) | instid1(VALU_DEP_2)
	v_sub_f32_e32 v52, v61, v52
	v_add_f32_e32 v65, v41, v57
	v_dual_mul_f32 v74, v38, v61 :: v_dual_add_f32 v67, v43, v59
	v_dual_sub_f32 v51, v51, v52 :: v_dual_sub_f32 v26, v65, v41
	s_delay_alu instid0(VALU_DEP_2) | instskip(NEXT) | instid1(VALU_DEP_3)
	v_fma_f32 v52, v61, v38, -v74
	v_sub_f32_e32 v41, v67, v43
	v_sub_f32_e32 v43, v68, v44
	v_add_f32_e32 v44, v49, v48
	v_fmac_f32_e32 v46, v42, v27
	v_fmac_f32_e32 v52, v61, v31
	v_sub_f32_e32 v26, v57, v26
	v_ldexp_f32 v28, v27, 1
	v_mul_f32_e32 v72, v36, v44
	v_fmac_f32_e32 v46, v45, v35
	v_fma_f32 v55, v63, v39, -v76
	v_dual_fmac_f32 v52, v51, v38 :: v_dual_sub_f32 v49, v44, v49
	v_ldexp_f32 v64, v33, 1
	s_delay_alu instid0(VALU_DEP_3) | instskip(NEXT) | instid1(VALU_DEP_3)
	v_fmac_f32_e32 v55, v63, v33
	v_sub_f32_e32 v48, v48, v49
	v_fma_f32 v49, v44, v36, -v72
	s_delay_alu instid0(VALU_DEP_3) | instskip(SKIP_1) | instid1(VALU_DEP_3)
	v_fmac_f32_e32 v55, v54, v39
	v_fmaak_f32 v73, s35, v61, 0x3e91f4c4
	v_fmac_f32_e32 v49, v44, v29
	s_delay_alu instid0(VALU_DEP_2) | instskip(NEXT) | instid1(VALU_DEP_2)
	v_fmaak_f32 v73, v61, v73, 0x3ecccdef
	v_fmac_f32_e32 v49, v48, v36
	s_delay_alu instid0(VALU_DEP_2) | instskip(NEXT) | instid1(VALU_DEP_1)
	v_mul_f32_e32 v31, v61, v73
	v_fma_f32 v38, v61, v73, -v31
	s_delay_alu instid0(VALU_DEP_1) | instskip(NEXT) | instid1(VALU_DEP_1)
	v_dual_fmaak_f32 v71, s35, v44, 0x3e91f4c4 :: v_dual_fmac_f32 v38, v51, v73
	v_fmaak_f32 v71, v44, v71, 0x3ecccdef
	v_fmaak_f32 v75, s35, v63, 0x3e91f4c4
	s_delay_alu instid0(VALU_DEP_2) | instskip(NEXT) | instid1(VALU_DEP_1)
	v_mul_f32_e32 v29, v44, v71
	v_fma_f32 v36, v44, v71, -v29
	v_dual_fmaak_f32 v69, s35, v42, 0x3e91f4c4 :: v_dual_add_f32 v44, v72, v49
	s_delay_alu instid0(VALU_DEP_1) | instskip(NEXT) | instid1(VALU_DEP_2)
	v_dual_fmac_f32 v36, v48, v71 :: v_dual_fmaak_f32 v69, v42, v69, 0x3ecccdef
	v_sub_f32_e32 v61, v44, v72
	s_delay_alu instid0(VALU_DEP_2) | instskip(NEXT) | instid1(VALU_DEP_1)
	v_mul_f32_e32 v27, v42, v69
	v_fma_f32 v35, v42, v69, -v27
	v_add_f32_e32 v42, v70, v46
	s_delay_alu instid0(VALU_DEP_1) | instskip(SKIP_2) | instid1(VALU_DEP_3)
	v_sub_f32_e32 v51, v42, v70
	v_add_f32_e32 v70, v31, v38
	v_fmaak_f32 v75, v63, v75, 0x3ecccdef
	v_sub_f32_e32 v46, v46, v51
	s_delay_alu instid0(VALU_DEP_3) | instskip(NEXT) | instid1(VALU_DEP_3)
	v_sub_f32_e32 v31, v70, v31
	v_mul_f32_e32 v33, v63, v75
	s_delay_alu instid0(VALU_DEP_2) | instskip(NEXT) | instid1(VALU_DEP_2)
	v_sub_f32_e32 v31, v38, v31
	v_fma_f32 v39, v63, v75, -v33
	s_delay_alu instid0(VALU_DEP_2) | instskip(NEXT) | instid1(VALU_DEP_2)
	v_add_f32_e32 v31, 0x31739010, v31
	v_fmac_f32_e32 v39, v54, v75
	s_delay_alu instid0(VALU_DEP_1) | instskip(SKIP_2) | instid1(VALU_DEP_3)
	v_add_f32_e32 v72, v33, v39
	v_fmac_f32_e32 v35, v45, v69
	v_add_f32_e32 v45, v74, v52
	v_add_f32_e32 v75, 0x3f2aaaaa, v72
	s_delay_alu instid0(VALU_DEP_2) | instskip(SKIP_1) | instid1(VALU_DEP_1)
	v_sub_f32_e32 v69, v45, v74
	v_add_f32_e32 v74, 0x3f2aaaaa, v70
	v_add_f32_e32 v38, 0xbf2aaaaa, v74
	;; [unrolled: 1-line block ×3, first 2 shown]
	s_delay_alu instid0(VALU_DEP_2) | instskip(NEXT) | instid1(VALU_DEP_2)
	v_sub_f32_e32 v38, v70, v38
	v_add_f32_e32 v51, 0x3f2aaaaa, v54
	v_sub_f32_e32 v27, v54, v27
	s_delay_alu instid0(VALU_DEP_3) | instskip(NEXT) | instid1(VALU_DEP_2)
	v_dual_add_f32 v31, v31, v38 :: v_dual_sub_f32 v38, v52, v69
	v_sub_f32_e32 v27, v35, v27
	s_delay_alu instid0(VALU_DEP_4) | instskip(NEXT) | instid1(VALU_DEP_2)
	v_add_f32_e32 v35, 0xbf2aaaaa, v51
	v_add_f32_e32 v27, 0x31739010, v27
	s_delay_alu instid0(VALU_DEP_2) | instskip(NEXT) | instid1(VALU_DEP_1)
	v_sub_f32_e32 v35, v54, v35
	v_add_f32_e32 v27, v27, v35
	v_sub_f32_e32 v35, v49, v61
	v_add_f32_e32 v49, v74, v31
	s_delay_alu instid0(VALU_DEP_1) | instskip(SKIP_2) | instid1(VALU_DEP_2)
	v_mul_f32_e32 v70, v45, v49
	v_sub_f32_e32 v33, v72, v33
	v_sub_f32_e32 v69, v74, v49
	;; [unrolled: 1-line block ×3, first 2 shown]
	v_add_f32_e32 v39, 0xbf2aaaaa, v75
	s_delay_alu instid0(VALU_DEP_3) | instskip(NEXT) | instid1(VALU_DEP_3)
	v_add_f32_e32 v31, v31, v69
	v_add_f32_e32 v33, 0x31739010, v33
	s_delay_alu instid0(VALU_DEP_3) | instskip(NEXT) | instid1(VALU_DEP_1)
	v_sub_f32_e32 v39, v72, v39
	v_add_f32_e32 v33, v33, v39
	s_delay_alu instid0(VALU_DEP_1) | instskip(NEXT) | instid1(VALU_DEP_1)
	v_dual_add_f32 v52, v75, v33 :: v_dual_add_f32 v63, v29, v36
	v_dual_sub_f32 v72, v75, v52 :: v_dual_add_f32 v73, 0x3f2aaaaa, v63
	v_dual_sub_f32 v29, v63, v29 :: v_dual_add_f32 v48, v76, v55
	s_delay_alu instid0(VALU_DEP_2) | instskip(NEXT) | instid1(VALU_DEP_2)
	v_add_f32_e32 v33, v33, v72
	v_sub_f32_e32 v29, v36, v29
	s_delay_alu instid0(VALU_DEP_4) | instskip(NEXT) | instid1(VALU_DEP_1)
	v_add_f32_e32 v36, 0xbf2aaaaa, v73
	v_dual_add_f32 v29, 0x31739010, v29 :: v_dual_sub_f32 v36, v63, v36
	s_delay_alu instid0(VALU_DEP_1) | instskip(NEXT) | instid1(VALU_DEP_1)
	v_dual_add_f32 v29, v29, v36 :: v_dual_add_f32 v36, v51, v27
	v_add_f32_e32 v39, v73, v29
	s_delay_alu instid0(VALU_DEP_2) | instskip(NEXT) | instid1(VALU_DEP_2)
	v_sub_f32_e32 v51, v51, v36
	v_dual_mul_f32 v54, v42, v36 :: v_dual_sub_f32 v61, v73, v39
	v_mul_f32_e32 v73, v48, v52
	v_mul_f32_e32 v63, v44, v39
	s_delay_alu instid0(VALU_DEP_4) | instskip(NEXT) | instid1(VALU_DEP_4)
	v_add_f32_e32 v27, v27, v51
	v_fma_f32 v51, v42, v36, -v54
	v_add_f32_e32 v29, v29, v61
	v_fma_f32 v72, v48, v52, -v73
	v_fma_f32 v61, v44, v39, -v63
	s_delay_alu instid0(VALU_DEP_2) | instskip(SKIP_1) | instid1(VALU_DEP_3)
	v_dual_fmac_f32 v51, v42, v27 :: v_dual_fmac_f32 v72, v48, v33
	v_fma_f32 v69, v45, v49, -v70
	v_fmac_f32_e32 v61, v44, v29
	v_sub_f32_e32 v29, v58, v30
	s_delay_alu instid0(VALU_DEP_4) | instskip(NEXT) | instid1(VALU_DEP_4)
	v_fmac_f32_e32 v51, v46, v36
	v_fmac_f32_e32 v69, v45, v31
	s_delay_alu instid0(VALU_DEP_4) | instskip(NEXT) | instid1(VALU_DEP_2)
	v_fmac_f32_e32 v61, v35, v39
	v_fmac_f32_e32 v69, v38, v49
	s_delay_alu instid0(VALU_DEP_2) | instskip(NEXT) | instid1(VALU_DEP_2)
	v_add_f32_e32 v30, v63, v61
	v_add_f32_e32 v31, v70, v69
	s_delay_alu instid0(VALU_DEP_2) | instskip(NEXT) | instid1(VALU_DEP_2)
	v_dual_sub_f32 v71, v48, v76 :: v_dual_sub_f32 v38, v30, v63
	v_dual_add_f32 v39, v50, v30 :: v_dual_add_f32 v44, v53, v31
	s_delay_alu instid0(VALU_DEP_2) | instskip(NEXT) | instid1(VALU_DEP_2)
	v_dual_sub_f32 v27, v55, v71 :: v_dual_sub_f32 v38, v61, v38
	v_sub_f32_e32 v48, v39, v50
	s_delay_alu instid0(VALU_DEP_3) | instskip(NEXT) | instid1(VALU_DEP_3)
	v_dual_sub_f32 v42, v31, v70 :: v_dual_sub_f32 v49, v44, v53
	v_fmac_f32_e32 v72, v27, v52
	s_delay_alu instid0(VALU_DEP_4) | instskip(NEXT) | instid1(VALU_DEP_4)
	v_add_f32_e32 v32, v32, v38
	v_sub_f32_e32 v30, v30, v48
	s_delay_alu instid0(VALU_DEP_4) | instskip(NEXT) | instid1(VALU_DEP_2)
	v_dual_sub_f32 v42, v69, v42 :: v_dual_sub_f32 v31, v31, v49
	v_dual_add_f32 v33, v73, v72 :: v_dual_add_f32 v30, v32, v30
	s_delay_alu instid0(VALU_DEP_1) | instskip(SKIP_1) | instid1(VALU_DEP_1)
	v_sub_f32_e32 v45, v33, v73
	v_add_f32_e32 v46, v56, v33
	v_dual_sub_f32 v45, v72, v45 :: v_dual_sub_f32 v50, v46, v56
	s_delay_alu instid0(VALU_DEP_1) | instskip(NEXT) | instid1(VALU_DEP_1)
	v_dual_add_f32 v38, v64, v45 :: v_dual_sub_f32 v33, v33, v50
	v_add_f32_e32 v32, v38, v33
	v_add_f32_e32 v38, v39, v30
	s_delay_alu instid0(VALU_DEP_1) | instskip(SKIP_1) | instid1(VALU_DEP_1)
	v_add_f32_e32 v45, v66, v38
	v_add_f32_e32 v27, v54, v51
	v_sub_f32_e32 v35, v27, v54
	v_add_f32_e32 v36, v47, v27
	s_delay_alu instid0(VALU_DEP_2) | instskip(NEXT) | instid1(VALU_DEP_2)
	v_sub_f32_e32 v35, v51, v35
	v_sub_f32_e32 v47, v36, v47
	s_delay_alu instid0(VALU_DEP_2) | instskip(NEXT) | instid1(VALU_DEP_2)
	v_dual_add_f32 v28, v28, v35 :: v_dual_add_f32 v35, v62, v42
	v_dual_sub_f32 v27, v27, v47 :: v_dual_add_f32 v42, v46, v32
	s_delay_alu instid0(VALU_DEP_2) | instskip(NEXT) | instid1(VALU_DEP_2)
	v_add_f32_e32 v31, v35, v31
	v_dual_add_f32 v27, v28, v27 :: v_dual_sub_f32 v28, v59, v41
	s_delay_alu instid0(VALU_DEP_3) | instskip(NEXT) | instid1(VALU_DEP_3)
	v_dual_sub_f32 v35, v60, v43 :: v_dual_sub_f32 v46, v42, v46
	v_add_f32_e32 v41, v44, v31
	s_delay_alu instid0(VALU_DEP_3) | instskip(SKIP_1) | instid1(VALU_DEP_4)
	v_add_f32_e32 v33, v36, v27
	v_add_f32_e32 v48, v68, v42
	v_sub_f32_e32 v32, v32, v46
	s_delay_alu instid0(VALU_DEP_4) | instskip(NEXT) | instid1(VALU_DEP_4)
	v_dual_sub_f32 v44, v41, v44 :: v_dual_add_f32 v47, v67, v41
	v_sub_f32_e32 v36, v33, v36
	s_delay_alu instid0(VALU_DEP_4) | instskip(NEXT) | instid1(VALU_DEP_3)
	v_dual_add_f32 v43, v65, v33 :: v_dual_sub_f32 v46, v48, v68
	v_sub_f32_e32 v31, v31, v44
	s_delay_alu instid0(VALU_DEP_4) | instskip(NEXT) | instid1(VALU_DEP_4)
	v_sub_f32_e32 v44, v47, v67
	v_sub_f32_e32 v27, v27, v36
	s_delay_alu instid0(VALU_DEP_4) | instskip(SKIP_1) | instid1(VALU_DEP_4)
	v_sub_f32_e32 v36, v43, v65
	v_sub_f32_e32 v52, v48, v46
	v_dual_sub_f32 v42, v42, v46 :: v_dual_sub_f32 v51, v47, v44
	v_dual_sub_f32 v41, v41, v44 :: v_dual_add_f32 v44, v28, v31
	s_delay_alu instid0(VALU_DEP_4) | instskip(SKIP_1) | instid1(VALU_DEP_4)
	v_sub_f32_e32 v49, v43, v36
	v_sub_f32_e32 v33, v33, v36
	;; [unrolled: 1-line block ×3, first 2 shown]
	s_delay_alu instid0(VALU_DEP_4) | instskip(NEXT) | instid1(VALU_DEP_4)
	v_dual_add_f32 v36, v26, v27 :: v_dual_sub_f32 v55, v44, v28
	v_dual_sub_f32 v49, v65, v49 :: v_dual_sub_f32 v52, v68, v52
	s_delay_alu instid0(VALU_DEP_3) | instskip(NEXT) | instid1(VALU_DEP_3)
	v_add_f32_e32 v41, v41, v51
	v_sub_f32_e32 v53, v36, v26
	s_delay_alu instid0(VALU_DEP_4) | instskip(SKIP_2) | instid1(VALU_DEP_4)
	v_sub_f32_e32 v51, v44, v55
	v_sub_f32_e32 v31, v31, v55
	v_dual_add_f32 v46, v35, v32 :: v_dual_add_f32 v33, v33, v49
	v_sub_f32_e32 v49, v36, v53
	s_delay_alu instid0(VALU_DEP_4) | instskip(SKIP_1) | instid1(VALU_DEP_4)
	v_sub_f32_e32 v28, v28, v51
	v_dual_add_f32 v42, v42, v52 :: v_dual_sub_f32 v27, v27, v53
	v_add_f32_e32 v33, v36, v33
	s_delay_alu instid0(VALU_DEP_4) | instskip(NEXT) | instid1(VALU_DEP_4)
	v_sub_f32_e32 v26, v26, v49
	v_dual_add_f32 v28, v31, v28 :: v_dual_sub_f32 v39, v38, v39
	v_sub_f32_e32 v56, v46, v35
	s_delay_alu instid0(VALU_DEP_3) | instskip(NEXT) | instid1(VALU_DEP_3)
	v_add_f32_e32 v26, v27, v26
	v_dual_add_f32 v27, v43, v33 :: v_dual_sub_f32 v30, v30, v39
	s_delay_alu instid0(VALU_DEP_3) | instskip(NEXT) | instid1(VALU_DEP_2)
	v_dual_sub_f32 v39, v45, v66 :: v_dual_sub_f32 v52, v46, v56
	v_dual_sub_f32 v32, v32, v56 :: v_dual_sub_f32 v43, v27, v43
	s_delay_alu instid0(VALU_DEP_2) | instskip(NEXT) | instid1(VALU_DEP_4)
	v_sub_f32_e32 v50, v45, v39
	v_dual_sub_f32 v38, v38, v39 :: v_dual_add_f32 v39, v29, v30
	s_delay_alu instid0(VALU_DEP_4) | instskip(NEXT) | instid1(VALU_DEP_3)
	v_sub_f32_e32 v35, v35, v52
	v_dual_sub_f32 v33, v33, v43 :: v_dual_sub_f32 v50, v66, v50
	s_delay_alu instid0(VALU_DEP_3) | instskip(NEXT) | instid1(VALU_DEP_3)
	v_sub_f32_e32 v54, v39, v29
	v_add_f32_e32 v32, v32, v35
	s_delay_alu instid0(VALU_DEP_3) | instskip(NEXT) | instid1(VALU_DEP_4)
	v_add_f32_e32 v26, v26, v33
	v_add_f32_e32 v38, v38, v50
	v_cndmask_b32_e64 v33, 0, v1, s14
	v_sub_f32_e32 v50, v39, v54
	v_sub_f32_e32 v30, v30, v54
	s_delay_alu instid0(VALU_DEP_4) | instskip(SKIP_2) | instid1(VALU_DEP_2)
	v_add_f32_e32 v36, v39, v38
	v_dual_add_f32 v39, v46, v42 :: v_dual_add_f32 v38, v44, v41
	v_bfi_b32 v25, 0x7fffffff, v25, v33
	v_dual_add_f32 v42, v48, v39 :: v_dual_sub_f32 v29, v29, v50
	s_delay_alu instid0(VALU_DEP_3) | instskip(NEXT) | instid1(VALU_DEP_2)
	v_add_f32_e32 v41, v47, v38
	v_dual_add_f32 v29, v30, v29 :: v_dual_add_f32 v30, v45, v36
	s_delay_alu instid0(VALU_DEP_1) | instskip(NEXT) | instid1(VALU_DEP_4)
	v_dual_sub_f32 v44, v41, v47 :: v_dual_sub_f32 v31, v30, v45
	v_sub_f32_e32 v45, v42, v48
	s_delay_alu instid0(VALU_DEP_2) | instskip(NEXT) | instid1(VALU_DEP_2)
	v_sub_f32_e32 v35, v38, v44
	v_dual_sub_f32 v31, v36, v31 :: v_dual_sub_f32 v36, v39, v45
	s_delay_alu instid0(VALU_DEP_2) | instskip(SKIP_1) | instid1(VALU_DEP_3)
	v_add_f32_e32 v28, v28, v35
	v_cndmask_b32_e64 v35, 0, v2, s15
	v_add_f32_e32 v29, v29, v31
	s_delay_alu instid0(VALU_DEP_4) | instskip(NEXT) | instid1(VALU_DEP_4)
	v_dual_add_f32 v31, v32, v36 :: v_dual_add_f32 v32, v27, v26
	v_add_f32_e32 v38, v41, v28
	s_delay_alu instid0(VALU_DEP_4) | instskip(NEXT) | instid1(VALU_DEP_4)
	v_bfi_b32 v24, 0x7fffffff, v24, v35
	v_add_f32_e32 v36, v30, v29
	s_delay_alu instid0(VALU_DEP_4) | instskip(SKIP_2) | instid1(VALU_DEP_4)
	v_add_f32_e32 v39, v42, v31
	v_sub_f32_e32 v27, v32, v27
	v_mul_f32_e32 v43, v8, v32
	v_dual_sub_f32 v41, v38, v41 :: v_dual_sub_f32 v30, v36, v30
	v_dual_mul_f32 v44, v9, v36 :: v_dual_mul_f32 v45, v10, v38
	s_delay_alu instid0(VALU_DEP_4) | instskip(NEXT) | instid1(VALU_DEP_4)
	v_sub_f32_e32 v26, v26, v27
	v_fma_f32 v27, v8, v32, -v43
	v_sub_f32_e32 v42, v39, v42
	v_dual_mul_f32 v46, v11, v39 :: v_dual_sub_f32 v29, v29, v30
	v_fma_f32 v30, v9, v36, -v44
	v_sub_f32_e32 v28, v28, v41
	v_fma_f32 v32, v10, v38, -v45
	v_fmac_f32_e32 v27, v8, v26
	v_sub_f32_e32 v31, v31, v42
	v_fma_f32 v36, v11, v39, -v46
	v_cndmask_b32_e64 v26, 0, v3, s13
	v_fmac_f32_e32 v30, v9, v29
	v_fmac_f32_e32 v32, v10, v28
	v_add_f32_e32 v28, v43, v27
	v_cmp_class_f32_e64 s13, v43, 0x204
	s_delay_alu instid0(VALU_DEP_4) | instskip(SKIP_1) | instid1(VALU_DEP_4)
	v_dual_fmac_f32 v36, v11, v31 :: v_dual_add_f32 v31, v44, v30
	v_bfi_b32 v29, 0x7fffffff, v40, v34
	v_sub_f32_e32 v39, v28, v43
	s_delay_alu instid0(VALU_DEP_4) | instskip(SKIP_4) | instid1(VALU_DEP_4)
	v_cndmask_b32_e64 v28, v28, v43, s13
	v_cmp_class_f32_e64 s13, v44, 0x204
	v_add_f32_e32 v34, v45, v32
	v_sub_f32_e32 v40, v31, v44
	v_dual_add_f32 v38, v46, v36 :: v_dual_sub_f32 v27, v27, v39
	v_cndmask_b32_e64 v31, v31, v44, s13
	v_cmp_class_f32_e64 s13, v45, 0x204
	s_delay_alu instid0(VALU_DEP_4)
	v_sub_f32_e32 v30, v30, v40
	v_sub_f32_e32 v41, v34, v45
	;; [unrolled: 1-line block ×3, first 2 shown]
	v_bfi_b32 v26, 0x7fffffff, v37, v26
	v_cndmask_b32_e64 v34, v34, v45, s13
	v_cmp_class_f32_e64 s13, v46, 0x204
	v_sub_f32_e32 v32, v32, v41
	v_sub_f32_e32 v36, v36, v42
	s_delay_alu instid0(VALU_DEP_3) | instskip(SKIP_1) | instid1(VALU_DEP_1)
	v_cndmask_b32_e64 v38, v38, v46, s13
	v_cmp_eq_f32_e64 s13, 0x42b17218, v28
	v_cndmask_b32_e64 v39, 0, 0x37000000, s13
	v_cmp_eq_f32_e64 s13, 0x42b17218, v31
	s_delay_alu instid0(VALU_DEP_1) | instskip(SKIP_1) | instid1(VALU_DEP_1)
	v_cndmask_b32_e64 v40, 0, 0x37000000, s13
	v_cmp_eq_f32_e64 s13, 0x42b17218, v34
	v_cndmask_b32_e64 v41, 0, 0x37000000, s13
	v_cmp_eq_f32_e64 s13, 0x42b17218, v38
	s_delay_alu instid0(VALU_DEP_1) | instskip(SKIP_1) | instid1(VALU_DEP_2)
	v_cndmask_b32_e64 v42, 0, 0x37000000, s13
	v_cmp_neq_f32_e64 s13, 0x7f800000, |v28|
	v_dual_sub_f32 v28, v28, v39 :: v_dual_sub_f32 v43, v38, v42
	s_delay_alu instid0(VALU_DEP_2) | instskip(SKIP_2) | instid1(VALU_DEP_4)
	v_cndmask_b32_e64 v27, 0, v27, s13
	v_cmp_neq_f32_e64 s13, 0x7f800000, |v31|
	v_sub_f32_e32 v31, v31, v40
	v_mul_f32_e32 v44, 0x3fb8aa3b, v28
	v_mul_f32_e32 v46, 0x3fb8aa3b, v43
	v_add_f32_e32 v27, v39, v27
	v_cndmask_b32_e64 v30, 0, v30, s13
	v_cmp_neq_f32_e64 s13, 0x7f800000, |v34|
	v_sub_f32_e32 v34, v34, v41
	v_fma_f32 v47, 0x3fb8aa3b, v28, -v44
	v_rndne_f32_e32 v48, v44
	v_fma_f32 v53, 0x3fb8aa3b, v43, -v46
	v_cndmask_b32_e64 v32, 0, v32, s13
	v_cmp_neq_f32_e64 s13, 0x7f800000, |v38|
	v_dual_mul_f32 v38, 0x3fb8aa3b, v31 :: v_dual_mul_f32 v45, 0x3fb8aa3b, v34
	v_fmac_f32_e32 v47, 0x32a5705f, v28
	v_sub_f32_e32 v44, v44, v48
	v_rndne_f32_e32 v54, v46
	s_delay_alu instid0(VALU_DEP_4) | instskip(SKIP_4) | instid1(VALU_DEP_4)
	v_fma_f32 v49, 0x3fb8aa3b, v31, -v38
	v_rndne_f32_e32 v50, v38
	v_fma_f32 v51, 0x3fb8aa3b, v34, -v45
	v_rndne_f32_e32 v52, v45
	v_add_f32_e32 v39, v44, v47
	v_dual_fmac_f32 v49, 0x32a5705f, v31 :: v_dual_sub_f32 v38, v38, v50
	s_delay_alu instid0(VALU_DEP_4) | instskip(NEXT) | instid1(VALU_DEP_4)
	v_fmac_f32_e32 v51, 0x32a5705f, v34
	v_sub_f32_e32 v45, v45, v52
	v_dual_fmac_f32 v53, 0x32a5705f, v43 :: v_dual_sub_f32 v46, v46, v54
	s_delay_alu instid0(VALU_DEP_4) | instskip(SKIP_1) | instid1(VALU_DEP_3)
	v_add_f32_e32 v38, v38, v49
	v_exp_f32_e32 v39, v39
	v_add_f32_e32 v44, v45, v51
	s_delay_alu instid0(VALU_DEP_3) | instskip(NEXT) | instid1(VALU_DEP_3)
	v_dual_add_f32 v32, v41, v32 :: v_dual_add_f32 v45, v46, v53
	v_exp_f32_e32 v38, v38
	v_cvt_i32_f32_e32 v41, v48
	v_cndmask_b32_e64 v36, 0, v36, s13
	v_add_f32_e32 v30, v40, v30
	v_exp_f32_e32 v40, v44
	v_exp_f32_e32 v44, v45
	v_cvt_i32_f32_e32 v45, v50
	v_ldexp_f32 v39, v39, v41
	v_cmp_ngt_f32_e64 s13, 0xc2ce8ed0, v28
	v_cvt_i32_f32_e32 v46, v52
	v_cvt_i32_f32_e32 v47, v54
	v_ldexp_f32 v38, v38, v45
	v_add_f32_e32 v36, v42, v36
	v_cndmask_b32_e64 v39, 0, v39, s13
	v_cmp_ngt_f32_e64 s13, 0xc2ce8ed0, v31
	v_ldexp_f32 v40, v40, v46
	v_ldexp_f32 v41, v44, v47
	s_delay_alu instid0(VALU_DEP_3) | instskip(SKIP_1) | instid1(VALU_DEP_1)
	v_cndmask_b32_e64 v38, 0, v38, s13
	v_cmp_ngt_f32_e64 s13, 0xc2ce8ed0, v34
	v_cndmask_b32_e64 v40, 0, v40, s13
	v_cmp_ngt_f32_e64 s13, 0xc2ce8ed0, v43
	s_delay_alu instid0(VALU_DEP_1) | instskip(SKIP_1) | instid1(VALU_DEP_1)
	v_cndmask_b32_e64 v41, 0, v41, s13
	v_cmp_nlt_f32_e64 s13, 0x42b17218, v28
	v_cndmask_b32_e64 v28, 0x7f800000, v39, s13
	v_cmp_nlt_f32_e64 s13, 0x42b17218, v31
	s_delay_alu instid0(VALU_DEP_2) | instskip(NEXT) | instid1(VALU_DEP_2)
	v_fma_f32 v27, v28, v27, v28
	v_cndmask_b32_e64 v31, 0x7f800000, v38, s13
	v_cmp_nlt_f32_e64 s13, 0x42b17218, v34
	s_delay_alu instid0(VALU_DEP_2) | instskip(NEXT) | instid1(VALU_DEP_2)
	v_fma_f32 v30, v31, v30, v31
	;; [unrolled: 4-line block ×3, first 2 shown]
	v_cndmask_b32_e64 v38, 0x7f800000, v41, s13
	v_cmp_class_f32_e64 s13, v28, 0x204
	s_delay_alu instid0(VALU_DEP_2) | instskip(NEXT) | instid1(VALU_DEP_2)
	v_fma_f32 v33, v38, v36, v38
	v_cndmask_b32_e64 v27, v27, v28, s13
	v_cmp_class_f32_e64 s13, v31, 0x204
	s_delay_alu instid0(VALU_DEP_2) | instskip(NEXT) | instid1(VALU_DEP_2)
	v_bfi_b32 v20, 0x7fffffff, v27, v20
	v_cndmask_b32_e64 v28, v30, v31, s13
	v_cmp_class_f32_e64 s13, v34, 0x204
	s_delay_alu instid0(VALU_DEP_3) | instskip(NEXT) | instid1(VALU_DEP_3)
	v_cndmask_b32_e64 v27, 0x7fc00000, v20, s4
	v_bfi_b32 v21, 0x7fffffff, v28, v21
	s_delay_alu instid0(VALU_DEP_3) | instskip(SKIP_2) | instid1(VALU_DEP_4)
	v_cndmask_b32_e64 v30, v32, v34, s13
	v_cmp_class_f32_e64 s13, v38, 0x204
	v_cmp_gt_f32_e64 s4, 0, v0
	v_cndmask_b32_e64 v28, 0x7fc00000, v21, s6
	s_delay_alu instid0(VALU_DEP_4) | instskip(NEXT) | instid1(VALU_DEP_4)
	v_bfi_b32 v22, 0x7fffffff, v30, v22
	v_cndmask_b32_e64 v31, v33, v38, s13
	s_delay_alu instid0(VALU_DEP_4) | instskip(SKIP_1) | instid1(VALU_DEP_4)
	v_cndmask_b32_e64 v20, v20, v27, s4
	v_cmp_gt_f32_e64 s4, 0, v1
	v_cndmask_b32_e64 v30, 0x7fc00000, v22, s8
	s_delay_alu instid0(VALU_DEP_4) | instskip(NEXT) | instid1(VALU_DEP_3)
	v_bfi_b32 v23, 0x7fffffff, v31, v23
	v_cndmask_b32_e64 v21, v21, v28, s4
	v_cmp_gt_f32_e64 s4, 0, v2
	s_delay_alu instid0(VALU_DEP_3) | instskip(NEXT) | instid1(VALU_DEP_2)
	v_cndmask_b32_e64 v31, 0x7fc00000, v23, s10
	v_cndmask_b32_e64 v22, v22, v30, s4
	v_cmp_gt_f32_e64 s4, 0, v3
	s_delay_alu instid0(VALU_DEP_1) | instskip(SKIP_1) | instid1(VALU_DEP_1)
	v_cndmask_b32_e64 v23, v23, v31, s4
	v_cmp_eq_f32_e64 s4, 0x7f800000, v12
	v_cndmask_b32_e64 v12, v20, v16, s4
	v_cmp_eq_f32_e64 s4, 0x7f800000, v13
	s_delay_alu instid0(VALU_DEP_2) | instskip(NEXT) | instid1(VALU_DEP_2)
	v_cndmask_b32_e64 v12, v12, v29, s1
	v_cndmask_b32_e64 v13, v21, v17, s4
	v_cmp_eq_f32_e64 s4, 0x7f800000, v14
	s_or_b32 s1, s2, s9
	s_delay_alu instid0(VALU_DEP_2) | instid1(SALU_CYCLE_1)
	v_cndmask_b32_e64 v13, v13, v25, s1
	s_delay_alu instid0(VALU_DEP_2)
	v_cndmask_b32_e64 v14, v22, v18, s4
	v_cmp_eq_f32_e64 s4, 0x7f800000, v15
	s_or_b32 s1, s3, s11
	s_delay_alu instid0(VALU_DEP_2) | instid1(SALU_CYCLE_1)
	v_cndmask_b32_e64 v14, v14, v24, s1
	s_delay_alu instid0(VALU_DEP_2) | instskip(SKIP_2) | instid1(SALU_CYCLE_1)
	v_cndmask_b32_e64 v15, v23, v19, s4
	s_or_b32 s1, s5, s12
	s_and_b32 s0, exec_lo, s0
	s_or_b32 s31, s0, s31
	s_delay_alu instid0(VALU_DEP_1) | instskip(SKIP_1) | instid1(VALU_DEP_1)
	v_cndmask_b32_e64 v15, v15, v26, s1
	v_cmp_o_f32_e64 s1, v0, v8
	v_cndmask_b32_e64 v0, 0x7fc00000, v12, s1
	v_cmp_o_f32_e64 s1, v1, v9
	s_delay_alu instid0(VALU_DEP_1) | instskip(SKIP_1) | instid1(VALU_DEP_1)
	v_cndmask_b32_e64 v1, 0x7fc00000, v13, s1
	v_cmp_o_f32_e64 s1, v2, v10
	v_cndmask_b32_e64 v2, 0x7fc00000, v14, s1
	v_cmp_o_f32_e64 s1, v3, v11
	s_delay_alu instid0(VALU_DEP_1) | instskip(SKIP_1) | instid1(VALU_DEP_1)
	v_cndmask_b32_e64 v3, 0x7fc00000, v15, s1
	v_add_co_u32 v4, s1, v4, s33
	v_add_co_ci_u32_e64 v5, s1, 0, v5, s1
	global_store_b128 v[6:7], v[0:3], off offset:-8
	v_add_co_u32 v6, vcc_lo, v6, s34
	v_add_co_ci_u32_e32 v7, vcc_lo, 0, v7, vcc_lo
	s_and_not1_b32 exec_lo, exec_lo, s31
	s_cbranch_execnz .LBB78_24
.LBB78_25:
	s_nop 0
	s_sendmsg sendmsg(MSG_DEALLOC_VGPRS)
	s_endpgm
	.section	.rodata,"a",@progbits
	.p2align	6, 0x0
	.amdhsa_kernel _ZN2at6native12_GLOBAL__N_125multi_tensor_apply_kernelINS1_28TensorListScalarListMetadataIfLi1EEENS1_25BinaryOpScalarListFunctorIfLi1ELi1ELi0EEEJNS1_13power_functorIfEEEEEvT_T0_DpT1_
		.amdhsa_group_segment_fixed_size 0
		.amdhsa_private_segment_fixed_size 0
		.amdhsa_kernarg_size 3784
		.amdhsa_user_sgpr_count 15
		.amdhsa_user_sgpr_dispatch_ptr 0
		.amdhsa_user_sgpr_queue_ptr 0
		.amdhsa_user_sgpr_kernarg_segment_ptr 1
		.amdhsa_user_sgpr_dispatch_id 0
		.amdhsa_user_sgpr_private_segment_size 0
		.amdhsa_wavefront_size32 1
		.amdhsa_uses_dynamic_stack 0
		.amdhsa_enable_private_segment 0
		.amdhsa_system_sgpr_workgroup_id_x 1
		.amdhsa_system_sgpr_workgroup_id_y 0
		.amdhsa_system_sgpr_workgroup_id_z 0
		.amdhsa_system_sgpr_workgroup_info 0
		.amdhsa_system_vgpr_workitem_id 0
		.amdhsa_next_free_vgpr 77
		.amdhsa_next_free_sgpr 36
		.amdhsa_reserve_vcc 1
		.amdhsa_float_round_mode_32 0
		.amdhsa_float_round_mode_16_64 0
		.amdhsa_float_denorm_mode_32 3
		.amdhsa_float_denorm_mode_16_64 3
		.amdhsa_dx10_clamp 1
		.amdhsa_ieee_mode 1
		.amdhsa_fp16_overflow 0
		.amdhsa_workgroup_processor_mode 1
		.amdhsa_memory_ordered 1
		.amdhsa_forward_progress 0
		.amdhsa_shared_vgpr_count 0
		.amdhsa_exception_fp_ieee_invalid_op 0
		.amdhsa_exception_fp_denorm_src 0
		.amdhsa_exception_fp_ieee_div_zero 0
		.amdhsa_exception_fp_ieee_overflow 0
		.amdhsa_exception_fp_ieee_underflow 0
		.amdhsa_exception_fp_ieee_inexact 0
		.amdhsa_exception_int_div_zero 0
	.end_amdhsa_kernel
	.section	.text._ZN2at6native12_GLOBAL__N_125multi_tensor_apply_kernelINS1_28TensorListScalarListMetadataIfLi1EEENS1_25BinaryOpScalarListFunctorIfLi1ELi1ELi0EEEJNS1_13power_functorIfEEEEEvT_T0_DpT1_,"axG",@progbits,_ZN2at6native12_GLOBAL__N_125multi_tensor_apply_kernelINS1_28TensorListScalarListMetadataIfLi1EEENS1_25BinaryOpScalarListFunctorIfLi1ELi1ELi0EEEJNS1_13power_functorIfEEEEEvT_T0_DpT1_,comdat
.Lfunc_end78:
	.size	_ZN2at6native12_GLOBAL__N_125multi_tensor_apply_kernelINS1_28TensorListScalarListMetadataIfLi1EEENS1_25BinaryOpScalarListFunctorIfLi1ELi1ELi0EEEJNS1_13power_functorIfEEEEEvT_T0_DpT1_, .Lfunc_end78-_ZN2at6native12_GLOBAL__N_125multi_tensor_apply_kernelINS1_28TensorListScalarListMetadataIfLi1EEENS1_25BinaryOpScalarListFunctorIfLi1ELi1ELi0EEEJNS1_13power_functorIfEEEEEvT_T0_DpT1_
                                        ; -- End function
	.section	.AMDGPU.csdata,"",@progbits
; Kernel info:
; codeLenInByte = 10588
; NumSgprs: 38
; NumVgprs: 77
; ScratchSize: 0
; MemoryBound: 0
; FloatMode: 240
; IeeeMode: 1
; LDSByteSize: 0 bytes/workgroup (compile time only)
; SGPRBlocks: 4
; VGPRBlocks: 9
; NumSGPRsForWavesPerEU: 38
; NumVGPRsForWavesPerEU: 77
; Occupancy: 16
; WaveLimiterHint : 0
; COMPUTE_PGM_RSRC2:SCRATCH_EN: 0
; COMPUTE_PGM_RSRC2:USER_SGPR: 15
; COMPUTE_PGM_RSRC2:TRAP_HANDLER: 0
; COMPUTE_PGM_RSRC2:TGID_X_EN: 1
; COMPUTE_PGM_RSRC2:TGID_Y_EN: 0
; COMPUTE_PGM_RSRC2:TGID_Z_EN: 0
; COMPUTE_PGM_RSRC2:TIDIG_COMP_CNT: 0
	.text
	.p2align	2                               ; -- Begin function _ZNK2at6native12_GLOBAL__N_113power_functorIN3c107complexIdEEEclERKS5_S8_
	.type	_ZNK2at6native12_GLOBAL__N_113power_functorIN3c107complexIdEEEclERKS5_S8_,@function
_ZNK2at6native12_GLOBAL__N_113power_functorIN3c107complexIdEEEclERKS5_S8_: ; @_ZNK2at6native12_GLOBAL__N_113power_functorIN3c107complexIdEEEclERKS5_S8_
; %bb.0:
                                        ; implicit-def: $vgpr12_vgpr13
                                        ; implicit-def: $vgpr14_vgpr15
	s_waitcnt vmcnt(0) expcnt(0) lgkmcnt(0)
	s_mov_b32 s0, exec_lo
	v_cmpx_o_f64_e32 v[0:1], v[2:3]
	s_xor_b32 s11, exec_lo, s0
	s_cbranch_execz .LBB79_28
; %bb.1:
	v_cmp_lt_f64_e64 s0, |v[0:1]|, |v[2:3]|
	v_and_b32_e32 v8, 0x7fffffff, v1
	v_dual_mov_b32 v16, v2 :: v_dual_and_b32 v9, 0x7fffffff, v3
	s_mov_b32 s2, 0x85ebc8a0
	s_mov_b32 s3, 0x7fd1ccf3
                                        ; implicit-def: $vgpr12_vgpr13
                                        ; implicit-def: $vgpr14_vgpr15
	s_mov_b32 s1, exec_lo
	s_delay_alu instid0(VALU_DEP_1) | instskip(SKIP_1) | instid1(VALU_DEP_1)
	v_cndmask_b32_e64 v11, v9, v8, s0
	v_cndmask_b32_e64 v10, v16, v0, s0
	v_cmpx_nlt_f64_e32 s[2:3], v[10:11]
	s_xor_b32 s12, exec_lo, s1
	s_cbranch_execz .LBB79_25
; %bb.2:
	v_cndmask_b32_e64 v17, v8, v9, s0
	v_cndmask_b32_e64 v16, v0, v16, s0
                                        ; implicit-def: $vgpr12_vgpr13
                                        ; implicit-def: $vgpr14_vgpr15
	s_mov_b32 s1, exec_lo
	s_delay_alu instid0(VALU_DEP_1)
	v_cmpx_neq_f64_e32 1.0, v[16:17]
	s_xor_b32 s13, exec_lo, s1
	s_cbranch_execz .LBB79_18
; %bb.3:
	v_max_f64 v[8:9], v[10:11], v[10:11]
	v_max_f64 v[12:13], v[16:17], v[16:17]
	s_mov_b32 s2, 0x4ad4b81f
	s_mov_b32 s4, 0xc57e649a
	;; [unrolled: 1-line block ×4, first 2 shown]
	s_delay_alu instid0(VALU_DEP_1) | instskip(SKIP_1) | instid1(VALU_DEP_2)
	v_min_f64 v[14:15], v[12:13], v[8:9]
	v_max_f64 v[8:9], v[12:13], v[8:9]
                                        ; implicit-def: $vgpr12_vgpr13
	v_cmp_ngt_f64_e32 vcc_lo, s[2:3], v[14:15]
	s_delay_alu instid0(VALU_DEP_2) | instskip(NEXT) | instid1(VALU_DEP_1)
	v_cmp_nlt_f64_e64 s1, s[4:5], v[8:9]
                                        ; implicit-def: $vgpr14_vgpr15
	s_and_b32 s1, s1, vcc_lo
	s_delay_alu instid0(SALU_CYCLE_1) | instskip(NEXT) | instid1(SALU_CYCLE_1)
	s_and_saveexec_b32 s2, s1
	s_xor_b32 s14, exec_lo, s2
	s_cbranch_execz .LBB79_15
; %bb.4:
                                        ; implicit-def: $vgpr12_vgpr13
                                        ; implicit-def: $vgpr14_vgpr15
	s_mov_b32 s1, exec_lo
	v_cmpx_le_f64_e32 1.0, v[16:17]
	s_xor_b32 s4, exec_lo, s1
	s_cbranch_execz .LBB79_6
; %bb.5:
	v_add_f64 v[8:9], v[16:17], -1.0
	v_add_f64 v[12:13], v[16:17], 1.0
	s_mov_b32 s3, 0x3fe55555
	s_mov_b32 s2, 0x55555555
	;; [unrolled: 1-line block ×6, first 2 shown]
	v_cmp_gt_i32_e64 s1, 0, v1
	s_delay_alu instid0(VALU_DEP_2) | instskip(NEXT) | instid1(VALU_DEP_1)
	v_mul_f64 v[8:9], v[8:9], v[12:13]
	v_fma_f64 v[8:9], v[10:11], v[10:11], v[8:9]
	s_delay_alu instid0(VALU_DEP_1) | instskip(NEXT) | instid1(VALU_DEP_1)
	v_add_f64 v[10:11], v[8:9], 1.0
	v_frexp_mant_f64_e32 v[12:13], v[10:11]
	v_frexp_exp_i32_f64_e32 v16, v[10:11]
	v_add_f64 v[14:15], v[10:11], -1.0
	s_delay_alu instid0(VALU_DEP_3) | instskip(SKIP_1) | instid1(VALU_DEP_2)
	v_cmp_gt_f64_e32 vcc_lo, s[2:3], v[12:13]
	s_mov_b32 s2, 0x55555780
	v_add_f64 v[12:13], v[14:15], -v[10:11]
	v_add_f64 v[14:15], v[8:9], -v[14:15]
	v_subrev_co_ci_u32_e32 v48, vcc_lo, 0, v16, vcc_lo
	s_delay_alu instid0(VALU_DEP_3) | instskip(NEXT) | instid1(VALU_DEP_2)
	v_add_f64 v[12:13], v[12:13], 1.0
	v_sub_nc_u32_e32 v18, 0, v48
	s_delay_alu instid0(VALU_DEP_1) | instskip(NEXT) | instid1(VALU_DEP_3)
	v_ldexp_f64 v[10:11], v[10:11], v18
	v_add_f64 v[12:13], v[14:15], v[12:13]
	s_delay_alu instid0(VALU_DEP_2) | instskip(SKIP_1) | instid1(VALU_DEP_3)
	v_add_f64 v[16:17], v[10:11], 1.0
	v_add_f64 v[22:23], v[10:11], -1.0
	v_ldexp_f64 v[12:13], v[12:13], v18
	s_delay_alu instid0(VALU_DEP_3) | instskip(NEXT) | instid1(VALU_DEP_3)
	v_add_f64 v[14:15], v[16:17], -1.0
	v_add_f64 v[24:25], v[22:23], 1.0
	s_delay_alu instid0(VALU_DEP_2) | instskip(NEXT) | instid1(VALU_DEP_2)
	v_add_f64 v[14:15], v[10:11], -v[14:15]
	v_add_f64 v[10:11], v[10:11], -v[24:25]
	s_delay_alu instid0(VALU_DEP_2) | instskip(NEXT) | instid1(VALU_DEP_2)
	v_add_f64 v[14:15], v[12:13], v[14:15]
	v_add_f64 v[10:11], v[12:13], v[10:11]
	s_delay_alu instid0(VALU_DEP_2) | instskip(NEXT) | instid1(VALU_DEP_2)
	v_add_f64 v[18:19], v[16:17], v[14:15]
	v_add_f64 v[24:25], v[22:23], v[10:11]
	s_delay_alu instid0(VALU_DEP_2) | instskip(SKIP_1) | instid1(VALU_DEP_2)
	v_rcp_f64_e32 v[20:21], v[18:19]
	v_add_f64 v[16:17], v[18:19], -v[16:17]
	v_add_f64 v[22:23], v[24:25], -v[22:23]
	s_delay_alu instid0(VALU_DEP_2) | instskip(SKIP_3) | instid1(VALU_DEP_2)
	v_add_f64 v[14:15], v[14:15], -v[16:17]
	s_waitcnt_depctr 0xfff
	v_fma_f64 v[26:27], -v[18:19], v[20:21], 1.0
	v_add_f64 v[10:11], v[10:11], -v[22:23]
	v_fma_f64 v[20:21], v[26:27], v[20:21], v[20:21]
	s_delay_alu instid0(VALU_DEP_1) | instskip(NEXT) | instid1(VALU_DEP_1)
	v_fma_f64 v[12:13], -v[18:19], v[20:21], 1.0
	v_fma_f64 v[12:13], v[12:13], v[20:21], v[20:21]
	s_delay_alu instid0(VALU_DEP_1) | instskip(NEXT) | instid1(VALU_DEP_1)
	v_mul_f64 v[20:21], v[24:25], v[12:13]
	v_mul_f64 v[26:27], v[18:19], v[20:21]
	s_delay_alu instid0(VALU_DEP_1) | instskip(NEXT) | instid1(VALU_DEP_1)
	v_fma_f64 v[16:17], v[20:21], v[18:19], -v[26:27]
	v_fma_f64 v[16:17], v[20:21], v[14:15], v[16:17]
	s_delay_alu instid0(VALU_DEP_1) | instskip(NEXT) | instid1(VALU_DEP_1)
	v_add_f64 v[28:29], v[26:27], v[16:17]
	v_add_f64 v[30:31], v[24:25], -v[28:29]
	v_add_f64 v[22:23], v[28:29], -v[26:27]
	v_max_f64 v[26:27], |v[2:3]|, |v[2:3]|
	s_delay_alu instid0(VALU_DEP_3) | instskip(NEXT) | instid1(VALU_DEP_3)
	v_add_f64 v[24:25], v[24:25], -v[30:31]
	v_add_f64 v[16:17], v[22:23], -v[16:17]
	s_delay_alu instid0(VALU_DEP_2) | instskip(SKIP_1) | instid1(VALU_DEP_2)
	v_add_f64 v[24:25], v[24:25], -v[28:29]
	v_max_f64 v[28:29], |v[0:1]|, |v[0:1]|
	v_add_f64 v[10:11], v[10:11], v[24:25]
	s_delay_alu instid0(VALU_DEP_2) | instskip(SKIP_1) | instid1(VALU_DEP_3)
	v_max_f64 v[32:33], v[28:29], v[26:27]
	v_min_f64 v[26:27], v[28:29], v[26:27]
	v_add_f64 v[10:11], v[16:17], v[10:11]
	s_delay_alu instid0(VALU_DEP_1) | instskip(NEXT) | instid1(VALU_DEP_1)
	v_add_f64 v[16:17], v[30:31], v[10:11]
	v_mul_f64 v[22:23], v[12:13], v[16:17]
	v_add_f64 v[30:31], v[30:31], -v[16:17]
	s_delay_alu instid0(VALU_DEP_2) | instskip(NEXT) | instid1(VALU_DEP_2)
	v_mul_f64 v[24:25], v[18:19], v[22:23]
	v_add_f64 v[10:11], v[10:11], v[30:31]
	s_delay_alu instid0(VALU_DEP_2) | instskip(NEXT) | instid1(VALU_DEP_1)
	v_fma_f64 v[18:19], v[22:23], v[18:19], -v[24:25]
	v_fma_f64 v[14:15], v[22:23], v[14:15], v[18:19]
	v_div_scale_f64 v[18:19], null, v[32:33], v[32:33], v[26:27]
	s_delay_alu instid0(VALU_DEP_2) | instskip(NEXT) | instid1(VALU_DEP_2)
	v_add_f64 v[28:29], v[24:25], v[14:15]
	v_rcp_f64_e32 v[34:35], v[18:19]
	s_delay_alu instid0(VALU_DEP_1)
	v_add_f64 v[36:37], v[16:17], -v[28:29]
	v_add_f64 v[24:25], v[28:29], -v[24:25]
	s_waitcnt_depctr 0xfff
	v_fma_f64 v[38:39], -v[18:19], v[34:35], 1.0
	v_add_f64 v[16:17], v[16:17], -v[36:37]
	v_add_f64 v[14:15], v[24:25], -v[14:15]
	s_delay_alu instid0(VALU_DEP_3) | instskip(NEXT) | instid1(VALU_DEP_3)
	v_fma_f64 v[34:35], v[34:35], v[38:39], v[34:35]
	v_add_f64 v[16:17], v[16:17], -v[28:29]
	s_delay_alu instid0(VALU_DEP_2) | instskip(NEXT) | instid1(VALU_DEP_2)
	v_fma_f64 v[28:29], -v[18:19], v[34:35], 1.0
	v_add_f64 v[10:11], v[10:11], v[16:17]
	v_div_scale_f64 v[16:17], vcc_lo, v[26:27], v[32:33], v[26:27]
	s_delay_alu instid0(VALU_DEP_3) | instskip(SKIP_1) | instid1(VALU_DEP_4)
	v_fma_f64 v[24:25], v[34:35], v[28:29], v[34:35]
	v_add_f64 v[28:29], v[20:21], v[22:23]
	v_add_f64 v[10:11], v[14:15], v[10:11]
	s_delay_alu instid0(VALU_DEP_3) | instskip(NEXT) | instid1(VALU_DEP_3)
	v_mul_f64 v[14:15], v[16:17], v[24:25]
	v_add_f64 v[20:21], v[28:29], -v[20:21]
	s_delay_alu instid0(VALU_DEP_3) | instskip(NEXT) | instid1(VALU_DEP_3)
	v_add_f64 v[10:11], v[36:37], v[10:11]
	v_fma_f64 v[16:17], -v[18:19], v[14:15], v[16:17]
	s_delay_alu instid0(VALU_DEP_3) | instskip(NEXT) | instid1(VALU_DEP_3)
	v_add_f64 v[18:19], v[22:23], -v[20:21]
	v_mul_f64 v[10:11], v[12:13], v[10:11]
	s_delay_alu instid0(VALU_DEP_3) | instskip(SKIP_1) | instid1(VALU_DEP_3)
	v_div_fmas_f64 v[12:13], v[16:17], v[24:25], v[14:15]
	v_cmp_eq_f64_e32 vcc_lo, 0x7ff00000, v[8:9]
	v_add_f64 v[10:11], v[18:19], v[10:11]
	s_delay_alu instid0(VALU_DEP_3) | instskip(NEXT) | instid1(VALU_DEP_2)
	v_div_fixup_f64 v[12:13], v[12:13], v[32:33], v[26:27]
	v_add_f64 v[14:15], v[28:29], v[10:11]
	s_delay_alu instid0(VALU_DEP_2) | instskip(NEXT) | instid1(VALU_DEP_2)
	v_mul_f64 v[16:17], v[12:13], v[12:13]
	v_mul_f64 v[18:19], v[14:15], v[14:15]
	s_delay_alu instid0(VALU_DEP_2)
	v_fma_f64 v[20:21], v[16:17], s[8:9], s[6:7]
	s_mov_b32 s6, 0x6b47b09a
	s_mov_b32 s8, 0xbf559e2b
	;; [unrolled: 1-line block ×4, first 2 shown]
	s_delay_alu instid0(VALU_DEP_2) | instid1(SALU_CYCLE_1)
	v_fma_f64 v[22:23], v[18:19], s[8:9], s[6:7]
	s_mov_b32 s6, 0x69efb384
	s_mov_b32 s7, 0x3f4b2bb0
	v_mul_f64 v[24:25], v[14:15], v[18:19]
	s_delay_alu instid0(VALU_DEP_3)
	v_fma_f64 v[20:21], v[16:17], v[20:21], s[6:7]
	s_mov_b32 s6, 0xd7f4df2e
	s_mov_b32 s7, 0x3fc7474d
	s_delay_alu instid0(VALU_DEP_3) | instid1(SALU_CYCLE_1)
	v_fma_f64 v[22:23], v[18:19], v[22:23], s[6:7]
	s_mov_b32 s6, 0xaf56de9b
	s_mov_b32 s7, 0xbf67952d
	s_delay_alu instid0(VALU_DEP_2) | instid1(SALU_CYCLE_1)
	v_fma_f64 v[20:21], v[16:17], v[20:21], s[6:7]
	s_mov_b32 s6, 0x16291751
	s_mov_b32 s7, 0x3fcc71c0
	s_delay_alu instid0(VALU_DEP_2) | instid1(SALU_CYCLE_1)
	;; [unrolled: 4-line block ×7, first 2 shown]
	v_fma_f64 v[20:21], v[16:17], v[20:21], s[6:7]
	s_mov_b32 s6, 0x6ef28734
	s_mov_b32 s7, 0x3fa82d5d
	s_delay_alu instid0(VALU_DEP_2) | instskip(SKIP_3) | instid1(VALU_DEP_3)
	v_fma_f64 v[18:19], v[18:19], v[22:23], s[2:3]
	s_mov_b32 s2, 0xfc27006a
	s_mov_b32 s3, 0xbf9e9ae6
	v_ldexp_f64 v[22:23], v[14:15], 1
	v_fma_f64 v[20:21], v[16:17], v[20:21], s[2:3]
	s_mov_b32 s2, 0x5711927a
	s_mov_b32 s3, 0x3fa2c15b
	v_add_f64 v[14:15], v[14:15], -v[28:29]
	s_delay_alu instid0(VALU_DEP_4) | instskip(SKIP_1) | instid1(VALU_DEP_4)
	v_mul_f64 v[18:19], v[24:25], v[18:19]
	v_cvt_f64_i32_e32 v[24:25], v48
	v_fma_f64 v[20:21], v[16:17], v[20:21], s[2:3]
	s_mov_b32 s2, 0xe82d3ff0
	s_mov_b32 s3, 0xbfa59976
	s_delay_alu instid0(VALU_DEP_4) | instskip(NEXT) | instid1(VALU_DEP_4)
	v_add_f64 v[10:11], v[10:11], -v[14:15]
	v_add_f64 v[26:27], v[22:23], v[18:19]
	s_delay_alu instid0(VALU_DEP_3) | instskip(SKIP_2) | instid1(VALU_DEP_3)
	v_fma_f64 v[20:21], v[16:17], v[20:21], s[2:3]
	s_mov_b32 s2, 0xfefa39ef
	s_mov_b32 s3, 0x3fe62e42
	v_ldexp_f64 v[10:11], v[10:11], 1
	v_mul_f64 v[28:29], v[24:25], s[2:3]
	s_delay_alu instid0(VALU_DEP_4) | instskip(NEXT) | instid1(VALU_DEP_4)
	v_add_f64 v[14:15], v[26:27], -v[22:23]
	v_fma_f64 v[20:21], v[16:17], v[20:21], s[6:7]
	s_delay_alu instid0(VALU_DEP_3) | instskip(SKIP_2) | instid1(VALU_DEP_3)
	v_fma_f64 v[22:23], v[24:25], s[2:3], -v[28:29]
	s_mov_b32 s2, 0x6a214619
	s_mov_b32 s3, 0xbfaae5ce
	v_add_f64 v[14:15], v[18:19], -v[14:15]
	s_delay_alu instid0(VALU_DEP_3)
	v_fma_f64 v[18:19], v[16:17], v[20:21], s[2:3]
	s_mov_b32 s2, 0x3b39803f
	s_mov_b32 s3, 0x3c7abc9e
	s_delay_alu instid0(VALU_DEP_3) | instid1(SALU_CYCLE_1)
	v_fma_f64 v[20:21], v[24:25], s[2:3], v[22:23]
	s_mov_b32 s2, 0x8427b883
	s_mov_b32 s3, 0x3fae1bb4
	s_delay_alu instid0(VALU_DEP_3) | instskip(NEXT) | instid1(VALU_DEP_3)
	v_add_f64 v[10:11], v[10:11], v[14:15]
	v_fma_f64 v[14:15], v[16:17], v[18:19], s[2:3]
	s_mov_b32 s2, 0x8b207f05
	s_mov_b32 s3, 0xbfb110e4
	s_delay_alu instid0(VALU_DEP_3) | instskip(NEXT) | instid1(VALU_DEP_3)
	v_add_f64 v[18:19], v[28:29], v[20:21]
	v_add_f64 v[22:23], v[26:27], v[10:11]
	s_delay_alu instid0(VALU_DEP_3) | instskip(SKIP_2) | instid1(VALU_DEP_3)
	v_fma_f64 v[14:15], v[16:17], v[14:15], s[2:3]
	s_mov_b32 s2, 0x57b87036
	s_mov_b32 s3, 0x3fb3b136
	v_add_f64 v[28:29], v[18:19], -v[28:29]
	s_delay_alu instid0(VALU_DEP_3) | instskip(SKIP_1) | instid1(VALU_DEP_4)
	v_add_f64 v[24:25], v[18:19], v[22:23]
	v_add_f64 v[26:27], v[22:23], -v[26:27]
	v_fma_f64 v[14:15], v[16:17], v[14:15], s[2:3]
	s_mov_b32 s2, 0x19378e4f
	s_mov_b32 s3, 0xbfb745d1
	s_delay_alu instid0(VALU_DEP_4) | instskip(NEXT) | instid1(VALU_DEP_4)
	v_add_f64 v[20:21], v[20:21], -v[28:29]
	v_add_f64 v[30:31], v[24:25], -v[18:19]
	s_delay_alu instid0(VALU_DEP_4) | instskip(NEXT) | instid1(VALU_DEP_4)
	v_add_f64 v[10:11], v[10:11], -v[26:27]
	v_fma_f64 v[14:15], v[16:17], v[14:15], s[2:3]
	s_mov_b32 s2, 0x17e1913c
	s_mov_b32 s3, 0x3fbc71c7
	s_delay_alu instid0(VALU_DEP_3) | instskip(SKIP_1) | instid1(VALU_DEP_4)
	v_add_f64 v[32:33], v[24:25], -v[30:31]
	v_add_f64 v[22:23], v[22:23], -v[30:31]
	v_add_f64 v[26:27], v[20:21], v[10:11]
	s_delay_alu instid0(VALU_DEP_4) | instskip(SKIP_2) | instid1(VALU_DEP_4)
	v_fma_f64 v[14:15], v[16:17], v[14:15], s[2:3]
	s_mov_b32 s2, 0x92376b7d
	s_mov_b32 s3, 0xbfc24924
	v_add_f64 v[18:19], v[18:19], -v[32:33]
	s_delay_alu instid0(VALU_DEP_2) | instskip(SKIP_2) | instid1(VALU_DEP_2)
	v_fma_f64 v[14:15], v[16:17], v[14:15], s[2:3]
	s_mov_b32 s2, 0x999952cc
	s_mov_b32 s3, 0x3fc99999
	v_add_f64 v[18:19], v[22:23], v[18:19]
	v_add_f64 v[22:23], v[26:27], -v[20:21]
	s_delay_alu instid0(VALU_DEP_3) | instskip(SKIP_2) | instid1(VALU_DEP_3)
	v_fma_f64 v[14:15], v[16:17], v[14:15], s[2:3]
	s_mov_b32 s2, 0x55555523
	s_mov_b32 s3, 0xbfd55555
	v_add_f64 v[18:19], v[26:27], v[18:19]
	s_delay_alu instid0(VALU_DEP_3) | instskip(SKIP_1) | instid1(VALU_DEP_4)
	v_add_f64 v[26:27], v[26:27], -v[22:23]
	v_add_f64 v[10:11], v[10:11], -v[22:23]
	v_fma_f64 v[14:15], v[16:17], v[14:15], s[2:3]
	s_mov_b32 s2, 0x54442d18
	s_mov_b32 s3, 0x3ff921fb
	s_delay_alu instid0(VALU_DEP_4) | instskip(NEXT) | instid1(VALU_DEP_2)
	v_add_f64 v[28:29], v[24:25], v[18:19]
	v_mul_f64 v[14:15], v[16:17], v[14:15]
	v_add_f64 v[16:17], v[20:21], -v[26:27]
	s_delay_alu instid0(VALU_DEP_3) | instskip(NEXT) | instid1(VALU_DEP_3)
	v_add_f64 v[20:21], v[28:29], -v[24:25]
	v_fma_f64 v[12:13], v[12:13], v[14:15], v[12:13]
	s_delay_alu instid0(VALU_DEP_3) | instskip(NEXT) | instid1(VALU_DEP_3)
	v_add_f64 v[10:11], v[10:11], v[16:17]
	v_add_f64 v[14:15], v[18:19], -v[20:21]
	s_delay_alu instid0(VALU_DEP_3) | instskip(SKIP_1) | instid1(VALU_DEP_2)
	v_add_f64 v[16:17], -v[12:13], s[2:3]
	s_mov_b32 s3, 0x400921fb
	v_add_f64 v[10:11], v[10:11], v[14:15]
	s_delay_alu instid0(VALU_DEP_2) | instskip(NEXT) | instid1(VALU_DEP_3)
	v_cndmask_b32_e64 v13, v13, v17, s0
	v_cndmask_b32_e64 v12, v12, v16, s0
	v_ashrrev_i32_e32 v17, 31, v1
	s_delay_alu instid0(VALU_DEP_2) | instskip(SKIP_2) | instid1(VALU_DEP_4)
	v_add_f64 v[14:15], -v[12:13], s[2:3]
	v_cmp_class_f64_e64 s3, v[0:1], 0x204
	v_cmp_class_f64_e64 s2, v[2:3], 0x204
	v_and_b32_e32 v1, 0x400921fb, v17
	v_add_f64 v[10:11], v[28:29], v[10:11]
	v_mov_b32_e32 v16, 0x7f3321d2
	v_cndmask_b32_e64 v13, v13, v15, s1
	v_cndmask_b32_e64 v12, v12, v14, s1
	s_delay_alu instid0(VALU_DEP_4) | instskip(SKIP_3) | instid1(VALU_DEP_4)
	v_dual_cndmask_b32 v11, v11, v9 :: v_dual_cndmask_b32 v10, v10, v8
	v_cmp_eq_f64_e32 vcc_lo, 0, v[2:3]
	v_mov_b32_e32 v0, 0x4002d97c
	v_cndmask_b32_e64 v16, 0x54442d18, v16, s1
	v_mul_f64 v[10:11], v[10:11], 0.5
	v_cndmask_b32_e32 v1, v13, v1, vcc_lo
	s_delay_alu instid0(VALU_DEP_4) | instskip(SKIP_1) | instid1(VALU_DEP_2)
	v_cndmask_b32_e64 v0, 0x3fe921fb, v0, s1
	v_cmp_nge_f64_e64 s1, -1.0, v[8:9]
	v_bfi_b32 v0, 0x7fffffff, v0, v3
	v_and_b32_e32 v18, 0x54442d18, v17
	s_delay_alu instid0(VALU_DEP_1)
	v_cndmask_b32_e32 v14, v12, v18, vcc_lo
	v_cmp_ngt_f64_e32 vcc_lo, -1.0, v[8:9]
	v_cndmask_b32_e64 v12, 0, v10, s1
	v_cmp_neq_f64_e64 s1, -1.0, v[8:9]
	v_cndmask_b32_e32 v11, 0x7ff80000, v11, vcc_lo
	s_and_b32 vcc_lo, s3, s2
	v_cndmask_b32_e32 v15, v1, v0, vcc_lo
	v_cndmask_b32_e32 v14, v14, v16, vcc_lo
                                        ; implicit-def: $vgpr0_vgpr1
                                        ; implicit-def: $vgpr16_vgpr17
	s_delay_alu instid0(VALU_DEP_3)
	v_cndmask_b32_e64 v13, 0xfff00000, v11, s1
                                        ; implicit-def: $vgpr10_vgpr11
.LBB79_6:
	s_and_not1_saveexec_b32 s15, s4
	s_cbranch_execz .LBB79_14
; %bb.7:
	v_mul_f64 v[8:9], v[10:11], v[10:11]
	s_mov_b32 s2, 0x66666666
	s_mov_b32 s3, 0x3fe66666
                                        ; implicit-def: $vgpr12_vgpr13
                                        ; implicit-def: $vgpr14_vgpr15
	s_mov_b32 s1, exec_lo
	s_delay_alu instid0(VALU_DEP_1) | instskip(NEXT) | instid1(VALU_DEP_1)
	v_fma_f64 v[8:9], v[16:17], v[16:17], v[8:9]
	v_cmpx_ge_f64_e32 s[2:3], v[8:9]
	s_xor_b32 s4, exec_lo, s1
	s_cbranch_execz .LBB79_9
; %bb.8:
	v_frexp_mant_f64_e32 v[10:11], v[8:9]
	s_mov_b32 s3, 0x3fe55555
	s_mov_b32 s2, 0x55555555
	v_mov_b32_e32 v12, 0
	v_max_f64 v[20:21], |v[0:1]|, |v[0:1]|
	s_mov_b32 s6, 0xbd3237f4
	s_mov_b32 s8, 0xb5e68a13
	;; [unrolled: 1-line block ×4, first 2 shown]
	v_cmp_class_f64_e64 s5, v[0:1], 0x204
	s_delay_alu instid0(VALU_DEP_4) | instskip(SKIP_1) | instid1(VALU_DEP_1)
	v_cmp_gt_f64_e64 s1, s[2:3], v[10:11]
	s_mov_b32 s2, 0x55555780
	v_cndmask_b32_e64 v13, 0x3ff00000, 2.0, s1
	s_delay_alu instid0(VALU_DEP_1) | instskip(NEXT) | instid1(VALU_DEP_1)
	v_mul_f64 v[10:11], v[10:11], v[12:13]
	v_add_f64 v[12:13], v[10:11], 1.0
	v_add_f64 v[18:19], v[10:11], -1.0
	s_delay_alu instid0(VALU_DEP_2) | instskip(SKIP_2) | instid1(VALU_DEP_1)
	v_rcp_f64_e32 v[14:15], v[12:13]
	s_waitcnt_depctr 0xfff
	v_fma_f64 v[16:17], -v[12:13], v[14:15], 1.0
	v_fma_f64 v[14:15], v[16:17], v[14:15], v[14:15]
	s_delay_alu instid0(VALU_DEP_1) | instskip(NEXT) | instid1(VALU_DEP_1)
	v_fma_f64 v[16:17], -v[12:13], v[14:15], 1.0
	v_fma_f64 v[14:15], v[16:17], v[14:15], v[14:15]
	v_max_f64 v[16:17], |v[2:3]|, |v[2:3]|
	s_delay_alu instid0(VALU_DEP_2) | instskip(NEXT) | instid1(VALU_DEP_2)
	v_mul_f64 v[22:23], v[18:19], v[14:15]
	v_max_f64 v[24:25], v[20:21], v[16:17]
	v_min_f64 v[16:17], v[20:21], v[16:17]
	v_add_f64 v[20:21], v[12:13], -1.0
	s_delay_alu instid0(VALU_DEP_4) | instskip(NEXT) | instid1(VALU_DEP_3)
	v_mul_f64 v[26:27], v[12:13], v[22:23]
	v_div_scale_f64 v[28:29], null, v[24:25], v[24:25], v[16:17]
	s_delay_alu instid0(VALU_DEP_3) | instskip(SKIP_1) | instid1(VALU_DEP_4)
	v_add_f64 v[10:11], v[10:11], -v[20:21]
	v_div_scale_f64 v[34:35], vcc_lo, v[16:17], v[24:25], v[16:17]
	v_fma_f64 v[12:13], v[22:23], v[12:13], -v[26:27]
	s_delay_alu instid0(VALU_DEP_4) | instskip(NEXT) | instid1(VALU_DEP_1)
	v_rcp_f64_e32 v[20:21], v[28:29]
	v_fma_f64 v[10:11], v[22:23], v[10:11], v[12:13]
	s_waitcnt_depctr 0xfff
	v_fma_f64 v[12:13], -v[28:29], v[20:21], 1.0
	v_add_f64 v[30:31], v[26:27], v[10:11]
	s_delay_alu instid0(VALU_DEP_2) | instskip(NEXT) | instid1(VALU_DEP_2)
	v_fma_f64 v[12:13], v[20:21], v[12:13], v[20:21]
	v_add_f64 v[20:21], v[18:19], -v[30:31]
	v_add_f64 v[26:27], v[30:31], -v[26:27]
	s_delay_alu instid0(VALU_DEP_3) | instskip(NEXT) | instid1(VALU_DEP_3)
	v_fma_f64 v[32:33], -v[28:29], v[12:13], 1.0
	v_add_f64 v[18:19], v[18:19], -v[20:21]
	s_delay_alu instid0(VALU_DEP_3) | instskip(NEXT) | instid1(VALU_DEP_3)
	v_add_f64 v[10:11], v[26:27], -v[10:11]
	v_fma_f64 v[12:13], v[12:13], v[32:33], v[12:13]
	s_delay_alu instid0(VALU_DEP_3) | instskip(NEXT) | instid1(VALU_DEP_2)
	v_add_f64 v[18:19], v[18:19], -v[30:31]
	v_mul_f64 v[26:27], v[34:35], v[12:13]
	s_delay_alu instid0(VALU_DEP_2) | instskip(NEXT) | instid1(VALU_DEP_2)
	v_add_f64 v[10:11], v[10:11], v[18:19]
	v_fma_f64 v[18:19], -v[28:29], v[26:27], v[34:35]
	v_frexp_exp_i32_f64_e32 v28, v[8:9]
	s_delay_alu instid0(VALU_DEP_3) | instskip(NEXT) | instid1(VALU_DEP_3)
	v_add_f64 v[10:11], v[20:21], v[10:11]
	v_div_fmas_f64 v[12:13], v[18:19], v[12:13], v[26:27]
	s_delay_alu instid0(VALU_DEP_2) | instskip(NEXT) | instid1(VALU_DEP_2)
	v_mul_f64 v[10:11], v[14:15], v[10:11]
	v_div_fixup_f64 v[12:13], v[12:13], v[24:25], v[16:17]
	s_delay_alu instid0(VALU_DEP_2) | instskip(NEXT) | instid1(VALU_DEP_2)
	v_add_f64 v[14:15], v[22:23], v[10:11]
	v_mul_f64 v[16:17], v[12:13], v[12:13]
	s_delay_alu instid0(VALU_DEP_2) | instskip(NEXT) | instid1(VALU_DEP_2)
	v_mul_f64 v[18:19], v[14:15], v[14:15]
	v_fma_f64 v[20:21], v[16:17], s[8:9], s[6:7]
	s_mov_b32 s6, 0x6b47b09a
	s_mov_b32 s8, 0xbf559e2b
	s_mov_b32 s7, 0x3fc38538
	s_mov_b32 s9, 0x3fc3ab76
	s_delay_alu instid0(VALU_DEP_2) | instid1(SALU_CYCLE_1)
	v_fma_f64 v[24:25], v[18:19], s[8:9], s[6:7]
	s_mov_b32 s6, 0x69efb384
	s_mov_b32 s7, 0x3f4b2bb0
	v_mul_f64 v[26:27], v[14:15], v[18:19]
	s_delay_alu instid0(VALU_DEP_3)
	v_fma_f64 v[20:21], v[16:17], v[20:21], s[6:7]
	s_mov_b32 s6, 0xd7f4df2e
	s_mov_b32 s7, 0x3fc7474d
	s_delay_alu instid0(VALU_DEP_3) | instid1(SALU_CYCLE_1)
	v_fma_f64 v[24:25], v[18:19], v[24:25], s[6:7]
	s_mov_b32 s6, 0xaf56de9b
	s_mov_b32 s7, 0xbf67952d
	s_delay_alu instid0(VALU_DEP_2) | instid1(SALU_CYCLE_1)
	v_fma_f64 v[20:21], v[16:17], v[20:21], s[6:7]
	s_mov_b32 s6, 0x16291751
	s_mov_b32 s7, 0x3fcc71c0
	s_delay_alu instid0(VALU_DEP_2) | instid1(SALU_CYCLE_1)
	;; [unrolled: 4-line block ×7, first 2 shown]
	v_fma_f64 v[20:21], v[16:17], v[20:21], s[6:7]
	s_mov_b32 s6, 0x6ef28734
	s_mov_b32 s7, 0x3fa82d5d
	s_delay_alu instid0(VALU_DEP_2) | instskip(SKIP_3) | instid1(VALU_DEP_3)
	v_fma_f64 v[18:19], v[18:19], v[24:25], s[2:3]
	s_mov_b32 s2, 0xfc27006a
	s_mov_b32 s3, 0xbf9e9ae6
	v_ldexp_f64 v[24:25], v[14:15], 1
	v_fma_f64 v[20:21], v[16:17], v[20:21], s[2:3]
	s_mov_b32 s2, 0x5711927a
	s_mov_b32 s3, 0x3fa2c15b
	v_add_f64 v[14:15], v[14:15], -v[22:23]
	s_delay_alu instid0(VALU_DEP_4) | instskip(SKIP_4) | instid1(VALU_DEP_3)
	v_mul_f64 v[18:19], v[26:27], v[18:19]
	v_subrev_co_ci_u32_e64 v26, vcc_lo, 0, v28, s1
	v_cmp_eq_f64_e64 s1, 0, v[2:3]
	v_fma_f64 v[20:21], v[16:17], v[20:21], s[2:3]
	s_mov_b32 s2, 0xe82d3ff0
	v_cvt_f64_i32_e32 v[26:27], v26
	s_mov_b32 s3, 0xbfa59976
	v_add_f64 v[10:11], v[10:11], -v[14:15]
	v_cmp_gt_i32_e32 vcc_lo, 0, v1
	v_add_f64 v[22:23], v[24:25], v[18:19]
	v_fma_f64 v[20:21], v[16:17], v[20:21], s[2:3]
	s_mov_b32 s2, 0xfefa39ef
	s_mov_b32 s3, 0x3fe62e42
	s_delay_alu instid0(SALU_CYCLE_1) | instskip(SKIP_1) | instid1(VALU_DEP_4)
	v_mul_f64 v[28:29], v[26:27], s[2:3]
	v_ldexp_f64 v[10:11], v[10:11], 1
	v_add_f64 v[14:15], v[22:23], -v[24:25]
	s_delay_alu instid0(VALU_DEP_4) | instskip(NEXT) | instid1(VALU_DEP_4)
	v_fma_f64 v[20:21], v[16:17], v[20:21], s[6:7]
	v_fma_f64 v[24:25], v[26:27], s[2:3], -v[28:29]
	s_mov_b32 s2, 0x6a214619
	s_mov_b32 s3, 0xbfaae5ce
	s_delay_alu instid0(VALU_DEP_3) | instskip(NEXT) | instid1(VALU_DEP_3)
	v_add_f64 v[14:15], v[18:19], -v[14:15]
	v_fma_f64 v[18:19], v[16:17], v[20:21], s[2:3]
	s_mov_b32 s2, 0x3b39803f
	s_mov_b32 s3, 0x3c7abc9e
	s_delay_alu instid0(VALU_DEP_3) | instid1(SALU_CYCLE_1)
	v_fma_f64 v[20:21], v[26:27], s[2:3], v[24:25]
	s_mov_b32 s2, 0x8427b883
	s_mov_b32 s3, 0x3fae1bb4
	s_delay_alu instid0(VALU_DEP_3) | instskip(NEXT) | instid1(VALU_DEP_3)
	v_add_f64 v[10:11], v[10:11], v[14:15]
	v_fma_f64 v[14:15], v[16:17], v[18:19], s[2:3]
	s_mov_b32 s2, 0x8b207f05
	s_mov_b32 s3, 0xbfb110e4
	s_delay_alu instid0(VALU_DEP_3) | instskip(NEXT) | instid1(VALU_DEP_3)
	v_add_f64 v[18:19], v[28:29], v[20:21]
	v_add_f64 v[24:25], v[22:23], v[10:11]
	s_delay_alu instid0(VALU_DEP_3) | instskip(SKIP_2) | instid1(VALU_DEP_3)
	v_fma_f64 v[14:15], v[16:17], v[14:15], s[2:3]
	s_mov_b32 s2, 0x57b87036
	s_mov_b32 s3, 0x3fb3b136
	v_add_f64 v[28:29], v[18:19], -v[28:29]
	s_delay_alu instid0(VALU_DEP_3) | instskip(SKIP_1) | instid1(VALU_DEP_4)
	v_add_f64 v[26:27], v[18:19], v[24:25]
	v_add_f64 v[22:23], v[24:25], -v[22:23]
	v_fma_f64 v[14:15], v[16:17], v[14:15], s[2:3]
	s_mov_b32 s2, 0x19378e4f
	s_mov_b32 s3, 0xbfb745d1
	s_delay_alu instid0(VALU_DEP_4) | instskip(NEXT) | instid1(VALU_DEP_4)
	v_add_f64 v[20:21], v[20:21], -v[28:29]
	v_add_f64 v[30:31], v[26:27], -v[18:19]
	s_delay_alu instid0(VALU_DEP_4) | instskip(NEXT) | instid1(VALU_DEP_4)
	v_add_f64 v[10:11], v[10:11], -v[22:23]
	v_fma_f64 v[14:15], v[16:17], v[14:15], s[2:3]
	s_mov_b32 s2, 0x17e1913c
	s_mov_b32 s3, 0x3fbc71c7
	s_delay_alu instid0(VALU_DEP_3) | instskip(SKIP_1) | instid1(VALU_DEP_4)
	v_add_f64 v[32:33], v[26:27], -v[30:31]
	v_add_f64 v[22:23], v[24:25], -v[30:31]
	v_add_f64 v[24:25], v[20:21], v[10:11]
	s_delay_alu instid0(VALU_DEP_4) | instskip(SKIP_2) | instid1(VALU_DEP_4)
	v_fma_f64 v[14:15], v[16:17], v[14:15], s[2:3]
	s_mov_b32 s2, 0x92376b7d
	s_mov_b32 s3, 0xbfc24924
	v_add_f64 v[18:19], v[18:19], -v[32:33]
	s_delay_alu instid0(VALU_DEP_2) | instskip(SKIP_2) | instid1(VALU_DEP_2)
	v_fma_f64 v[14:15], v[16:17], v[14:15], s[2:3]
	s_mov_b32 s2, 0x999952cc
	s_mov_b32 s3, 0x3fc99999
	v_add_f64 v[18:19], v[22:23], v[18:19]
	v_add_f64 v[22:23], v[24:25], -v[20:21]
	s_delay_alu instid0(VALU_DEP_3) | instskip(SKIP_2) | instid1(VALU_DEP_3)
	v_fma_f64 v[14:15], v[16:17], v[14:15], s[2:3]
	s_mov_b32 s2, 0x55555523
	s_mov_b32 s3, 0xbfd55555
	v_add_f64 v[18:19], v[24:25], v[18:19]
	s_delay_alu instid0(VALU_DEP_3) | instskip(SKIP_1) | instid1(VALU_DEP_4)
	v_add_f64 v[24:25], v[24:25], -v[22:23]
	v_add_f64 v[10:11], v[10:11], -v[22:23]
	v_fma_f64 v[14:15], v[16:17], v[14:15], s[2:3]
	s_mov_b32 s2, 0x54442d18
	s_mov_b32 s3, 0x3ff921fb
	s_delay_alu instid0(VALU_DEP_4) | instskip(NEXT) | instid1(VALU_DEP_2)
	v_add_f64 v[28:29], v[26:27], v[18:19]
	v_mul_f64 v[14:15], v[16:17], v[14:15]
	v_add_f64 v[16:17], v[20:21], -v[24:25]
	s_delay_alu instid0(VALU_DEP_3) | instskip(NEXT) | instid1(VALU_DEP_3)
	v_add_f64 v[20:21], v[28:29], -v[26:27]
	v_fma_f64 v[12:13], v[12:13], v[14:15], v[12:13]
	s_delay_alu instid0(VALU_DEP_3) | instskip(NEXT) | instid1(VALU_DEP_3)
	v_add_f64 v[10:11], v[10:11], v[16:17]
	v_add_f64 v[14:15], v[18:19], -v[20:21]
	s_delay_alu instid0(VALU_DEP_3) | instskip(SKIP_1) | instid1(VALU_DEP_2)
	v_add_f64 v[16:17], -v[12:13], s[2:3]
	s_mov_b32 s3, 0x400921fb
	v_add_f64 v[10:11], v[10:11], v[14:15]
	s_delay_alu instid0(VALU_DEP_2) | instskip(NEXT) | instid1(VALU_DEP_3)
	v_cndmask_b32_e64 v13, v13, v17, s0
	v_cndmask_b32_e64 v12, v12, v16, s0
	v_ashrrev_i32_e32 v17, 31, v1
	s_delay_alu instid0(VALU_DEP_2) | instskip(SKIP_2) | instid1(VALU_DEP_4)
	v_add_f64 v[14:15], -v[12:13], s[2:3]
	v_cmp_class_f64_e64 s3, v[2:3], 0x204
	v_cmp_neq_f64_e64 s2, 0, v[8:9]
	v_and_b32_e32 v9, 0x400921fb, v17
	v_mov_b32_e32 v8, 0x4002d97c
	v_and_b32_e32 v18, 0x54442d18, v17
	s_delay_alu instid0(VALU_DEP_2) | instskip(NEXT) | instid1(VALU_DEP_1)
	v_cndmask_b32_e32 v8, 0x3fe921fb, v8, vcc_lo
	v_bfi_b32 v8, 0x7fffffff, v8, v3
	v_add_f64 v[10:11], v[28:29], v[10:11]
	v_cndmask_b32_e32 v12, v12, v14, vcc_lo
	s_delay_alu instid0(VALU_DEP_2) | instskip(SKIP_1) | instid1(VALU_DEP_3)
	v_mul_f64 v[0:1], v[10:11], 0.5
	v_cndmask_b32_e32 v10, v13, v15, vcc_lo
	v_cndmask_b32_e64 v11, v12, v18, s1
	s_delay_alu instid0(VALU_DEP_2) | instskip(SKIP_1) | instid1(VALU_DEP_1)
	v_cndmask_b32_e64 v9, v10, v9, s1
	v_mov_b32_e32 v16, 0x7f3321d2
	v_cndmask_b32_e32 v16, 0x54442d18, v16, vcc_lo
	s_and_b32 vcc_lo, s5, s3
	s_delay_alu instid0(VALU_DEP_3) | instskip(NEXT) | instid1(VALU_DEP_2)
	v_cndmask_b32_e32 v15, v9, v8, vcc_lo
	v_cndmask_b32_e32 v14, v11, v16, vcc_lo
                                        ; implicit-def: $vgpr16_vgpr17
                                        ; implicit-def: $vgpr10_vgpr11
	v_cndmask_b32_e64 v13, 0xfff00000, v1, s2
	v_cndmask_b32_e64 v12, 0, v0, s2
                                        ; implicit-def: $vgpr0_vgpr1
.LBB79_9:
	s_and_not1_saveexec_b32 s16, s4
	s_cbranch_execz .LBB79_13
; %bb.10:
	v_dual_mov_b32 v8, 0 :: v_dual_and_b32 v9, 0x7ffffff8, v17
	v_and_b32_e32 v13, 0x7ffffff8, v11
	s_mov_b32 s17, 0
	s_delay_alu instid0(VALU_DEP_2) | instskip(NEXT) | instid1(VALU_DEP_3)
	v_mov_b32_e32 v12, v8
	v_add_f64 v[14:15], v[16:17], -v[8:9]
	v_mov_b32_e32 v18, v8
	v_add_f64 v[26:27], v[8:9], v[8:9]
	s_delay_alu instid0(VALU_DEP_4)
	v_add_f64 v[10:11], v[10:11], -v[12:13]
	v_mov_b32_e32 v24, v8
	v_add_f64 v[30:31], v[12:13], v[12:13]
	v_mul_f64 v[8:9], v[8:9], v[8:9]
	v_mul_f64 v[16:17], v[12:13], v[12:13]
	v_and_b32_e32 v19, -8, v15
	v_and_b32_e32 v25, -8, v11
	s_delay_alu instid0(VALU_DEP_2)
	v_add_f64 v[28:29], v[14:15], -v[18:19]
	v_add_f64 v[32:33], v[18:19], v[18:19]
	v_mul_f64 v[22:23], v[26:27], v[18:19]
	v_mul_f64 v[14:15], v[18:19], v[18:19]
	v_add_f64 v[34:35], v[10:11], -v[24:25]
	v_add_f64 v[36:37], v[24:25], v[24:25]
	v_mul_f64 v[20:21], v[30:31], v[24:25]
	v_mul_f64 v[12:13], v[24:25], v[24:25]
	;; [unrolled: 1-line block ×8, first 2 shown]
.LBB79_11:                              ; =>This Inner Loop Header: Depth=1
	v_cmp_nlt_f64_e32 vcc_lo, v[8:9], v[16:17]
	v_dual_cndmask_b32 v33, v9, v17 :: v_dual_cndmask_b32 v32, v8, v16
	v_dual_cndmask_b32 v9, v17, v9 :: v_dual_cndmask_b32 v8, v16, v8
	s_delay_alu instid0(VALU_DEP_2) | instskip(NEXT) | instid1(VALU_DEP_1)
	v_cmp_nlt_f64_e64 s1, v[32:33], v[22:23]
	v_cndmask_b32_e64 v35, v33, v23, s1
	v_cndmask_b32_e64 v34, v32, v22, s1
	;; [unrolled: 1-line block ×4, first 2 shown]
	s_and_b32 s1, vcc_lo, s1
	s_delay_alu instid0(VALU_DEP_3) | instskip(NEXT) | instid1(VALU_DEP_1)
	v_cmp_nlt_f64_e64 s2, v[34:35], v[20:21]
	v_cndmask_b32_e64 v37, v35, v21, s2
	v_cndmask_b32_e64 v36, v34, v20, s2
	;; [unrolled: 1-line block ×4, first 2 shown]
	s_delay_alu instid0(VALU_DEP_3) | instskip(NEXT) | instid1(VALU_DEP_1)
	v_cmp_nlt_f64_e64 s3, v[36:37], v[14:15]
	v_cndmask_b32_e64 v39, v37, v15, s3
	v_cndmask_b32_e64 v38, v36, v14, s3
	;; [unrolled: 1-line block ×4, first 2 shown]
	s_and_b32 s2, s2, s3
	s_delay_alu instid0(VALU_DEP_3) | instskip(NEXT) | instid1(VALU_DEP_1)
	v_cmp_nlt_f64_e64 s4, v[38:39], v[12:13]
	v_cndmask_b32_e64 v49, v39, v13, s4
	v_cndmask_b32_e64 v48, v38, v12, s4
	;; [unrolled: 1-line block ×4, first 2 shown]
	s_delay_alu instid0(VALU_DEP_3) | instskip(NEXT) | instid1(VALU_DEP_1)
	v_cmp_nlt_f64_e64 s5, v[48:49], v[18:19]
	v_cndmask_b32_e64 v51, v49, v19, s5
	v_cndmask_b32_e64 v50, v48, v18, s5
	s_and_b32 s3, s4, s5
	v_cndmask_b32_e64 v13, v19, v49, s5
	v_cndmask_b32_e64 v12, v18, v48, s5
	s_delay_alu instid0(VALU_DEP_3) | instskip(NEXT) | instid1(VALU_DEP_1)
	v_cmp_nlt_f64_e64 s6, v[50:51], v[26:27]
	v_cndmask_b32_e64 v53, v51, v27, s6
	v_cndmask_b32_e64 v52, v50, v26, s6
	s_and_b32 s3, s3, s6
	v_cndmask_b32_e64 v19, v27, v51, s6
	v_cndmask_b32_e64 v18, v26, v50, s6
	;; [unrolled: 7-line block ×5, first 2 shown]
	s_delay_alu instid0(VALU_DEP_3) | instskip(NEXT) | instid1(VALU_DEP_1)
	v_cmp_nlt_f64_e64 s10, v[66:67], v[30:31]
	v_cndmask_b32_e64 v33, v67, v31, s10
	v_cndmask_b32_e64 v32, v66, v30, s10
	s_and_b32 s3, s3, s10
	v_cndmask_b32_e64 v29, v31, v67, s10
	s_and_b32 s2, s3, s2
	;; [unrolled: 2-line block ×3, first 2 shown]
	v_dual_mov_b32 v30, v32 :: v_dual_mov_b32 v31, v33
	s_and_b32 s1, exec_lo, s1
	s_delay_alu instid0(SALU_CYCLE_1) | instskip(NEXT) | instid1(SALU_CYCLE_1)
	s_or_b32 s17, s1, s17
	s_and_not1_b32 exec_lo, exec_lo, s17
	s_cbranch_execnz .LBB79_11
; %bb.12:
	s_or_b32 exec_lo, exec_lo, s17
	v_add_f64 v[8:9], v[8:9], -1.0
	s_mov_b32 s3, 0x3fe55555
	s_mov_b32 s2, 0x55555555
	;; [unrolled: 1-line block ×6, first 2 shown]
	v_cmp_gt_i32_e64 s1, 0, v1
	s_delay_alu instid0(VALU_DEP_2) | instskip(NEXT) | instid1(VALU_DEP_1)
	v_add_f64 v[8:9], v[8:9], v[16:17]
	v_add_f64 v[8:9], v[8:9], v[22:23]
	s_delay_alu instid0(VALU_DEP_1) | instskip(NEXT) | instid1(VALU_DEP_1)
	v_add_f64 v[8:9], v[8:9], v[20:21]
	v_add_f64 v[8:9], v[8:9], v[14:15]
	s_delay_alu instid0(VALU_DEP_1) | instskip(NEXT) | instid1(VALU_DEP_1)
	;; [unrolled: 3-line block ×5, first 2 shown]
	v_add_f64 v[8:9], v[32:33], v[8:9]
	v_add_f64 v[10:11], v[8:9], 1.0
	s_delay_alu instid0(VALU_DEP_1) | instskip(SKIP_2) | instid1(VALU_DEP_3)
	v_frexp_mant_f64_e32 v[12:13], v[10:11]
	v_frexp_exp_i32_f64_e32 v16, v[10:11]
	v_add_f64 v[14:15], v[10:11], -1.0
	v_cmp_gt_f64_e32 vcc_lo, s[2:3], v[12:13]
	s_mov_b32 s2, 0x55555780
	s_delay_alu instid0(VALU_DEP_2) | instskip(SKIP_2) | instid1(VALU_DEP_3)
	v_add_f64 v[12:13], v[14:15], -v[10:11]
	v_add_f64 v[14:15], v[8:9], -v[14:15]
	v_subrev_co_ci_u32_e32 v48, vcc_lo, 0, v16, vcc_lo
	v_add_f64 v[12:13], v[12:13], 1.0
	s_delay_alu instid0(VALU_DEP_2) | instskip(NEXT) | instid1(VALU_DEP_1)
	v_sub_nc_u32_e32 v18, 0, v48
	v_ldexp_f64 v[10:11], v[10:11], v18
	s_delay_alu instid0(VALU_DEP_3) | instskip(NEXT) | instid1(VALU_DEP_2)
	v_add_f64 v[12:13], v[14:15], v[12:13]
	v_add_f64 v[16:17], v[10:11], 1.0
	v_add_f64 v[22:23], v[10:11], -1.0
	s_delay_alu instid0(VALU_DEP_3) | instskip(NEXT) | instid1(VALU_DEP_3)
	v_ldexp_f64 v[12:13], v[12:13], v18
	v_add_f64 v[14:15], v[16:17], -1.0
	s_delay_alu instid0(VALU_DEP_3) | instskip(NEXT) | instid1(VALU_DEP_2)
	v_add_f64 v[24:25], v[22:23], 1.0
	v_add_f64 v[14:15], v[10:11], -v[14:15]
	s_delay_alu instid0(VALU_DEP_2) | instskip(NEXT) | instid1(VALU_DEP_2)
	v_add_f64 v[10:11], v[10:11], -v[24:25]
	v_add_f64 v[14:15], v[12:13], v[14:15]
	s_delay_alu instid0(VALU_DEP_2) | instskip(NEXT) | instid1(VALU_DEP_2)
	v_add_f64 v[10:11], v[12:13], v[10:11]
	v_add_f64 v[18:19], v[16:17], v[14:15]
	s_delay_alu instid0(VALU_DEP_2) | instskip(NEXT) | instid1(VALU_DEP_2)
	v_add_f64 v[24:25], v[22:23], v[10:11]
	v_rcp_f64_e32 v[20:21], v[18:19]
	v_add_f64 v[16:17], v[18:19], -v[16:17]
	s_delay_alu instid0(VALU_DEP_2) | instskip(NEXT) | instid1(VALU_DEP_2)
	v_add_f64 v[22:23], v[24:25], -v[22:23]
	v_add_f64 v[14:15], v[14:15], -v[16:17]
	s_waitcnt_depctr 0xfff
	v_fma_f64 v[26:27], -v[18:19], v[20:21], 1.0
	v_add_f64 v[10:11], v[10:11], -v[22:23]
	s_delay_alu instid0(VALU_DEP_2) | instskip(NEXT) | instid1(VALU_DEP_1)
	v_fma_f64 v[20:21], v[26:27], v[20:21], v[20:21]
	v_fma_f64 v[12:13], -v[18:19], v[20:21], 1.0
	s_delay_alu instid0(VALU_DEP_1) | instskip(NEXT) | instid1(VALU_DEP_1)
	v_fma_f64 v[12:13], v[12:13], v[20:21], v[20:21]
	v_mul_f64 v[20:21], v[24:25], v[12:13]
	s_delay_alu instid0(VALU_DEP_1) | instskip(NEXT) | instid1(VALU_DEP_1)
	v_mul_f64 v[26:27], v[18:19], v[20:21]
	v_fma_f64 v[16:17], v[20:21], v[18:19], -v[26:27]
	s_delay_alu instid0(VALU_DEP_1) | instskip(NEXT) | instid1(VALU_DEP_1)
	v_fma_f64 v[16:17], v[20:21], v[14:15], v[16:17]
	v_add_f64 v[28:29], v[26:27], v[16:17]
	s_delay_alu instid0(VALU_DEP_1) | instskip(SKIP_2) | instid1(VALU_DEP_3)
	v_add_f64 v[30:31], v[24:25], -v[28:29]
	v_add_f64 v[22:23], v[28:29], -v[26:27]
	v_max_f64 v[26:27], |v[2:3]|, |v[2:3]|
	v_add_f64 v[24:25], v[24:25], -v[30:31]
	s_delay_alu instid0(VALU_DEP_3) | instskip(NEXT) | instid1(VALU_DEP_2)
	v_add_f64 v[16:17], v[22:23], -v[16:17]
	v_add_f64 v[24:25], v[24:25], -v[28:29]
	v_max_f64 v[28:29], |v[0:1]|, |v[0:1]|
	s_delay_alu instid0(VALU_DEP_2) | instskip(NEXT) | instid1(VALU_DEP_2)
	v_add_f64 v[10:11], v[10:11], v[24:25]
	v_max_f64 v[32:33], v[28:29], v[26:27]
	v_min_f64 v[26:27], v[28:29], v[26:27]
	s_delay_alu instid0(VALU_DEP_3) | instskip(NEXT) | instid1(VALU_DEP_1)
	v_add_f64 v[10:11], v[16:17], v[10:11]
	v_add_f64 v[16:17], v[30:31], v[10:11]
	s_delay_alu instid0(VALU_DEP_1) | instskip(SKIP_1) | instid1(VALU_DEP_2)
	v_mul_f64 v[22:23], v[12:13], v[16:17]
	v_add_f64 v[30:31], v[30:31], -v[16:17]
	v_mul_f64 v[24:25], v[18:19], v[22:23]
	s_delay_alu instid0(VALU_DEP_2) | instskip(NEXT) | instid1(VALU_DEP_2)
	v_add_f64 v[10:11], v[10:11], v[30:31]
	v_fma_f64 v[18:19], v[22:23], v[18:19], -v[24:25]
	s_delay_alu instid0(VALU_DEP_1) | instskip(SKIP_1) | instid1(VALU_DEP_2)
	v_fma_f64 v[14:15], v[22:23], v[14:15], v[18:19]
	v_div_scale_f64 v[18:19], null, v[32:33], v[32:33], v[26:27]
	v_add_f64 v[28:29], v[24:25], v[14:15]
	s_delay_alu instid0(VALU_DEP_2) | instskip(NEXT) | instid1(VALU_DEP_1)
	v_rcp_f64_e32 v[34:35], v[18:19]
	v_add_f64 v[36:37], v[16:17], -v[28:29]
	v_add_f64 v[24:25], v[28:29], -v[24:25]
	s_waitcnt_depctr 0xfff
	v_fma_f64 v[38:39], -v[18:19], v[34:35], 1.0
	v_add_f64 v[16:17], v[16:17], -v[36:37]
	v_add_f64 v[14:15], v[24:25], -v[14:15]
	s_delay_alu instid0(VALU_DEP_3) | instskip(NEXT) | instid1(VALU_DEP_3)
	v_fma_f64 v[34:35], v[34:35], v[38:39], v[34:35]
	v_add_f64 v[16:17], v[16:17], -v[28:29]
	s_delay_alu instid0(VALU_DEP_2) | instskip(NEXT) | instid1(VALU_DEP_2)
	v_fma_f64 v[28:29], -v[18:19], v[34:35], 1.0
	v_add_f64 v[10:11], v[10:11], v[16:17]
	v_div_scale_f64 v[16:17], vcc_lo, v[26:27], v[32:33], v[26:27]
	s_delay_alu instid0(VALU_DEP_3) | instskip(SKIP_1) | instid1(VALU_DEP_4)
	v_fma_f64 v[24:25], v[34:35], v[28:29], v[34:35]
	v_add_f64 v[28:29], v[20:21], v[22:23]
	v_add_f64 v[10:11], v[14:15], v[10:11]
	s_delay_alu instid0(VALU_DEP_3) | instskip(NEXT) | instid1(VALU_DEP_3)
	v_mul_f64 v[14:15], v[16:17], v[24:25]
	v_add_f64 v[20:21], v[28:29], -v[20:21]
	s_delay_alu instid0(VALU_DEP_3) | instskip(NEXT) | instid1(VALU_DEP_3)
	v_add_f64 v[10:11], v[36:37], v[10:11]
	v_fma_f64 v[16:17], -v[18:19], v[14:15], v[16:17]
	s_delay_alu instid0(VALU_DEP_3) | instskip(NEXT) | instid1(VALU_DEP_3)
	v_add_f64 v[18:19], v[22:23], -v[20:21]
	v_mul_f64 v[10:11], v[12:13], v[10:11]
	s_delay_alu instid0(VALU_DEP_3) | instskip(SKIP_1) | instid1(VALU_DEP_3)
	v_div_fmas_f64 v[12:13], v[16:17], v[24:25], v[14:15]
	v_cmp_eq_f64_e32 vcc_lo, 0x7ff00000, v[8:9]
	v_add_f64 v[10:11], v[18:19], v[10:11]
	s_delay_alu instid0(VALU_DEP_3) | instskip(NEXT) | instid1(VALU_DEP_2)
	v_div_fixup_f64 v[12:13], v[12:13], v[32:33], v[26:27]
	v_add_f64 v[14:15], v[28:29], v[10:11]
	s_delay_alu instid0(VALU_DEP_2) | instskip(NEXT) | instid1(VALU_DEP_2)
	v_mul_f64 v[16:17], v[12:13], v[12:13]
	v_mul_f64 v[18:19], v[14:15], v[14:15]
	s_delay_alu instid0(VALU_DEP_2)
	v_fma_f64 v[20:21], v[16:17], s[6:7], s[4:5]
	s_mov_b32 s4, 0x6b47b09a
	s_mov_b32 s6, 0xbf559e2b
	;; [unrolled: 1-line block ×4, first 2 shown]
	s_delay_alu instid0(VALU_DEP_2) | instid1(SALU_CYCLE_1)
	v_fma_f64 v[22:23], v[18:19], s[6:7], s[4:5]
	s_mov_b32 s4, 0x69efb384
	s_mov_b32 s5, 0x3f4b2bb0
	v_mul_f64 v[24:25], v[14:15], v[18:19]
	s_delay_alu instid0(VALU_DEP_3)
	v_fma_f64 v[20:21], v[16:17], v[20:21], s[4:5]
	s_mov_b32 s4, 0xd7f4df2e
	s_mov_b32 s5, 0x3fc7474d
	s_delay_alu instid0(VALU_DEP_3) | instid1(SALU_CYCLE_1)
	v_fma_f64 v[22:23], v[18:19], v[22:23], s[4:5]
	s_mov_b32 s4, 0xaf56de9b
	s_mov_b32 s5, 0xbf67952d
	s_delay_alu instid0(VALU_DEP_2) | instid1(SALU_CYCLE_1)
	v_fma_f64 v[20:21], v[16:17], v[20:21], s[4:5]
	s_mov_b32 s4, 0x16291751
	s_mov_b32 s5, 0x3fcc71c0
	s_delay_alu instid0(VALU_DEP_2) | instid1(SALU_CYCLE_1)
	;; [unrolled: 4-line block ×7, first 2 shown]
	v_fma_f64 v[20:21], v[16:17], v[20:21], s[4:5]
	s_mov_b32 s4, 0x6ef28734
	s_mov_b32 s5, 0x3fa82d5d
	s_delay_alu instid0(VALU_DEP_2) | instskip(SKIP_3) | instid1(VALU_DEP_3)
	v_fma_f64 v[18:19], v[18:19], v[22:23], s[2:3]
	s_mov_b32 s2, 0xfc27006a
	s_mov_b32 s3, 0xbf9e9ae6
	v_ldexp_f64 v[22:23], v[14:15], 1
	v_fma_f64 v[20:21], v[16:17], v[20:21], s[2:3]
	s_mov_b32 s2, 0x5711927a
	s_mov_b32 s3, 0x3fa2c15b
	v_add_f64 v[14:15], v[14:15], -v[28:29]
	s_delay_alu instid0(VALU_DEP_4) | instskip(SKIP_1) | instid1(VALU_DEP_4)
	v_mul_f64 v[18:19], v[24:25], v[18:19]
	v_cvt_f64_i32_e32 v[24:25], v48
	v_fma_f64 v[20:21], v[16:17], v[20:21], s[2:3]
	s_mov_b32 s2, 0xe82d3ff0
	s_mov_b32 s3, 0xbfa59976
	s_delay_alu instid0(VALU_DEP_4) | instskip(NEXT) | instid1(VALU_DEP_4)
	v_add_f64 v[10:11], v[10:11], -v[14:15]
	v_add_f64 v[26:27], v[22:23], v[18:19]
	s_delay_alu instid0(VALU_DEP_3) | instskip(SKIP_2) | instid1(VALU_DEP_3)
	v_fma_f64 v[20:21], v[16:17], v[20:21], s[2:3]
	s_mov_b32 s2, 0xfefa39ef
	s_mov_b32 s3, 0x3fe62e42
	v_ldexp_f64 v[10:11], v[10:11], 1
	v_mul_f64 v[28:29], v[24:25], s[2:3]
	s_delay_alu instid0(VALU_DEP_4) | instskip(NEXT) | instid1(VALU_DEP_4)
	v_add_f64 v[14:15], v[26:27], -v[22:23]
	v_fma_f64 v[20:21], v[16:17], v[20:21], s[4:5]
	s_delay_alu instid0(VALU_DEP_3) | instskip(SKIP_2) | instid1(VALU_DEP_3)
	v_fma_f64 v[22:23], v[24:25], s[2:3], -v[28:29]
	s_mov_b32 s2, 0x6a214619
	s_mov_b32 s3, 0xbfaae5ce
	v_add_f64 v[14:15], v[18:19], -v[14:15]
	s_delay_alu instid0(VALU_DEP_3)
	v_fma_f64 v[18:19], v[16:17], v[20:21], s[2:3]
	s_mov_b32 s2, 0x3b39803f
	s_mov_b32 s3, 0x3c7abc9e
	s_delay_alu instid0(VALU_DEP_3) | instid1(SALU_CYCLE_1)
	v_fma_f64 v[20:21], v[24:25], s[2:3], v[22:23]
	s_mov_b32 s2, 0x8427b883
	s_mov_b32 s3, 0x3fae1bb4
	s_delay_alu instid0(VALU_DEP_3) | instskip(NEXT) | instid1(VALU_DEP_3)
	v_add_f64 v[10:11], v[10:11], v[14:15]
	v_fma_f64 v[14:15], v[16:17], v[18:19], s[2:3]
	s_mov_b32 s2, 0x8b207f05
	s_mov_b32 s3, 0xbfb110e4
	s_delay_alu instid0(VALU_DEP_3) | instskip(NEXT) | instid1(VALU_DEP_3)
	v_add_f64 v[18:19], v[28:29], v[20:21]
	v_add_f64 v[22:23], v[26:27], v[10:11]
	s_delay_alu instid0(VALU_DEP_3) | instskip(SKIP_2) | instid1(VALU_DEP_3)
	v_fma_f64 v[14:15], v[16:17], v[14:15], s[2:3]
	s_mov_b32 s2, 0x57b87036
	s_mov_b32 s3, 0x3fb3b136
	v_add_f64 v[28:29], v[18:19], -v[28:29]
	s_delay_alu instid0(VALU_DEP_3) | instskip(SKIP_1) | instid1(VALU_DEP_4)
	v_add_f64 v[24:25], v[18:19], v[22:23]
	v_add_f64 v[26:27], v[22:23], -v[26:27]
	v_fma_f64 v[14:15], v[16:17], v[14:15], s[2:3]
	s_mov_b32 s2, 0x19378e4f
	s_mov_b32 s3, 0xbfb745d1
	s_delay_alu instid0(VALU_DEP_4) | instskip(NEXT) | instid1(VALU_DEP_4)
	v_add_f64 v[20:21], v[20:21], -v[28:29]
	v_add_f64 v[30:31], v[24:25], -v[18:19]
	s_delay_alu instid0(VALU_DEP_4) | instskip(NEXT) | instid1(VALU_DEP_4)
	v_add_f64 v[10:11], v[10:11], -v[26:27]
	v_fma_f64 v[14:15], v[16:17], v[14:15], s[2:3]
	s_mov_b32 s2, 0x17e1913c
	s_mov_b32 s3, 0x3fbc71c7
	s_delay_alu instid0(VALU_DEP_3) | instskip(SKIP_1) | instid1(VALU_DEP_4)
	v_add_f64 v[32:33], v[24:25], -v[30:31]
	v_add_f64 v[22:23], v[22:23], -v[30:31]
	v_add_f64 v[26:27], v[20:21], v[10:11]
	s_delay_alu instid0(VALU_DEP_4) | instskip(SKIP_2) | instid1(VALU_DEP_4)
	v_fma_f64 v[14:15], v[16:17], v[14:15], s[2:3]
	s_mov_b32 s2, 0x92376b7d
	s_mov_b32 s3, 0xbfc24924
	v_add_f64 v[18:19], v[18:19], -v[32:33]
	s_delay_alu instid0(VALU_DEP_2) | instskip(SKIP_2) | instid1(VALU_DEP_2)
	v_fma_f64 v[14:15], v[16:17], v[14:15], s[2:3]
	s_mov_b32 s2, 0x999952cc
	s_mov_b32 s3, 0x3fc99999
	v_add_f64 v[18:19], v[22:23], v[18:19]
	v_add_f64 v[22:23], v[26:27], -v[20:21]
	s_delay_alu instid0(VALU_DEP_3) | instskip(SKIP_2) | instid1(VALU_DEP_3)
	v_fma_f64 v[14:15], v[16:17], v[14:15], s[2:3]
	s_mov_b32 s2, 0x55555523
	s_mov_b32 s3, 0xbfd55555
	v_add_f64 v[18:19], v[26:27], v[18:19]
	s_delay_alu instid0(VALU_DEP_3) | instskip(SKIP_1) | instid1(VALU_DEP_4)
	v_add_f64 v[26:27], v[26:27], -v[22:23]
	v_add_f64 v[10:11], v[10:11], -v[22:23]
	v_fma_f64 v[14:15], v[16:17], v[14:15], s[2:3]
	s_mov_b32 s2, 0x54442d18
	s_mov_b32 s3, 0x3ff921fb
	s_delay_alu instid0(VALU_DEP_4) | instskip(NEXT) | instid1(VALU_DEP_2)
	v_add_f64 v[28:29], v[24:25], v[18:19]
	v_mul_f64 v[14:15], v[16:17], v[14:15]
	v_add_f64 v[16:17], v[20:21], -v[26:27]
	s_delay_alu instid0(VALU_DEP_3) | instskip(NEXT) | instid1(VALU_DEP_3)
	v_add_f64 v[20:21], v[28:29], -v[24:25]
	v_fma_f64 v[12:13], v[12:13], v[14:15], v[12:13]
	s_delay_alu instid0(VALU_DEP_3) | instskip(NEXT) | instid1(VALU_DEP_3)
	v_add_f64 v[10:11], v[10:11], v[16:17]
	v_add_f64 v[14:15], v[18:19], -v[20:21]
	s_delay_alu instid0(VALU_DEP_3) | instskip(SKIP_1) | instid1(VALU_DEP_2)
	v_add_f64 v[16:17], -v[12:13], s[2:3]
	s_mov_b32 s3, 0x400921fb
	v_add_f64 v[10:11], v[10:11], v[14:15]
	s_delay_alu instid0(VALU_DEP_2) | instskip(NEXT) | instid1(VALU_DEP_3)
	v_cndmask_b32_e64 v13, v13, v17, s0
	v_cndmask_b32_e64 v12, v12, v16, s0
	v_ashrrev_i32_e32 v17, 31, v1
	s_delay_alu instid0(VALU_DEP_2) | instskip(SKIP_2) | instid1(VALU_DEP_4)
	v_add_f64 v[14:15], -v[12:13], s[2:3]
	v_cmp_class_f64_e64 s3, v[0:1], 0x204
	v_cmp_class_f64_e64 s2, v[2:3], 0x204
	v_and_b32_e32 v1, 0x400921fb, v17
	v_add_f64 v[10:11], v[28:29], v[10:11]
	v_mov_b32_e32 v16, 0x7f3321d2
	v_cndmask_b32_e64 v13, v13, v15, s1
	v_cndmask_b32_e64 v12, v12, v14, s1
	s_delay_alu instid0(VALU_DEP_4) | instskip(SKIP_3) | instid1(VALU_DEP_4)
	v_dual_cndmask_b32 v11, v11, v9 :: v_dual_cndmask_b32 v10, v10, v8
	v_cmp_eq_f64_e32 vcc_lo, 0, v[2:3]
	v_mov_b32_e32 v0, 0x4002d97c
	v_cndmask_b32_e64 v16, 0x54442d18, v16, s1
	v_mul_f64 v[10:11], v[10:11], 0.5
	v_cndmask_b32_e32 v1, v13, v1, vcc_lo
	s_delay_alu instid0(VALU_DEP_4) | instskip(SKIP_1) | instid1(VALU_DEP_2)
	v_cndmask_b32_e64 v0, 0x3fe921fb, v0, s1
	v_cmp_nge_f64_e64 s1, -1.0, v[8:9]
	v_bfi_b32 v0, 0x7fffffff, v0, v3
	v_and_b32_e32 v18, 0x54442d18, v17
	s_delay_alu instid0(VALU_DEP_1)
	v_cndmask_b32_e32 v14, v12, v18, vcc_lo
	v_cmp_ngt_f64_e32 vcc_lo, -1.0, v[8:9]
	v_cndmask_b32_e64 v12, 0, v10, s1
	v_cmp_neq_f64_e64 s1, -1.0, v[8:9]
	v_cndmask_b32_e32 v11, 0x7ff80000, v11, vcc_lo
	s_and_b32 vcc_lo, s3, s2
	v_cndmask_b32_e32 v15, v1, v0, vcc_lo
	v_cndmask_b32_e32 v14, v14, v16, vcc_lo
	s_delay_alu instid0(VALU_DEP_3)
	v_cndmask_b32_e64 v13, 0xfff00000, v11, s1
.LBB79_13:
	s_or_b32 exec_lo, exec_lo, s16
.LBB79_14:
	s_delay_alu instid0(SALU_CYCLE_1)
	s_or_b32 exec_lo, exec_lo, s15
                                        ; implicit-def: $vgpr0_vgpr1
.LBB79_15:
	s_and_not1_saveexec_b32 s4, s14
	s_cbranch_execz .LBB79_17
; %bb.16:
	v_max_f64 v[8:9], |v[2:3]|, |v[2:3]|
	v_max_f64 v[10:11], |v[0:1]|, |v[0:1]|
	v_cmp_class_f64_e64 s5, v[0:1], 0x204
	v_cmp_class_f64_e64 s6, v[2:3], 0x204
	s_mov_b32 s3, 0x3fe55555
	s_mov_b32 s2, 0x55555555
	s_mov_b32 s8, 0xbd3237f4
	s_mov_b32 s14, 0xb5e68a13
	s_mov_b32 s9, 0xbf23e260
	s_mov_b32 s15, 0x3eeba404
	s_delay_alu instid0(VALU_DEP_3) | instskip(SKIP_1) | instid1(VALU_DEP_3)
	v_max_f64 v[12:13], v[10:11], v[8:9]
	v_min_f64 v[8:9], v[10:11], v[8:9]
	s_or_b32 s7, s5, s6
	s_delay_alu instid0(VALU_DEP_2) | instskip(NEXT) | instid1(VALU_DEP_1)
	v_frexp_exp_i32_f64_e32 v22, v[12:13]
	v_sub_nc_u32_e32 v16, 0, v22
	s_delay_alu instid0(VALU_DEP_1) | instskip(SKIP_1) | instid1(VALU_DEP_2)
	v_ldexp_f64 v[14:15], |v[2:3]|, v16
	v_ldexp_f64 v[16:17], |v[0:1]|, v16
	v_mul_f64 v[14:15], v[14:15], v[14:15]
	s_delay_alu instid0(VALU_DEP_1) | instskip(NEXT) | instid1(VALU_DEP_1)
	v_fma_f64 v[14:15], v[16:17], v[16:17], v[14:15]
	v_rsq_f64_e32 v[16:17], v[14:15]
	v_cmp_eq_f64_e32 vcc_lo, 0, v[14:15]
	s_waitcnt_depctr 0xfff
	v_mul_f64 v[18:19], v[14:15], v[16:17]
	v_mul_f64 v[16:17], v[16:17], 0.5
	s_delay_alu instid0(VALU_DEP_1) | instskip(NEXT) | instid1(VALU_DEP_1)
	v_fma_f64 v[20:21], -v[16:17], v[18:19], 0.5
	v_fma_f64 v[18:19], v[18:19], v[20:21], v[18:19]
	v_fma_f64 v[16:17], v[16:17], v[20:21], v[16:17]
	s_delay_alu instid0(VALU_DEP_2) | instskip(NEXT) | instid1(VALU_DEP_1)
	v_fma_f64 v[20:21], -v[18:19], v[18:19], v[14:15]
	v_fma_f64 v[16:17], v[20:21], v[16:17], v[18:19]
	s_delay_alu instid0(VALU_DEP_1) | instskip(NEXT) | instid1(VALU_DEP_2)
	v_dual_mov_b32 v20, 0 :: v_dual_cndmask_b32 v15, v17, v15
	v_cndmask_b32_e32 v14, v16, v14, vcc_lo
	v_div_scale_f64 v[36:37], vcc_lo, v[8:9], v[12:13], v[8:9]
	s_delay_alu instid0(VALU_DEP_2) | instskip(NEXT) | instid1(VALU_DEP_1)
	v_ldexp_f64 v[14:15], v[14:15], v22
	v_cndmask_b32_e64 v17, v15, 0x7ff00000, s7
	s_delay_alu instid0(VALU_DEP_2) | instskip(NEXT) | instid1(VALU_DEP_1)
	v_cndmask_b32_e64 v16, v14, 0, s7
	v_frexp_mant_f64_e32 v[18:19], v[16:17]
	v_frexp_exp_i32_f64_e32 v0, v[16:17]
	s_delay_alu instid0(VALU_DEP_2) | instskip(SKIP_1) | instid1(VALU_DEP_1)
	v_cmp_gt_f64_e64 s1, s[2:3], v[18:19]
	s_mov_b32 s2, 0x55555780
	v_cndmask_b32_e64 v21, 0x3ff00000, 2.0, s1
	s_delay_alu instid0(VALU_DEP_1) | instskip(NEXT) | instid1(VALU_DEP_1)
	v_mul_f64 v[18:19], v[18:19], v[20:21]
	v_add_f64 v[20:21], v[18:19], 1.0
	v_add_f64 v[26:27], v[18:19], -1.0
	s_delay_alu instid0(VALU_DEP_2) | instskip(SKIP_1) | instid1(VALU_DEP_1)
	v_rcp_f64_e32 v[22:23], v[20:21]
	v_add_f64 v[28:29], v[20:21], -1.0
	v_add_f64 v[18:19], v[18:19], -v[28:29]
	s_waitcnt_depctr 0xfff
	v_fma_f64 v[24:25], -v[20:21], v[22:23], 1.0
	s_delay_alu instid0(VALU_DEP_1) | instskip(NEXT) | instid1(VALU_DEP_1)
	v_fma_f64 v[22:23], v[24:25], v[22:23], v[22:23]
	v_fma_f64 v[24:25], -v[20:21], v[22:23], 1.0
	s_delay_alu instid0(VALU_DEP_1) | instskip(SKIP_1) | instid1(VALU_DEP_2)
	v_fma_f64 v[22:23], v[24:25], v[22:23], v[22:23]
	v_div_scale_f64 v[24:25], null, v[12:13], v[12:13], v[8:9]
	v_mul_f64 v[10:11], v[26:27], v[22:23]
	s_delay_alu instid0(VALU_DEP_2) | instskip(NEXT) | instid1(VALU_DEP_1)
	v_rcp_f64_e32 v[32:33], v[24:25]
	v_mul_f64 v[30:31], v[20:21], v[10:11]
	s_waitcnt_depctr 0xfff
	v_fma_f64 v[28:29], -v[24:25], v[32:33], 1.0
	v_fma_f64 v[20:21], v[10:11], v[20:21], -v[30:31]
	s_delay_alu instid0(VALU_DEP_1) | instskip(NEXT) | instid1(VALU_DEP_3)
	v_fma_f64 v[18:19], v[10:11], v[18:19], v[20:21]
	v_fma_f64 v[20:21], v[32:33], v[28:29], v[32:33]
	s_delay_alu instid0(VALU_DEP_2) | instskip(NEXT) | instid1(VALU_DEP_2)
	v_add_f64 v[28:29], v[30:31], v[18:19]
	v_fma_f64 v[32:33], -v[24:25], v[20:21], 1.0
	s_delay_alu instid0(VALU_DEP_2) | instskip(NEXT) | instid1(VALU_DEP_2)
	v_add_f64 v[34:35], v[26:27], -v[28:29]
	v_fma_f64 v[20:21], v[20:21], v[32:33], v[20:21]
	v_add_f64 v[30:31], v[28:29], -v[30:31]
	s_delay_alu instid0(VALU_DEP_3) | instskip(NEXT) | instid1(VALU_DEP_3)
	v_add_f64 v[26:27], v[26:27], -v[34:35]
	v_mul_f64 v[32:33], v[36:37], v[20:21]
	s_delay_alu instid0(VALU_DEP_3) | instskip(NEXT) | instid1(VALU_DEP_3)
	v_add_f64 v[18:19], v[30:31], -v[18:19]
	v_add_f64 v[26:27], v[26:27], -v[28:29]
	s_delay_alu instid0(VALU_DEP_3) | instskip(NEXT) | instid1(VALU_DEP_2)
	v_fma_f64 v[24:25], -v[24:25], v[32:33], v[36:37]
	v_add_f64 v[18:19], v[18:19], v[26:27]
	s_delay_alu instid0(VALU_DEP_2)
	v_div_fmas_f64 v[20:21], v[24:25], v[20:21], v[32:33]
	v_subrev_co_ci_u32_e64 v0, vcc_lo, 0, v0, s1
	v_cmp_class_f64_e64 s1, v[14:15], 0x204
	v_cmp_gt_i32_e32 vcc_lo, 0, v1
	v_add_f64 v[18:19], v[34:35], v[18:19]
	v_div_fixup_f64 v[8:9], v[20:21], v[12:13], v[8:9]
	s_delay_alu instid0(VALU_DEP_2) | instskip(NEXT) | instid1(VALU_DEP_2)
	v_mul_f64 v[12:13], v[22:23], v[18:19]
	v_mul_f64 v[18:19], v[8:9], v[8:9]
	s_delay_alu instid0(VALU_DEP_2) | instskip(NEXT) | instid1(VALU_DEP_2)
	v_add_f64 v[20:21], v[10:11], v[12:13]
	v_fma_f64 v[22:23], v[18:19], s[14:15], s[8:9]
	s_mov_b32 s8, 0x69efb384
	s_mov_b32 s9, 0x3f4b2bb0
	;; [unrolled: 1-line block ×4, first 2 shown]
	s_delay_alu instid0(VALU_DEP_2) | instskip(NEXT) | instid1(VALU_DEP_2)
	v_mul_f64 v[24:25], v[20:21], v[20:21]
	v_fma_f64 v[22:23], v[18:19], v[22:23], s[8:9]
	s_mov_b32 s8, 0xbf559e2b
	s_mov_b32 s9, 0x3fc3ab76
	v_add_f64 v[10:11], v[20:21], -v[10:11]
	s_delay_alu instid0(VALU_DEP_3) | instskip(SKIP_3) | instid1(VALU_DEP_4)
	v_fma_f64 v[26:27], v[24:25], s[8:9], s[14:15]
	s_mov_b32 s8, 0xaf56de9b
	s_mov_b32 s9, 0xbf67952d
	v_mul_f64 v[28:29], v[20:21], v[24:25]
	v_fma_f64 v[22:23], v[18:19], v[22:23], s[8:9]
	s_mov_b32 s8, 0xd7f4df2e
	s_mov_b32 s9, 0x3fc7474d
	s_delay_alu instid0(VALU_DEP_4) | instskip(NEXT) | instid1(VALU_DEP_4)
	v_add_f64 v[10:11], v[12:13], -v[10:11]
	v_fma_f64 v[26:27], v[24:25], v[26:27], s[8:9]
	s_mov_b32 s8, 0xa595c56f
	s_mov_b32 s9, 0x3f7d6d43
	s_delay_alu instid0(VALU_DEP_3) | instid1(SALU_CYCLE_1)
	v_fma_f64 v[22:23], v[18:19], v[22:23], s[8:9]
	s_mov_b32 s8, 0x16291751
	s_mov_b32 s9, 0x3fcc71c0
	s_delay_alu instid0(VALU_DEP_3) | instskip(NEXT) | instid1(VALU_DEP_3)
	v_ldexp_f64 v[10:11], v[10:11], 1
	v_fma_f64 v[26:27], v[24:25], v[26:27], s[8:9]
	s_mov_b32 s8, 0xa57d9582
	s_mov_b32 s9, 0xbf8c6ea4
	s_delay_alu instid0(VALU_DEP_3) | instid1(SALU_CYCLE_1)
	v_fma_f64 v[22:23], v[18:19], v[22:23], s[8:9]
	s_mov_b32 s8, 0x9b27acf1
	s_mov_b32 s9, 0x3fd24924
	s_delay_alu instid0(VALU_DEP_2) | instid1(SALU_CYCLE_1)
	v_fma_f64 v[26:27], v[24:25], v[26:27], s[8:9]
	s_mov_b32 s8, 0x5f08b19f
	s_mov_b32 s9, 0x3f967e29
	s_delay_alu instid0(VALU_DEP_2) | instid1(SALU_CYCLE_1)
	;; [unrolled: 4-line block ×4, first 2 shown]
	v_fma_f64 v[22:23], v[18:19], v[22:23], s[8:9]
	s_mov_b32 s8, 0xfefa39ef
	s_mov_b32 s9, 0x3fe62e42
	s_delay_alu instid0(VALU_DEP_2) | instskip(SKIP_3) | instid1(VALU_DEP_3)
	v_fma_f64 v[24:25], v[24:25], v[26:27], s[2:3]
	s_mov_b32 s2, 0x5711927a
	s_mov_b32 s3, 0x3fa2c15b
	v_ldexp_f64 v[26:27], v[20:21], 1
	v_fma_f64 v[22:23], v[18:19], v[22:23], s[2:3]
	s_mov_b32 s2, 0xe82d3ff0
	s_mov_b32 s3, 0xbfa59976
	s_delay_alu instid0(VALU_DEP_3) | instskip(SKIP_1) | instid1(VALU_DEP_3)
	v_mul_f64 v[24:25], v[28:29], v[24:25]
	v_cvt_f64_i32_e32 v[28:29], v0
	v_fma_f64 v[22:23], v[18:19], v[22:23], s[2:3]
	s_mov_b32 s2, 0x6ef28734
	s_mov_b32 s3, 0x3fa82d5d
	s_delay_alu instid0(VALU_DEP_3) | instskip(NEXT) | instid1(VALU_DEP_3)
	v_add_f64 v[20:21], v[26:27], v[24:25]
	v_mul_f64 v[30:31], v[28:29], s[8:9]
	s_delay_alu instid0(VALU_DEP_3) | instskip(SKIP_2) | instid1(VALU_DEP_3)
	v_fma_f64 v[22:23], v[18:19], v[22:23], s[2:3]
	s_mov_b32 s2, 0x6a214619
	s_mov_b32 s3, 0xbfaae5ce
	v_add_f64 v[12:13], v[20:21], -v[26:27]
	s_delay_alu instid0(VALU_DEP_3) | instskip(SKIP_2) | instid1(VALU_DEP_3)
	v_fma_f64 v[26:27], v[28:29], s[8:9], -v[30:31]
	s_mov_b32 s8, 0x3b39803f
	s_mov_b32 s9, 0x3c7abc9e
	v_fma_f64 v[22:23], v[18:19], v[22:23], s[2:3]
	s_mov_b32 s2, 0x8427b883
	s_mov_b32 s3, 0x3fae1bb4
	s_delay_alu instid0(VALU_DEP_3) | instskip(NEXT) | instid1(VALU_DEP_3)
	v_add_f64 v[12:13], v[24:25], -v[12:13]
	v_fma_f64 v[24:25], v[28:29], s[8:9], v[26:27]
	s_delay_alu instid0(VALU_DEP_3) | instskip(SKIP_2) | instid1(VALU_DEP_3)
	v_fma_f64 v[22:23], v[18:19], v[22:23], s[2:3]
	s_mov_b32 s2, 0x8b207f05
	s_mov_b32 s3, 0xbfb110e4
	v_add_f64 v[10:11], v[10:11], v[12:13]
	s_delay_alu instid0(VALU_DEP_2) | instskip(NEXT) | instid1(VALU_DEP_4)
	v_fma_f64 v[12:13], v[18:19], v[22:23], s[2:3]
	v_add_f64 v[22:23], v[30:31], v[24:25]
	s_mov_b32 s2, 0x57b87036
	s_mov_b32 s3, 0x3fb3b136
	s_delay_alu instid0(VALU_DEP_3) | instskip(NEXT) | instid1(VALU_DEP_3)
	v_add_f64 v[26:27], v[20:21], v[10:11]
	v_fma_f64 v[12:13], v[18:19], v[12:13], s[2:3]
	s_mov_b32 s2, 0x19378e4f
	s_mov_b32 s3, 0xbfb745d1
	s_delay_alu instid0(VALU_DEP_3) | instskip(NEXT) | instid1(VALU_DEP_3)
	v_add_f64 v[30:31], v[22:23], -v[30:31]
	v_add_f64 v[28:29], v[22:23], v[26:27]
	v_add_f64 v[20:21], v[26:27], -v[20:21]
	s_delay_alu instid0(VALU_DEP_4) | instskip(SKIP_2) | instid1(VALU_DEP_4)
	v_fma_f64 v[12:13], v[18:19], v[12:13], s[2:3]
	s_mov_b32 s2, 0x17e1913c
	s_mov_b32 s3, 0x3fbc71c7
	v_add_f64 v[24:25], v[24:25], -v[30:31]
	s_delay_alu instid0(VALU_DEP_4) | instskip(NEXT) | instid1(VALU_DEP_4)
	v_add_f64 v[32:33], v[28:29], -v[22:23]
	v_add_f64 v[10:11], v[10:11], -v[20:21]
	s_delay_alu instid0(VALU_DEP_4) | instskip(SKIP_2) | instid1(VALU_DEP_3)
	v_fma_f64 v[12:13], v[18:19], v[12:13], s[2:3]
	s_mov_b32 s2, 0x92376b7d
	s_mov_b32 s3, 0xbfc24924
	v_add_f64 v[34:35], v[28:29], -v[32:33]
	v_add_f64 v[20:21], v[26:27], -v[32:33]
	s_delay_alu instid0(VALU_DEP_4) | instskip(NEXT) | instid1(VALU_DEP_4)
	v_add_f64 v[26:27], v[24:25], v[10:11]
	v_fma_f64 v[12:13], v[18:19], v[12:13], s[2:3]
	s_mov_b32 s2, 0x999952cc
	s_mov_b32 s3, 0x3fc99999
	s_delay_alu instid0(VALU_DEP_4) | instskip(NEXT) | instid1(VALU_DEP_2)
	v_add_f64 v[22:23], v[22:23], -v[34:35]
	v_fma_f64 v[12:13], v[18:19], v[12:13], s[2:3]
	s_mov_b32 s2, 0x55555523
	s_mov_b32 s3, 0xbfd55555
	s_delay_alu instid0(VALU_DEP_2) | instskip(SKIP_1) | instid1(VALU_DEP_3)
	v_add_f64 v[20:21], v[20:21], v[22:23]
	v_add_f64 v[22:23], v[26:27], -v[24:25]
	v_fma_f64 v[12:13], v[18:19], v[12:13], s[2:3]
	s_mov_b32 s2, 0x54442d18
	s_mov_b32 s3, 0x3ff921fb
	s_delay_alu instid0(VALU_DEP_3) | instskip(NEXT) | instid1(VALU_DEP_3)
	v_add_f64 v[20:21], v[26:27], v[20:21]
	v_add_f64 v[10:11], v[10:11], -v[22:23]
	s_delay_alu instid0(VALU_DEP_3) | instskip(SKIP_1) | instid1(VALU_DEP_4)
	v_mul_f64 v[12:13], v[18:19], v[12:13]
	v_add_f64 v[18:19], v[26:27], -v[22:23]
	v_add_f64 v[26:27], v[28:29], v[20:21]
	s_delay_alu instid0(VALU_DEP_3) | instskip(NEXT) | instid1(VALU_DEP_3)
	v_fma_f64 v[8:9], v[8:9], v[12:13], v[8:9]
	v_add_f64 v[12:13], v[24:25], -v[18:19]
	s_delay_alu instid0(VALU_DEP_3) | instskip(NEXT) | instid1(VALU_DEP_3)
	v_add_f64 v[18:19], v[26:27], -v[28:29]
	v_add_f64 v[22:23], -v[8:9], s[2:3]
	s_delay_alu instid0(VALU_DEP_3) | instskip(SKIP_1) | instid1(VALU_DEP_3)
	v_add_f64 v[10:11], v[10:11], v[12:13]
	s_mov_b32 s3, 0x400921fb
	v_add_f64 v[12:13], v[20:21], -v[18:19]
	v_ashrrev_i32_e32 v18, 31, v1
	s_delay_alu instid0(VALU_DEP_4) | instskip(SKIP_1) | instid1(VALU_DEP_3)
	v_cndmask_b32_e64 v9, v9, v23, s0
	v_cndmask_b32_e64 v8, v8, v22, s0
	v_and_b32_e32 v1, 0x54442d18, v18
	v_add_f64 v[10:11], v[10:11], v[12:13]
	s_delay_alu instid0(VALU_DEP_3) | instskip(SKIP_2) | instid1(VALU_DEP_4)
	v_add_f64 v[12:13], -v[8:9], s[2:3]
	v_mov_b32_e32 v0, 0x7f3321d2
	v_cmp_eq_f64_e64 s2, 0, v[2:3]
	v_add_f64 v[10:11], v[26:27], v[10:11]
	s_delay_alu instid0(VALU_DEP_4) | instskip(SKIP_2) | instid1(VALU_DEP_2)
	v_dual_cndmask_b32 v9, v9, v13 :: v_dual_cndmask_b32 v8, v8, v12
	v_mov_b32_e32 v12, 0x4002d97c
	v_cndmask_b32_e32 v0, 0x54442d18, v0, vcc_lo
	v_cndmask_b32_e32 v12, 0x3fe921fb, v12, vcc_lo
	v_cmp_ngt_f64_e32 vcc_lo, 0, v[16:17]
	s_delay_alu instid0(VALU_DEP_2)
	v_bfi_b32 v12, 0x7fffffff, v12, v3
	v_cndmask_b32_e64 v11, v11, v15, s1
	v_and_b32_e32 v15, 0x400921fb, v18
	v_cndmask_b32_e64 v10, v10, v14, s1
	v_cmp_nge_f64_e64 s1, 0, v[16:17]
	v_cndmask_b32_e64 v1, v8, v1, s2
	v_cndmask_b32_e64 v11, v11, 0x7ff00000, s7
	;; [unrolled: 1-line block ×4, first 2 shown]
	s_delay_alu instid0(VALU_DEP_3) | instskip(SKIP_1) | instid1(VALU_DEP_3)
	v_cndmask_b32_e32 v10, 0x7ff80000, v11, vcc_lo
	s_and_b32 vcc_lo, s5, s6
	v_cndmask_b32_e32 v15, v8, v12, vcc_lo
	v_cndmask_b32_e32 v14, v1, v0, vcc_lo
	v_cndmask_b32_e64 v12, 0, v9, s1
	v_cmp_neq_f64_e64 s1, 0, v[16:17]
	s_delay_alu instid0(VALU_DEP_1)
	v_cndmask_b32_e64 v13, 0xfff00000, v10, s1
.LBB79_17:
	s_or_b32 exec_lo, exec_lo, s4
                                        ; implicit-def: $vgpr10_vgpr11
                                        ; implicit-def: $vgpr0_vgpr1
.LBB79_18:
	s_and_not1_saveexec_b32 s4, s13
	s_cbranch_execz .LBB79_24
; %bb.19:
	s_mov_b32 s2, 0x6a3f9475
	s_mov_b32 s3, 0x20ca2fe7
                                        ; implicit-def: $vgpr12_vgpr13
                                        ; implicit-def: $vgpr14_vgpr15
	s_mov_b32 s1, exec_lo
	v_cmpx_ngt_f64_e32 s[2:3], v[10:11]
	s_xor_b32 s5, exec_lo, s1
	s_cbranch_execz .LBB79_21
; %bb.20:
	v_mul_f64 v[8:9], v[10:11], v[10:11]
	s_mov_b32 s3, 0x3fe55555
	s_mov_b32 s2, 0x55555555
	;; [unrolled: 1-line block ×6, first 2 shown]
	v_cmp_gt_i32_e64 s1, 0, v1
	s_delay_alu instid0(VALU_DEP_2) | instskip(NEXT) | instid1(VALU_DEP_1)
	v_add_f64 v[10:11], v[8:9], 1.0
	v_frexp_mant_f64_e32 v[12:13], v[10:11]
	v_frexp_exp_i32_f64_e32 v16, v[10:11]
	v_add_f64 v[14:15], v[10:11], -1.0
	s_delay_alu instid0(VALU_DEP_3) | instskip(SKIP_1) | instid1(VALU_DEP_2)
	v_cmp_gt_f64_e32 vcc_lo, s[2:3], v[12:13]
	s_mov_b32 s2, 0x55555780
	v_add_f64 v[12:13], v[14:15], -v[10:11]
	v_add_f64 v[14:15], v[8:9], -v[14:15]
	v_subrev_co_ci_u32_e32 v48, vcc_lo, 0, v16, vcc_lo
	s_delay_alu instid0(VALU_DEP_3) | instskip(NEXT) | instid1(VALU_DEP_2)
	v_add_f64 v[12:13], v[12:13], 1.0
	v_sub_nc_u32_e32 v18, 0, v48
	s_delay_alu instid0(VALU_DEP_1) | instskip(NEXT) | instid1(VALU_DEP_3)
	v_ldexp_f64 v[10:11], v[10:11], v18
	v_add_f64 v[12:13], v[14:15], v[12:13]
	s_delay_alu instid0(VALU_DEP_2) | instskip(SKIP_1) | instid1(VALU_DEP_3)
	v_add_f64 v[16:17], v[10:11], 1.0
	v_add_f64 v[22:23], v[10:11], -1.0
	v_ldexp_f64 v[12:13], v[12:13], v18
	s_delay_alu instid0(VALU_DEP_3) | instskip(NEXT) | instid1(VALU_DEP_3)
	v_add_f64 v[14:15], v[16:17], -1.0
	v_add_f64 v[24:25], v[22:23], 1.0
	s_delay_alu instid0(VALU_DEP_2) | instskip(NEXT) | instid1(VALU_DEP_2)
	v_add_f64 v[14:15], v[10:11], -v[14:15]
	v_add_f64 v[10:11], v[10:11], -v[24:25]
	s_delay_alu instid0(VALU_DEP_2) | instskip(NEXT) | instid1(VALU_DEP_2)
	v_add_f64 v[14:15], v[12:13], v[14:15]
	v_add_f64 v[10:11], v[12:13], v[10:11]
	s_delay_alu instid0(VALU_DEP_2) | instskip(NEXT) | instid1(VALU_DEP_2)
	v_add_f64 v[18:19], v[16:17], v[14:15]
	v_add_f64 v[24:25], v[22:23], v[10:11]
	s_delay_alu instid0(VALU_DEP_2) | instskip(SKIP_1) | instid1(VALU_DEP_2)
	v_rcp_f64_e32 v[20:21], v[18:19]
	v_add_f64 v[16:17], v[16:17], -v[18:19]
	v_add_f64 v[22:23], v[22:23], -v[24:25]
	s_delay_alu instid0(VALU_DEP_2) | instskip(SKIP_3) | instid1(VALU_DEP_2)
	v_add_f64 v[14:15], v[14:15], v[16:17]
	s_waitcnt_depctr 0xfff
	v_fma_f64 v[26:27], -v[18:19], v[20:21], 1.0
	v_add_f64 v[10:11], v[10:11], v[22:23]
	v_fma_f64 v[20:21], v[26:27], v[20:21], v[20:21]
	s_delay_alu instid0(VALU_DEP_1) | instskip(NEXT) | instid1(VALU_DEP_1)
	v_fma_f64 v[12:13], -v[18:19], v[20:21], 1.0
	v_fma_f64 v[12:13], v[12:13], v[20:21], v[20:21]
	s_delay_alu instid0(VALU_DEP_1) | instskip(NEXT) | instid1(VALU_DEP_1)
	v_mul_f64 v[20:21], v[24:25], v[12:13]
	v_mul_f64 v[26:27], v[18:19], v[20:21]
	s_delay_alu instid0(VALU_DEP_1) | instskip(NEXT) | instid1(VALU_DEP_1)
	v_fma_f64 v[16:17], v[20:21], v[18:19], -v[26:27]
	v_fma_f64 v[16:17], v[20:21], v[14:15], v[16:17]
	s_delay_alu instid0(VALU_DEP_1) | instskip(NEXT) | instid1(VALU_DEP_1)
	v_add_f64 v[28:29], v[26:27], v[16:17]
	v_add_f64 v[30:31], v[24:25], -v[28:29]
	v_add_f64 v[22:23], v[28:29], -v[26:27]
	v_max_f64 v[26:27], |v[2:3]|, |v[2:3]|
	s_delay_alu instid0(VALU_DEP_3) | instskip(NEXT) | instid1(VALU_DEP_3)
	v_add_f64 v[24:25], v[24:25], -v[30:31]
	v_add_f64 v[16:17], v[22:23], -v[16:17]
	s_delay_alu instid0(VALU_DEP_2) | instskip(SKIP_1) | instid1(VALU_DEP_2)
	v_add_f64 v[24:25], v[24:25], -v[28:29]
	v_max_f64 v[28:29], |v[0:1]|, |v[0:1]|
	v_add_f64 v[10:11], v[10:11], v[24:25]
	s_delay_alu instid0(VALU_DEP_2) | instskip(SKIP_1) | instid1(VALU_DEP_3)
	v_max_f64 v[32:33], v[28:29], v[26:27]
	v_min_f64 v[26:27], v[28:29], v[26:27]
	v_add_f64 v[10:11], v[16:17], v[10:11]
	s_delay_alu instid0(VALU_DEP_1) | instskip(NEXT) | instid1(VALU_DEP_1)
	v_add_f64 v[16:17], v[30:31], v[10:11]
	v_mul_f64 v[22:23], v[12:13], v[16:17]
	v_add_f64 v[30:31], v[30:31], -v[16:17]
	s_delay_alu instid0(VALU_DEP_2) | instskip(NEXT) | instid1(VALU_DEP_2)
	v_mul_f64 v[24:25], v[18:19], v[22:23]
	v_add_f64 v[10:11], v[10:11], v[30:31]
	s_delay_alu instid0(VALU_DEP_2) | instskip(NEXT) | instid1(VALU_DEP_1)
	v_fma_f64 v[18:19], v[22:23], v[18:19], -v[24:25]
	v_fma_f64 v[14:15], v[22:23], v[14:15], v[18:19]
	v_div_scale_f64 v[18:19], null, v[32:33], v[32:33], v[26:27]
	s_delay_alu instid0(VALU_DEP_2) | instskip(NEXT) | instid1(VALU_DEP_2)
	v_add_f64 v[28:29], v[24:25], v[14:15]
	v_rcp_f64_e32 v[34:35], v[18:19]
	s_delay_alu instid0(VALU_DEP_1)
	v_add_f64 v[36:37], v[16:17], -v[28:29]
	v_add_f64 v[24:25], v[28:29], -v[24:25]
	s_waitcnt_depctr 0xfff
	v_fma_f64 v[38:39], -v[18:19], v[34:35], 1.0
	v_add_f64 v[16:17], v[16:17], -v[36:37]
	v_add_f64 v[14:15], v[24:25], -v[14:15]
	s_delay_alu instid0(VALU_DEP_3) | instskip(NEXT) | instid1(VALU_DEP_3)
	v_fma_f64 v[34:35], v[34:35], v[38:39], v[34:35]
	v_add_f64 v[16:17], v[16:17], -v[28:29]
	s_delay_alu instid0(VALU_DEP_2) | instskip(NEXT) | instid1(VALU_DEP_2)
	v_fma_f64 v[28:29], -v[18:19], v[34:35], 1.0
	v_add_f64 v[10:11], v[10:11], v[16:17]
	v_div_scale_f64 v[16:17], vcc_lo, v[26:27], v[32:33], v[26:27]
	s_delay_alu instid0(VALU_DEP_3) | instskip(SKIP_1) | instid1(VALU_DEP_4)
	v_fma_f64 v[24:25], v[34:35], v[28:29], v[34:35]
	v_add_f64 v[28:29], v[20:21], v[22:23]
	v_add_f64 v[10:11], v[14:15], v[10:11]
	s_delay_alu instid0(VALU_DEP_3) | instskip(NEXT) | instid1(VALU_DEP_3)
	v_mul_f64 v[14:15], v[16:17], v[24:25]
	v_add_f64 v[20:21], v[28:29], -v[20:21]
	s_delay_alu instid0(VALU_DEP_3) | instskip(NEXT) | instid1(VALU_DEP_3)
	v_add_f64 v[10:11], v[36:37], v[10:11]
	v_fma_f64 v[16:17], -v[18:19], v[14:15], v[16:17]
	s_delay_alu instid0(VALU_DEP_3) | instskip(NEXT) | instid1(VALU_DEP_3)
	v_add_f64 v[18:19], v[22:23], -v[20:21]
	v_mul_f64 v[10:11], v[12:13], v[10:11]
	s_delay_alu instid0(VALU_DEP_3) | instskip(SKIP_1) | instid1(VALU_DEP_3)
	v_div_fmas_f64 v[12:13], v[16:17], v[24:25], v[14:15]
	v_cmp_eq_f64_e32 vcc_lo, 0x7ff00000, v[8:9]
	v_add_f64 v[10:11], v[18:19], v[10:11]
	s_delay_alu instid0(VALU_DEP_3) | instskip(NEXT) | instid1(VALU_DEP_2)
	v_div_fixup_f64 v[12:13], v[12:13], v[32:33], v[26:27]
	v_add_f64 v[14:15], v[28:29], v[10:11]
	s_delay_alu instid0(VALU_DEP_2) | instskip(NEXT) | instid1(VALU_DEP_2)
	v_mul_f64 v[16:17], v[12:13], v[12:13]
	v_mul_f64 v[18:19], v[14:15], v[14:15]
	s_delay_alu instid0(VALU_DEP_2)
	v_fma_f64 v[20:21], v[16:17], s[8:9], s[6:7]
	s_mov_b32 s6, 0x6b47b09a
	s_mov_b32 s8, 0xbf559e2b
	;; [unrolled: 1-line block ×4, first 2 shown]
	s_delay_alu instid0(VALU_DEP_2) | instid1(SALU_CYCLE_1)
	v_fma_f64 v[22:23], v[18:19], s[8:9], s[6:7]
	s_mov_b32 s6, 0x69efb384
	s_mov_b32 s7, 0x3f4b2bb0
	v_mul_f64 v[24:25], v[14:15], v[18:19]
	s_delay_alu instid0(VALU_DEP_3)
	v_fma_f64 v[20:21], v[16:17], v[20:21], s[6:7]
	s_mov_b32 s6, 0xd7f4df2e
	s_mov_b32 s7, 0x3fc7474d
	s_delay_alu instid0(VALU_DEP_3) | instid1(SALU_CYCLE_1)
	v_fma_f64 v[22:23], v[18:19], v[22:23], s[6:7]
	s_mov_b32 s6, 0xaf56de9b
	s_mov_b32 s7, 0xbf67952d
	s_delay_alu instid0(VALU_DEP_2) | instid1(SALU_CYCLE_1)
	v_fma_f64 v[20:21], v[16:17], v[20:21], s[6:7]
	s_mov_b32 s6, 0x16291751
	s_mov_b32 s7, 0x3fcc71c0
	s_delay_alu instid0(VALU_DEP_2) | instid1(SALU_CYCLE_1)
	;; [unrolled: 4-line block ×7, first 2 shown]
	v_fma_f64 v[20:21], v[16:17], v[20:21], s[6:7]
	s_mov_b32 s6, 0x6ef28734
	s_mov_b32 s7, 0x3fa82d5d
	s_delay_alu instid0(VALU_DEP_2) | instskip(SKIP_3) | instid1(VALU_DEP_3)
	v_fma_f64 v[18:19], v[18:19], v[22:23], s[2:3]
	s_mov_b32 s2, 0xfc27006a
	s_mov_b32 s3, 0xbf9e9ae6
	v_ldexp_f64 v[22:23], v[14:15], 1
	v_fma_f64 v[20:21], v[16:17], v[20:21], s[2:3]
	s_mov_b32 s2, 0x5711927a
	s_mov_b32 s3, 0x3fa2c15b
	v_add_f64 v[14:15], v[14:15], -v[28:29]
	s_delay_alu instid0(VALU_DEP_4) | instskip(SKIP_1) | instid1(VALU_DEP_4)
	v_mul_f64 v[18:19], v[24:25], v[18:19]
	v_cvt_f64_i32_e32 v[24:25], v48
	v_fma_f64 v[20:21], v[16:17], v[20:21], s[2:3]
	s_mov_b32 s2, 0xe82d3ff0
	s_mov_b32 s3, 0xbfa59976
	s_delay_alu instid0(VALU_DEP_4) | instskip(NEXT) | instid1(VALU_DEP_4)
	v_add_f64 v[10:11], v[10:11], -v[14:15]
	v_add_f64 v[26:27], v[22:23], v[18:19]
	s_delay_alu instid0(VALU_DEP_3) | instskip(SKIP_2) | instid1(VALU_DEP_3)
	v_fma_f64 v[20:21], v[16:17], v[20:21], s[2:3]
	s_mov_b32 s2, 0xfefa39ef
	s_mov_b32 s3, 0x3fe62e42
	v_ldexp_f64 v[10:11], v[10:11], 1
	v_mul_f64 v[28:29], v[24:25], s[2:3]
	s_delay_alu instid0(VALU_DEP_4) | instskip(NEXT) | instid1(VALU_DEP_4)
	v_add_f64 v[14:15], v[26:27], -v[22:23]
	v_fma_f64 v[20:21], v[16:17], v[20:21], s[6:7]
	v_cmp_class_f64_e64 s6, v[0:1], 0x204
	s_delay_alu instid0(VALU_DEP_4) | instskip(SKIP_2) | instid1(VALU_DEP_4)
	v_fma_f64 v[22:23], v[24:25], s[2:3], -v[28:29]
	s_mov_b32 s2, 0x6a214619
	s_mov_b32 s3, 0xbfaae5ce
	v_add_f64 v[14:15], v[18:19], -v[14:15]
	s_delay_alu instid0(VALU_DEP_4)
	v_fma_f64 v[18:19], v[16:17], v[20:21], s[2:3]
	s_mov_b32 s2, 0x3b39803f
	s_mov_b32 s3, 0x3c7abc9e
	s_delay_alu instid0(VALU_DEP_3) | instid1(SALU_CYCLE_1)
	v_fma_f64 v[20:21], v[24:25], s[2:3], v[22:23]
	s_mov_b32 s2, 0x8427b883
	s_mov_b32 s3, 0x3fae1bb4
	s_delay_alu instid0(VALU_DEP_3) | instskip(NEXT) | instid1(VALU_DEP_3)
	v_add_f64 v[10:11], v[10:11], v[14:15]
	v_fma_f64 v[14:15], v[16:17], v[18:19], s[2:3]
	s_mov_b32 s2, 0x8b207f05
	s_mov_b32 s3, 0xbfb110e4
	s_delay_alu instid0(VALU_DEP_3) | instskip(NEXT) | instid1(VALU_DEP_3)
	v_add_f64 v[18:19], v[28:29], v[20:21]
	v_add_f64 v[22:23], v[26:27], v[10:11]
	s_delay_alu instid0(VALU_DEP_3) | instskip(SKIP_2) | instid1(VALU_DEP_3)
	v_fma_f64 v[14:15], v[16:17], v[14:15], s[2:3]
	s_mov_b32 s2, 0x57b87036
	s_mov_b32 s3, 0x3fb3b136
	v_add_f64 v[28:29], v[18:19], -v[28:29]
	s_delay_alu instid0(VALU_DEP_3) | instskip(SKIP_1) | instid1(VALU_DEP_4)
	v_add_f64 v[24:25], v[18:19], v[22:23]
	v_add_f64 v[26:27], v[22:23], -v[26:27]
	v_fma_f64 v[14:15], v[16:17], v[14:15], s[2:3]
	s_mov_b32 s2, 0x19378e4f
	s_mov_b32 s3, 0xbfb745d1
	s_delay_alu instid0(VALU_DEP_4) | instskip(NEXT) | instid1(VALU_DEP_4)
	v_add_f64 v[20:21], v[20:21], -v[28:29]
	v_add_f64 v[30:31], v[24:25], -v[18:19]
	s_delay_alu instid0(VALU_DEP_4) | instskip(NEXT) | instid1(VALU_DEP_4)
	v_add_f64 v[10:11], v[10:11], -v[26:27]
	v_fma_f64 v[14:15], v[16:17], v[14:15], s[2:3]
	s_mov_b32 s2, 0x17e1913c
	s_mov_b32 s3, 0x3fbc71c7
	s_delay_alu instid0(VALU_DEP_3) | instskip(SKIP_1) | instid1(VALU_DEP_4)
	v_add_f64 v[32:33], v[24:25], -v[30:31]
	v_add_f64 v[22:23], v[22:23], -v[30:31]
	v_add_f64 v[26:27], v[20:21], v[10:11]
	s_delay_alu instid0(VALU_DEP_4) | instskip(SKIP_2) | instid1(VALU_DEP_4)
	v_fma_f64 v[14:15], v[16:17], v[14:15], s[2:3]
	s_mov_b32 s2, 0x92376b7d
	s_mov_b32 s3, 0xbfc24924
	v_add_f64 v[18:19], v[18:19], -v[32:33]
	s_delay_alu instid0(VALU_DEP_2) | instskip(SKIP_2) | instid1(VALU_DEP_2)
	v_fma_f64 v[14:15], v[16:17], v[14:15], s[2:3]
	s_mov_b32 s2, 0x999952cc
	s_mov_b32 s3, 0x3fc99999
	v_add_f64 v[18:19], v[22:23], v[18:19]
	v_add_f64 v[22:23], v[26:27], -v[20:21]
	s_delay_alu instid0(VALU_DEP_3) | instskip(SKIP_2) | instid1(VALU_DEP_3)
	v_fma_f64 v[14:15], v[16:17], v[14:15], s[2:3]
	s_mov_b32 s2, 0x55555523
	s_mov_b32 s3, 0xbfd55555
	v_add_f64 v[18:19], v[26:27], v[18:19]
	s_delay_alu instid0(VALU_DEP_3) | instskip(SKIP_1) | instid1(VALU_DEP_4)
	v_add_f64 v[26:27], v[26:27], -v[22:23]
	v_add_f64 v[10:11], v[10:11], -v[22:23]
	v_fma_f64 v[14:15], v[16:17], v[14:15], s[2:3]
	s_mov_b32 s2, 0x54442d18
	s_mov_b32 s3, 0x3ff921fb
	s_delay_alu instid0(VALU_DEP_4) | instskip(NEXT) | instid1(VALU_DEP_2)
	v_add_f64 v[28:29], v[24:25], v[18:19]
	v_mul_f64 v[14:15], v[16:17], v[14:15]
	v_add_f64 v[16:17], v[20:21], -v[26:27]
	s_delay_alu instid0(VALU_DEP_3) | instskip(NEXT) | instid1(VALU_DEP_3)
	v_add_f64 v[20:21], v[28:29], -v[24:25]
	v_fma_f64 v[12:13], v[12:13], v[14:15], v[12:13]
	s_delay_alu instid0(VALU_DEP_3) | instskip(NEXT) | instid1(VALU_DEP_3)
	v_add_f64 v[10:11], v[10:11], v[16:17]
	v_add_f64 v[14:15], v[18:19], -v[20:21]
	s_delay_alu instid0(VALU_DEP_3) | instskip(SKIP_1) | instid1(VALU_DEP_2)
	v_add_f64 v[16:17], -v[12:13], s[2:3]
	s_mov_b32 s3, 0x400921fb
	v_add_f64 v[10:11], v[10:11], v[14:15]
	s_delay_alu instid0(VALU_DEP_2) | instskip(NEXT) | instid1(VALU_DEP_3)
	v_cndmask_b32_e64 v14, v13, v17, s0
	v_cndmask_b32_e64 v13, v12, v16, s0
	v_ashrrev_i32_e32 v17, 31, v1
	s_delay_alu instid0(VALU_DEP_2)
	v_add_f64 v[15:16], -v[13:14], s[2:3]
	v_cmp_eq_f64_e64 s2, 0, v[2:3]
	v_cmp_class_f64_e64 s3, v[2:3], 0x204
	v_add_f64 v[10:11], v[28:29], v[10:11]
	v_mov_b32_e32 v12, 0x7f3321d2
	v_and_b32_e32 v19, 0x54442d18, v17
	v_cndmask_b32_e64 v15, v13, v15, s1
	s_delay_alu instid0(VALU_DEP_4) | instskip(NEXT) | instid1(VALU_DEP_4)
	v_dual_cndmask_b32 v0, v10, v8 :: v_dual_cndmask_b32 v1, v11, v9
	v_cndmask_b32_e64 v18, 0x54442d18, v12, s1
	v_cndmask_b32_e64 v8, v14, v16, s1
	s_delay_alu instid0(VALU_DEP_4) | instskip(SKIP_3) | instid1(VALU_DEP_3)
	v_cndmask_b32_e64 v9, v15, v19, s2
	s_and_b32 vcc_lo, s6, s3
	v_mul_f64 v[12:13], v[0:1], 0.5
	v_mov_b32_e32 v0, 0x4002d97c
	v_dual_cndmask_b32 v14, v9, v18 :: v_dual_and_b32 v1, 0x400921fb, v17
                                        ; implicit-def: $vgpr10_vgpr11
	s_delay_alu instid0(VALU_DEP_2) | instskip(NEXT) | instid1(VALU_DEP_2)
	v_cndmask_b32_e64 v0, 0x3fe921fb, v0, s1
	v_cndmask_b32_e64 v1, v8, v1, s2
	s_delay_alu instid0(VALU_DEP_2) | instskip(NEXT) | instid1(VALU_DEP_1)
	v_bfi_b32 v0, 0x7fffffff, v0, v3
	v_cndmask_b32_e32 v15, v1, v0, vcc_lo
                                        ; implicit-def: $vgpr0_vgpr1
.LBB79_21:
	s_and_not1_saveexec_b32 s2, s5
	s_cbranch_execz .LBB79_23
; %bb.22:
	v_max_f64 v[8:9], |v[2:3]|, |v[2:3]|
	v_max_f64 v[12:13], |v[0:1]|, |v[0:1]|
	s_mov_b32 s6, 0xbd3237f4
	s_mov_b32 s8, 0xb5e68a13
	;; [unrolled: 1-line block ×4, first 2 shown]
	v_cmp_eq_f64_e64 s1, 0, v[2:3]
	v_cmp_class_f64_e64 s3, v[2:3], 0x204
	v_cmp_class_f64_e64 s5, v[0:1], 0x204
	v_mov_b32_e32 v0, 0x4002d97c
	v_max_f64 v[14:15], v[12:13], v[8:9]
	v_min_f64 v[8:9], v[12:13], v[8:9]
	s_delay_alu instid0(VALU_DEP_1) | instskip(SKIP_1) | instid1(VALU_DEP_2)
	v_div_scale_f64 v[12:13], null, v[14:15], v[14:15], v[8:9]
	v_div_scale_f64 v[20:21], vcc_lo, v[8:9], v[14:15], v[8:9]
	v_rcp_f64_e32 v[16:17], v[12:13]
	s_waitcnt_depctr 0xfff
	v_fma_f64 v[18:19], -v[12:13], v[16:17], 1.0
	s_delay_alu instid0(VALU_DEP_1) | instskip(NEXT) | instid1(VALU_DEP_1)
	v_fma_f64 v[16:17], v[16:17], v[18:19], v[16:17]
	v_fma_f64 v[18:19], -v[12:13], v[16:17], 1.0
	s_delay_alu instid0(VALU_DEP_1) | instskip(NEXT) | instid1(VALU_DEP_1)
	v_fma_f64 v[16:17], v[16:17], v[18:19], v[16:17]
	v_mul_f64 v[18:19], v[20:21], v[16:17]
	s_delay_alu instid0(VALU_DEP_1) | instskip(NEXT) | instid1(VALU_DEP_1)
	v_fma_f64 v[12:13], -v[12:13], v[18:19], v[20:21]
	v_div_fmas_f64 v[12:13], v[12:13], v[16:17], v[18:19]
	v_ashrrev_i32_e32 v17, 31, v1
	v_cmp_gt_i32_e32 vcc_lo, 0, v1
	s_delay_alu instid0(VALU_DEP_2) | instskip(SKIP_1) | instid1(VALU_DEP_1)
	v_and_b32_e32 v19, 0x54442d18, v17
	v_cndmask_b32_e32 v0, 0x3fe921fb, v0, vcc_lo
	v_bfi_b32 v0, 0x7fffffff, v0, v3
	v_div_fixup_f64 v[8:9], v[12:13], v[14:15], v[8:9]
	s_delay_alu instid0(VALU_DEP_1) | instskip(NEXT) | instid1(VALU_DEP_1)
	v_mul_f64 v[12:13], v[8:9], v[8:9]
	v_fma_f64 v[14:15], v[12:13], s[8:9], s[6:7]
	s_mov_b32 s6, 0x69efb384
	s_mov_b32 s7, 0x3f4b2bb0
	s_delay_alu instid0(VALU_DEP_1) | instid1(SALU_CYCLE_1)
	v_fma_f64 v[14:15], v[12:13], v[14:15], s[6:7]
	s_mov_b32 s6, 0xaf56de9b
	s_mov_b32 s7, 0xbf67952d
	s_delay_alu instid0(VALU_DEP_1) | instid1(SALU_CYCLE_1)
	;; [unrolled: 4-line block ×18, first 2 shown]
	v_fma_f64 v[14:15], v[12:13], v[14:15], s[6:7]
	s_mov_b32 s6, 0x54442d18
	s_mov_b32 s7, 0x3ff921fb
	s_delay_alu instid0(VALU_DEP_1) | instskip(SKIP_1) | instid1(VALU_DEP_2)
	v_mul_f64 v[12:13], v[12:13], v[14:15]
	v_mul_f64 v[15:16], v[10:11], 0.5
	v_fma_f64 v[8:9], v[8:9], v[12:13], v[8:9]
	s_delay_alu instid0(VALU_DEP_1) | instskip(SKIP_1) | instid1(VALU_DEP_1)
	v_add_f64 v[12:13], -v[8:9], s[6:7]
	s_mov_b32 s7, 0x400921fb
	v_cndmask_b32_e64 v9, v9, v13, s0
	s_delay_alu instid0(VALU_DEP_2) | instskip(NEXT) | instid1(VALU_DEP_1)
	v_cndmask_b32_e64 v8, v8, v12, s0
	v_add_f64 v[13:14], -v[8:9], s[6:7]
	s_delay_alu instid0(VALU_DEP_1) | instskip(NEXT) | instid1(VALU_DEP_1)
	v_dual_mov_b32 v12, 0x7f3321d2 :: v_dual_cndmask_b32 v9, v9, v14
	v_cndmask_b32_e32 v18, 0x54442d18, v12, vcc_lo
	v_and_b32_e32 v1, 0x400921fb, v17
	s_delay_alu instid0(VALU_DEP_1) | instskip(SKIP_3) | instid1(VALU_DEP_3)
	v_cndmask_b32_e64 v1, v9, v1, s1
	v_cndmask_b32_e32 v8, v8, v13, vcc_lo
	v_mul_f64 v[12:13], v[10:11], v[15:16]
	s_and_b32 vcc_lo, s5, s3
	v_cndmask_b32_e32 v15, v1, v0, vcc_lo
	s_delay_alu instid0(VALU_DEP_3) | instskip(NEXT) | instid1(VALU_DEP_1)
	v_cndmask_b32_e64 v8, v8, v19, s1
	v_cndmask_b32_e32 v14, v8, v18, vcc_lo
.LBB79_23:
	s_or_b32 exec_lo, exec_lo, s2
.LBB79_24:
	s_delay_alu instid0(SALU_CYCLE_1)
	s_or_b32 exec_lo, exec_lo, s4
                                        ; implicit-def: $vgpr0_vgpr1
.LBB79_25:
	s_and_not1_saveexec_b32 s3, s12
	s_cbranch_execz .LBB79_27
; %bb.26:
	s_mov_b32 s4, 0x8b145769
	s_mov_b32 s5, 0x4005bf0a
	v_max_f64 v[24:25], |v[0:1]|, |v[0:1]|
	v_div_scale_f64 v[8:9], null, s[4:5], s[4:5], v[0:1]
	v_div_scale_f64 v[10:11], null, s[4:5], s[4:5], v[2:3]
	v_div_scale_f64 v[20:21], vcc_lo, v[0:1], s[4:5], v[0:1]
	s_mov_b32 s8, 0x6b47b09a
	s_mov_b32 s12, 0xbf559e2b
	;; [unrolled: 1-line block ×8, first 2 shown]
	s_delay_alu instid0(VALU_DEP_3) | instskip(NEXT) | instid1(VALU_DEP_2)
	v_rcp_f64_e32 v[12:13], v[8:9]
	v_rcp_f64_e32 v[14:15], v[10:11]
	s_waitcnt_depctr 0xfff
	v_fma_f64 v[16:17], -v[8:9], v[12:13], 1.0
	v_fma_f64 v[18:19], -v[10:11], v[14:15], 1.0
	s_delay_alu instid0(VALU_DEP_2) | instskip(NEXT) | instid1(VALU_DEP_2)
	v_fma_f64 v[12:13], v[12:13], v[16:17], v[12:13]
	v_fma_f64 v[14:15], v[14:15], v[18:19], v[14:15]
	s_delay_alu instid0(VALU_DEP_2) | instskip(NEXT) | instid1(VALU_DEP_2)
	v_fma_f64 v[16:17], -v[8:9], v[12:13], 1.0
	v_fma_f64 v[18:19], -v[10:11], v[14:15], 1.0
	s_delay_alu instid0(VALU_DEP_2) | instskip(SKIP_1) | instid1(VALU_DEP_3)
	v_fma_f64 v[12:13], v[12:13], v[16:17], v[12:13]
	v_div_scale_f64 v[16:17], s1, v[2:3], s[4:5], v[2:3]
	v_fma_f64 v[14:15], v[14:15], v[18:19], v[14:15]
	s_delay_alu instid0(VALU_DEP_3) | instskip(NEXT) | instid1(VALU_DEP_2)
	v_mul_f64 v[18:19], v[20:21], v[12:13]
	v_mul_f64 v[22:23], v[16:17], v[14:15]
	s_delay_alu instid0(VALU_DEP_2) | instskip(NEXT) | instid1(VALU_DEP_2)
	v_fma_f64 v[8:9], -v[8:9], v[18:19], v[20:21]
	v_fma_f64 v[10:11], -v[10:11], v[22:23], v[16:17]
	s_delay_alu instid0(VALU_DEP_2) | instskip(SKIP_1) | instid1(VALU_DEP_2)
	v_div_fmas_f64 v[8:9], v[8:9], v[12:13], v[18:19]
	s_mov_b32 vcc_lo, s1
	v_div_fmas_f64 v[10:11], v[10:11], v[14:15], v[22:23]
	s_delay_alu instid0(VALU_DEP_2) | instskip(NEXT) | instid1(VALU_DEP_2)
	v_div_fixup_f64 v[8:9], v[8:9], s[4:5], v[0:1]
	v_div_fixup_f64 v[10:11], v[10:11], s[4:5], v[2:3]
	s_mov_b32 s5, 0x3fe55555
	s_delay_alu instid0(VALU_DEP_2) | instskip(NEXT) | instid1(VALU_DEP_2)
	v_cmp_class_f64_e64 s2, v[8:9], 0x204
	v_max_f64 v[12:13], |v[8:9]|, |v[10:11]|
	v_cmp_o_f64_e64 s1, v[8:9], v[10:11]
	v_cmp_class_f64_e64 s4, v[10:11], 0x204
	s_delay_alu instid0(VALU_DEP_3) | instskip(NEXT) | instid1(VALU_DEP_2)
	v_frexp_exp_i32_f64_e32 v20, v[12:13]
	s_or_b32 s6, s2, s4
	s_mov_b32 s4, 0x55555555
	s_delay_alu instid0(VALU_DEP_1) | instskip(NEXT) | instid1(VALU_DEP_1)
	v_sub_nc_u32_e32 v14, 0, v20
	v_ldexp_f64 v[12:13], |v[10:11]|, v14
	v_ldexp_f64 v[14:15], |v[8:9]|, v14
	s_delay_alu instid0(VALU_DEP_2) | instskip(NEXT) | instid1(VALU_DEP_1)
	v_mul_f64 v[12:13], v[12:13], v[12:13]
	v_fma_f64 v[12:13], v[14:15], v[14:15], v[12:13]
	s_delay_alu instid0(VALU_DEP_1) | instskip(SKIP_4) | instid1(VALU_DEP_1)
	v_rsq_f64_e32 v[14:15], v[12:13]
	v_cmp_eq_f64_e32 vcc_lo, 0, v[12:13]
	s_waitcnt_depctr 0xfff
	v_mul_f64 v[16:17], v[12:13], v[14:15]
	v_mul_f64 v[14:15], v[14:15], 0.5
	v_fma_f64 v[18:19], -v[14:15], v[16:17], 0.5
	s_delay_alu instid0(VALU_DEP_1) | instskip(SKIP_1) | instid1(VALU_DEP_2)
	v_fma_f64 v[16:17], v[16:17], v[18:19], v[16:17]
	v_fma_f64 v[14:15], v[14:15], v[18:19], v[14:15]
	v_fma_f64 v[18:19], -v[16:17], v[16:17], v[12:13]
	s_delay_alu instid0(VALU_DEP_1) | instskip(NEXT) | instid1(VALU_DEP_1)
	v_fma_f64 v[14:15], v[18:19], v[14:15], v[16:17]
	v_dual_cndmask_b32 v13, v15, v13 :: v_dual_cndmask_b32 v12, v14, v12
	s_delay_alu instid0(VALU_DEP_1) | instskip(SKIP_1) | instid1(VALU_DEP_2)
	v_ldexp_f64 v[12:13], v[12:13], v20
	v_mov_b32_e32 v14, 0
	v_cndmask_b32_e64 v36, 0, v12, s1
	s_delay_alu instid0(VALU_DEP_3) | instskip(SKIP_1) | instid1(VALU_DEP_3)
	v_cndmask_b32_e64 v37, 0x7ff80000, v13, s1
	v_and_b32_e32 v13, 0x7fffffff, v13
	v_cndmask_b32_e64 v8, v36, 0, s6
	s_delay_alu instid0(VALU_DEP_3) | instskip(NEXT) | instid1(VALU_DEP_1)
	v_cndmask_b32_e64 v9, v37, 0x7ff00000, s6
	v_frexp_mant_f64_e32 v[10:11], v[8:9]
	s_delay_alu instid0(VALU_DEP_1) | instskip(SKIP_1) | instid1(VALU_DEP_1)
	v_cmp_gt_f64_e64 s2, s[4:5], v[10:11]
	s_mov_b32 s4, 0x55555780
	v_cndmask_b32_e64 v15, 0x3ff00000, 2.0, s2
	s_delay_alu instid0(VALU_DEP_1) | instskip(NEXT) | instid1(VALU_DEP_1)
	v_mul_f64 v[10:11], v[10:11], v[14:15]
	v_add_f64 v[14:15], v[10:11], 1.0
	v_add_f64 v[20:21], v[10:11], -1.0
	s_delay_alu instid0(VALU_DEP_2) | instskip(SKIP_1) | instid1(VALU_DEP_1)
	v_rcp_f64_e32 v[16:17], v[14:15]
	v_add_f64 v[26:27], v[14:15], -1.0
	v_add_f64 v[10:11], v[10:11], -v[26:27]
	s_waitcnt_depctr 0xfff
	v_fma_f64 v[18:19], -v[14:15], v[16:17], 1.0
	s_delay_alu instid0(VALU_DEP_1) | instskip(NEXT) | instid1(VALU_DEP_1)
	v_fma_f64 v[16:17], v[18:19], v[16:17], v[16:17]
	v_fma_f64 v[18:19], -v[14:15], v[16:17], 1.0
	s_delay_alu instid0(VALU_DEP_1) | instskip(SKIP_1) | instid1(VALU_DEP_2)
	v_fma_f64 v[16:17], v[18:19], v[16:17], v[16:17]
	v_max_f64 v[18:19], |v[2:3]|, |v[2:3]|
	v_mul_f64 v[22:23], v[20:21], v[16:17]
	s_delay_alu instid0(VALU_DEP_2) | instskip(SKIP_1) | instid1(VALU_DEP_3)
	v_max_f64 v[30:31], v[24:25], v[18:19]
	v_min_f64 v[18:19], v[24:25], v[18:19]
	v_mul_f64 v[28:29], v[14:15], v[22:23]
	s_delay_alu instid0(VALU_DEP_2) | instskip(NEXT) | instid1(VALU_DEP_2)
	v_div_scale_f64 v[24:25], null, v[30:31], v[30:31], v[18:19]
	v_fma_f64 v[14:15], v[22:23], v[14:15], -v[28:29]
	s_delay_alu instid0(VALU_DEP_1) | instskip(NEXT) | instid1(VALU_DEP_3)
	v_fma_f64 v[10:11], v[22:23], v[10:11], v[14:15]
	v_rcp_f64_e32 v[14:15], v[24:25]
	s_delay_alu instid0(VALU_DEP_1) | instskip(SKIP_4) | instid1(VALU_DEP_3)
	v_add_f64 v[26:27], v[28:29], v[10:11]
	s_waitcnt_depctr 0xfff
	v_fma_f64 v[32:33], -v[24:25], v[14:15], 1.0
	v_add_f64 v[34:35], v[20:21], -v[26:27]
	v_add_f64 v[28:29], v[26:27], -v[28:29]
	v_fma_f64 v[14:15], v[14:15], v[32:33], v[14:15]
	s_delay_alu instid0(VALU_DEP_3) | instskip(NEXT) | instid1(VALU_DEP_3)
	v_add_f64 v[20:21], v[20:21], -v[34:35]
	v_add_f64 v[10:11], v[28:29], -v[10:11]
	s_delay_alu instid0(VALU_DEP_3) | instskip(NEXT) | instid1(VALU_DEP_3)
	v_fma_f64 v[32:33], -v[24:25], v[14:15], 1.0
	v_add_f64 v[20:21], v[20:21], -v[26:27]
	v_div_scale_f64 v[26:27], vcc_lo, v[18:19], v[30:31], v[18:19]
	s_delay_alu instid0(VALU_DEP_3) | instskip(NEXT) | instid1(VALU_DEP_3)
	v_fma_f64 v[14:15], v[14:15], v[32:33], v[14:15]
	v_add_f64 v[10:11], v[10:11], v[20:21]
	s_delay_alu instid0(VALU_DEP_2) | instskip(NEXT) | instid1(VALU_DEP_2)
	v_mul_f64 v[20:21], v[26:27], v[14:15]
	v_add_f64 v[10:11], v[34:35], v[10:11]
	s_delay_alu instid0(VALU_DEP_2) | instskip(NEXT) | instid1(VALU_DEP_2)
	v_fma_f64 v[24:25], -v[24:25], v[20:21], v[26:27]
	v_mul_f64 v[10:11], v[16:17], v[10:11]
	s_delay_alu instid0(VALU_DEP_2) | instskip(NEXT) | instid1(VALU_DEP_2)
	v_div_fmas_f64 v[14:15], v[24:25], v[14:15], v[20:21]
	v_add_f64 v[16:17], v[22:23], v[10:11]
	s_delay_alu instid0(VALU_DEP_2) | instskip(SKIP_1) | instid1(VALU_DEP_3)
	v_div_fixup_f64 v[14:15], v[14:15], v[30:31], v[18:19]
	v_frexp_exp_i32_f64_e32 v30, v[8:9]
	v_mul_f64 v[18:19], v[16:17], v[16:17]
	s_delay_alu instid0(VALU_DEP_3) | instskip(NEXT) | instid1(VALU_DEP_2)
	v_mul_f64 v[20:21], v[14:15], v[14:15]
	v_fma_f64 v[24:25], v[18:19], s[12:13], s[8:9]
	s_mov_b32 s8, 0xd7f4df2e
	s_mov_b32 s12, 0x69efb384
	s_delay_alu instid0(VALU_DEP_2) | instskip(SKIP_3) | instid1(VALU_DEP_3)
	v_fma_f64 v[26:27], v[20:21], s[16:17], s[14:15]
	s_mov_b32 s9, 0x3fc7474d
	s_mov_b32 s13, 0x3f4b2bb0
	v_mul_f64 v[28:29], v[16:17], v[18:19]
	v_fma_f64 v[24:25], v[18:19], v[24:25], s[8:9]
	s_mov_b32 s8, 0x16291751
	s_mov_b32 s9, 0x3fcc71c0
	s_delay_alu instid0(VALU_DEP_3) | instskip(SKIP_2) | instid1(VALU_DEP_2)
	v_fma_f64 v[26:27], v[20:21], v[26:27], s[12:13]
	s_mov_b32 s12, 0xaf56de9b
	s_mov_b32 s13, 0xbf67952d
	v_fma_f64 v[24:25], v[18:19], v[24:25], s[8:9]
	s_mov_b32 s8, 0x9b27acf1
	s_mov_b32 s9, 0x3fd24924
	s_delay_alu instid0(VALU_DEP_2) | instskip(SKIP_2) | instid1(VALU_DEP_2)
	v_fma_f64 v[26:27], v[20:21], v[26:27], s[12:13]
	s_mov_b32 s12, 0xa595c56f
	s_mov_b32 s13, 0x3f7d6d43
	v_fma_f64 v[24:25], v[18:19], v[24:25], s[8:9]
	s_mov_b32 s8, 0x998ef7b6
	s_mov_b32 s9, 0x3fd99999
	s_delay_alu instid0(VALU_DEP_2) | instskip(SKIP_2) | instid1(VALU_DEP_2)
	v_fma_f64 v[26:27], v[20:21], v[26:27], s[12:13]
	s_mov_b32 s12, 0xa57d9582
	s_mov_b32 s13, 0xbf8c6ea4
	v_fma_f64 v[24:25], v[18:19], v[24:25], s[8:9]
	s_mov_b32 s8, 0x5f08b19f
	s_mov_b32 s9, 0x3f967e29
	s_delay_alu instid0(VALU_DEP_2) | instskip(NEXT) | instid1(VALU_DEP_2)
	v_fma_f64 v[26:27], v[20:21], v[26:27], s[12:13]
	v_fma_f64 v[18:19], v[18:19], v[24:25], s[4:5]
	s_mov_b32 s4, 0xfc27006a
	s_mov_b32 s5, 0xbf9e9ae6
	s_delay_alu instid0(VALU_DEP_2) | instskip(SKIP_4) | instid1(VALU_DEP_4)
	v_fma_f64 v[24:25], v[20:21], v[26:27], s[8:9]
	v_ldexp_f64 v[26:27], v[16:17], 1
	v_add_f64 v[16:17], v[16:17], -v[22:23]
	s_mov_b32 s8, 0xe82d3ff0
	s_mov_b32 s9, 0xbfa59976
	v_mul_f64 v[18:19], v[28:29], v[18:19]
	v_subrev_co_ci_u32_e64 v28, vcc_lo, 0, v30, s2
	v_fma_f64 v[24:25], v[20:21], v[24:25], s[4:5]
	s_mov_b32 s4, 0x5711927a
	s_mov_b32 s5, 0x3fa2c15b
	s_delay_alu instid0(VALU_DEP_2)
	v_cvt_f64_i32_e32 v[28:29], v28
	v_add_f64 v[10:11], v[10:11], -v[16:17]
	v_cmp_eq_f64_e32 vcc_lo, 0x7ff00000, v[12:13]
	v_cmp_class_f64_e64 s2, v[0:1], 0x204
	v_mov_b32_e32 v0, 0x4002d97c
	v_add_f64 v[22:23], v[26:27], v[18:19]
	v_fma_f64 v[24:25], v[20:21], v[24:25], s[4:5]
	s_mov_b32 s4, 0xfefa39ef
	s_mov_b32 s5, 0x3fe62e42
	s_delay_alu instid0(SALU_CYCLE_1)
	v_mul_f64 v[30:31], v[28:29], s[4:5]
	v_ldexp_f64 v[10:11], v[10:11], 1
	s_and_b32 vcc_lo, s1, vcc_lo
	v_cmp_class_f64_e64 s1, v[2:3], 0x204
	v_add_f64 v[16:17], v[22:23], -v[26:27]
	v_fma_f64 v[24:25], v[20:21], v[24:25], s[8:9]
	s_mov_b32 s8, 0x6ef28734
	s_mov_b32 s9, 0x3fa82d5d
	v_fma_f64 v[26:27], v[28:29], s[4:5], -v[30:31]
	s_mov_b32 s4, 0x3b39803f
	s_mov_b32 s5, 0x3c7abc9e
	s_delay_alu instid0(VALU_DEP_3) | instskip(NEXT) | instid1(VALU_DEP_3)
	v_add_f64 v[16:17], v[18:19], -v[16:17]
	v_fma_f64 v[18:19], v[20:21], v[24:25], s[8:9]
	s_mov_b32 s8, 0x6a214619
	s_mov_b32 s9, 0xbfaae5ce
	s_delay_alu instid0(VALU_DEP_3) | instskip(SKIP_2) | instid1(VALU_DEP_3)
	v_fma_f64 v[24:25], v[28:29], s[4:5], v[26:27]
	s_mov_b32 s4, 0x8427b883
	s_mov_b32 s5, 0x3fae1bb4
	v_add_f64 v[10:11], v[10:11], v[16:17]
	s_delay_alu instid0(VALU_DEP_3) | instskip(NEXT) | instid1(VALU_DEP_3)
	v_fma_f64 v[16:17], v[20:21], v[18:19], s[8:9]
	v_add_f64 v[18:19], v[30:31], v[24:25]
	s_delay_alu instid0(VALU_DEP_3) | instskip(NEXT) | instid1(VALU_DEP_3)
	v_add_f64 v[26:27], v[22:23], v[10:11]
	v_fma_f64 v[16:17], v[20:21], v[16:17], s[4:5]
	s_mov_b32 s4, 0x8b207f05
	s_mov_b32 s5, 0xbfb110e4
	s_delay_alu instid0(VALU_DEP_3) | instskip(NEXT) | instid1(VALU_DEP_3)
	v_add_f64 v[30:31], v[18:19], -v[30:31]
	v_add_f64 v[28:29], v[18:19], v[26:27]
	v_add_f64 v[22:23], v[26:27], -v[22:23]
	s_delay_alu instid0(VALU_DEP_4) | instskip(SKIP_2) | instid1(VALU_DEP_4)
	v_fma_f64 v[16:17], v[20:21], v[16:17], s[4:5]
	s_mov_b32 s4, 0x57b87036
	s_mov_b32 s5, 0x3fb3b136
	v_add_f64 v[24:25], v[24:25], -v[30:31]
	s_delay_alu instid0(VALU_DEP_4) | instskip(NEXT) | instid1(VALU_DEP_4)
	v_add_f64 v[32:33], v[28:29], -v[18:19]
	v_add_f64 v[10:11], v[10:11], -v[22:23]
	s_delay_alu instid0(VALU_DEP_4) | instskip(SKIP_2) | instid1(VALU_DEP_3)
	v_fma_f64 v[16:17], v[20:21], v[16:17], s[4:5]
	s_mov_b32 s4, 0x19378e4f
	s_mov_b32 s5, 0xbfb745d1
	v_add_f64 v[34:35], v[28:29], -v[32:33]
	v_add_f64 v[22:23], v[26:27], -v[32:33]
	s_delay_alu instid0(VALU_DEP_4) | instskip(NEXT) | instid1(VALU_DEP_4)
	v_add_f64 v[26:27], v[24:25], v[10:11]
	v_fma_f64 v[16:17], v[20:21], v[16:17], s[4:5]
	s_mov_b32 s4, 0x17e1913c
	s_mov_b32 s5, 0x3fbc71c7
	s_delay_alu instid0(VALU_DEP_4) | instskip(NEXT) | instid1(VALU_DEP_2)
	v_add_f64 v[18:19], v[18:19], -v[34:35]
	v_fma_f64 v[16:17], v[20:21], v[16:17], s[4:5]
	s_mov_b32 s4, 0x92376b7d
	s_mov_b32 s5, 0xbfc24924
	s_delay_alu instid0(VALU_DEP_2) | instskip(SKIP_1) | instid1(VALU_DEP_3)
	v_add_f64 v[18:19], v[22:23], v[18:19]
	v_add_f64 v[22:23], v[26:27], -v[24:25]
	v_fma_f64 v[16:17], v[20:21], v[16:17], s[4:5]
	s_mov_b32 s4, 0x999952cc
	s_mov_b32 s5, 0x3fc99999
	s_delay_alu instid0(VALU_DEP_3) | instskip(NEXT) | instid1(VALU_DEP_3)
	v_add_f64 v[18:19], v[26:27], v[18:19]
	v_add_f64 v[26:27], v[26:27], -v[22:23]
	v_add_f64 v[10:11], v[10:11], -v[22:23]
	s_delay_alu instid0(VALU_DEP_4) | instskip(SKIP_2) | instid1(VALU_DEP_4)
	v_fma_f64 v[16:17], v[20:21], v[16:17], s[4:5]
	s_mov_b32 s4, 0x55555523
	s_mov_b32 s5, 0xbfd55555
	v_add_f64 v[30:31], v[28:29], v[18:19]
	s_delay_alu instid0(VALU_DEP_4) | instskip(NEXT) | instid1(VALU_DEP_3)
	v_add_f64 v[22:23], v[24:25], -v[26:27]
	v_fma_f64 v[16:17], v[20:21], v[16:17], s[4:5]
	s_mov_b32 s4, 0x54442d18
	s_mov_b32 s5, 0x3ff921fb
	s_delay_alu instid0(VALU_DEP_3) | instskip(NEXT) | instid1(VALU_DEP_3)
	v_add_f64 v[24:25], v[30:31], -v[28:29]
	v_add_f64 v[10:11], v[10:11], v[22:23]
	s_delay_alu instid0(VALU_DEP_3) | instskip(NEXT) | instid1(VALU_DEP_3)
	v_mul_f64 v[16:17], v[20:21], v[16:17]
	v_add_f64 v[18:19], v[18:19], -v[24:25]
	s_delay_alu instid0(VALU_DEP_2) | instskip(NEXT) | instid1(VALU_DEP_2)
	v_fma_f64 v[14:15], v[14:15], v[16:17], v[14:15]
	v_add_f64 v[10:11], v[10:11], v[18:19]
	s_delay_alu instid0(VALU_DEP_2) | instskip(SKIP_1) | instid1(VALU_DEP_2)
	v_add_f64 v[16:17], -v[14:15], s[4:5]
	s_mov_b32 s5, 0x400921fb
	v_add_f64 v[10:11], v[30:31], v[10:11]
	s_delay_alu instid0(VALU_DEP_2) | instskip(NEXT) | instid1(VALU_DEP_3)
	v_cndmask_b32_e64 v13, v15, v17, s0
	v_cndmask_b32_e64 v12, v14, v16, s0
	v_cmp_eq_f64_e64 s0, 0, v[2:3]
	v_mov_b32_e32 v16, 0x7f3321d2
	v_ashrrev_i32_e32 v17, 31, v1
	s_delay_alu instid0(VALU_DEP_4) | instskip(SKIP_2) | instid1(VALU_DEP_4)
	v_add_f64 v[14:15], -v[12:13], s[4:5]
	v_dual_cndmask_b32 v11, v11, v37 :: v_dual_cndmask_b32 v10, v10, v36
	v_cmp_gt_i32_e32 vcc_lo, 0, v1
	v_and_b32_e32 v1, 0x400921fb, v17
	v_and_b32_e32 v18, 0x54442d18, v17
	s_delay_alu instid0(VALU_DEP_4) | instskip(SKIP_3) | instid1(VALU_DEP_3)
	v_add_f64 v[10:11], v[10:11], 1.0
	v_cndmask_b32_e32 v0, 0x3fe921fb, v0, vcc_lo
	v_cndmask_b32_e32 v16, 0x54442d18, v16, vcc_lo
	v_cndmask_b32_e32 v13, v13, v15, vcc_lo
	v_bfi_b32 v0, 0x7fffffff, v0, v3
	s_delay_alu instid0(VALU_DEP_2) | instskip(SKIP_4) | instid1(VALU_DEP_2)
	v_cndmask_b32_e64 v1, v13, v1, s0
	v_cndmask_b32_e32 v12, v12, v14, vcc_lo
	v_cmp_ngt_f64_e32 vcc_lo, 0, v[8:9]
	v_cndmask_b32_e64 v11, v11, 0x7ff00000, s6
	v_cndmask_b32_e64 v10, v10, 0, s6
	v_cndmask_b32_e32 v11, 0x7ff80000, v11, vcc_lo
	s_and_b32 vcc_lo, s2, s1
	v_cndmask_b32_e32 v15, v1, v0, vcc_lo
	v_cndmask_b32_e64 v14, v12, v18, s0
	v_cmp_nge_f64_e64 s0, 0, v[8:9]
	s_delay_alu instid0(VALU_DEP_2) | instskip(NEXT) | instid1(VALU_DEP_2)
	v_cndmask_b32_e32 v14, v14, v16, vcc_lo
	v_cndmask_b32_e64 v12, 0, v10, s0
	v_cmp_neq_f64_e64 s0, 0, v[8:9]
	s_delay_alu instid0(VALU_DEP_1)
	v_cndmask_b32_e64 v13, 0xfff00000, v11, s0
.LBB79_27:
	s_or_b32 exec_lo, exec_lo, s3
                                        ; implicit-def: $vgpr0_vgpr1
.LBB79_28:
	s_and_not1_saveexec_b32 s0, s11
	s_cbranch_execz .LBB79_34
; %bb.29:
	v_cmp_ngt_f64_e64 s1, 0x20000000, |v[0:1]|
	v_cmp_ngt_f64_e64 s2, 0x20000000, |v[2:3]|
                                        ; implicit-def: $vgpr8_vgpr9
	s_delay_alu instid0(VALU_DEP_1) | instskip(NEXT) | instid1(SALU_CYCLE_1)
	s_or_b32 s1, s1, s2
	s_and_saveexec_b32 s2, s1
	s_delay_alu instid0(SALU_CYCLE_1)
	s_xor_b32 s1, exec_lo, s2
; %bb.30:
	v_mul_f64 v[8:9], v[2:3], v[2:3]
	s_delay_alu instid0(VALU_DEP_1)
	v_fma_f64 v[8:9], v[0:1], v[0:1], v[8:9]
                                        ; implicit-def: $vgpr0_vgpr1
; %bb.31:
	s_and_not1_saveexec_b32 s1, s1
; %bb.32:
	v_mul_f64 v[8:9], v[2:3], 4.0
	v_mul_f64 v[0:1], v[0:1], 4.0
	s_delay_alu instid0(VALU_DEP_2) | instskip(NEXT) | instid1(VALU_DEP_1)
	v_mul_f64 v[8:9], v[8:9], v[8:9]
	v_fma_f64 v[0:1], v[0:1], v[0:1], v[8:9]
	s_delay_alu instid0(VALU_DEP_1)
	v_ldexp_f64 v[8:9], v[0:1], -4
; %bb.33:
	s_or_b32 exec_lo, exec_lo, s1
	s_delay_alu instid0(VALU_DEP_1)
	v_frexp_mant_f64_e32 v[0:1], v[8:9]
	s_mov_b32 s3, 0x3fe55555
	s_mov_b32 s2, 0x55555555
	v_frexp_exp_i32_f64_e32 v2, v[8:9]
	s_mov_b32 s4, 0x6b47b09a
	s_mov_b32 s6, 0xbf559e2b
	;; [unrolled: 1-line block ×4, first 2 shown]
	s_delay_alu instid0(VALU_DEP_2) | instskip(SKIP_2) | instid1(VALU_DEP_3)
	v_cmp_gt_f64_e32 vcc_lo, s[2:3], v[0:1]
	s_mov_b32 s2, 0x55555780
	v_cndmask_b32_e64 v11, 0x3ff00000, 2.0, vcc_lo
	v_subrev_co_ci_u32_e32 v2, vcc_lo, 0, v2, vcc_lo
	v_cmp_class_f64_e64 vcc_lo, v[8:9], 0x204
	v_mov_b32_e32 v10, 0
	s_delay_alu instid0(VALU_DEP_1) | instskip(NEXT) | instid1(VALU_DEP_1)
	v_mul_f64 v[0:1], v[0:1], v[10:11]
	v_add_f64 v[10:11], v[0:1], 1.0
	v_add_f64 v[16:17], v[0:1], -1.0
	s_delay_alu instid0(VALU_DEP_2) | instskip(SKIP_1) | instid1(VALU_DEP_1)
	v_rcp_f64_e32 v[12:13], v[10:11]
	v_add_f64 v[18:19], v[10:11], -1.0
	v_add_f64 v[0:1], v[0:1], -v[18:19]
	s_waitcnt_depctr 0xfff
	v_fma_f64 v[14:15], -v[10:11], v[12:13], 1.0
	s_delay_alu instid0(VALU_DEP_1) | instskip(NEXT) | instid1(VALU_DEP_1)
	v_fma_f64 v[12:13], v[14:15], v[12:13], v[12:13]
	v_fma_f64 v[14:15], -v[10:11], v[12:13], 1.0
	s_delay_alu instid0(VALU_DEP_1) | instskip(NEXT) | instid1(VALU_DEP_1)
	v_fma_f64 v[12:13], v[14:15], v[12:13], v[12:13]
	v_mul_f64 v[14:15], v[16:17], v[12:13]
	s_delay_alu instid0(VALU_DEP_1) | instskip(NEXT) | instid1(VALU_DEP_1)
	v_mul_f64 v[20:21], v[10:11], v[14:15]
	v_fma_f64 v[10:11], v[14:15], v[10:11], -v[20:21]
	s_delay_alu instid0(VALU_DEP_1) | instskip(NEXT) | instid1(VALU_DEP_1)
	v_fma_f64 v[0:1], v[14:15], v[0:1], v[10:11]
	v_add_f64 v[10:11], v[20:21], v[0:1]
	s_delay_alu instid0(VALU_DEP_1) | instskip(SKIP_1) | instid1(VALU_DEP_2)
	v_add_f64 v[18:19], v[16:17], -v[10:11]
	v_add_f64 v[20:21], v[10:11], -v[20:21]
	;; [unrolled: 1-line block ×3, first 2 shown]
	s_delay_alu instid0(VALU_DEP_2) | instskip(NEXT) | instid1(VALU_DEP_2)
	v_add_f64 v[0:1], v[20:21], -v[0:1]
	v_add_f64 v[10:11], v[16:17], -v[10:11]
	s_delay_alu instid0(VALU_DEP_1) | instskip(NEXT) | instid1(VALU_DEP_1)
	v_add_f64 v[0:1], v[0:1], v[10:11]
	v_add_f64 v[0:1], v[18:19], v[0:1]
	s_delay_alu instid0(VALU_DEP_1) | instskip(NEXT) | instid1(VALU_DEP_1)
	v_mul_f64 v[0:1], v[12:13], v[0:1]
	v_add_f64 v[10:11], v[14:15], v[0:1]
	s_delay_alu instid0(VALU_DEP_1) | instskip(NEXT) | instid1(VALU_DEP_1)
	v_mul_f64 v[12:13], v[10:11], v[10:11]
	v_fma_f64 v[16:17], v[12:13], s[6:7], s[4:5]
	s_mov_b32 s4, 0xd7f4df2e
	s_mov_b32 s5, 0x3fc7474d
	v_mul_f64 v[18:19], v[10:11], v[12:13]
	s_delay_alu instid0(VALU_DEP_2)
	v_fma_f64 v[16:17], v[12:13], v[16:17], s[4:5]
	s_mov_b32 s4, 0x16291751
	s_mov_b32 s5, 0x3fcc71c0
	s_delay_alu instid0(VALU_DEP_1) | instid1(SALU_CYCLE_1)
	v_fma_f64 v[16:17], v[12:13], v[16:17], s[4:5]
	s_mov_b32 s4, 0x9b27acf1
	s_mov_b32 s5, 0x3fd24924
	s_delay_alu instid0(VALU_DEP_1) | instid1(SALU_CYCLE_1)
	;; [unrolled: 4-line block ×3, first 2 shown]
	v_fma_f64 v[16:17], v[12:13], v[16:17], s[4:5]
	s_delay_alu instid0(VALU_DEP_1) | instskip(SKIP_4) | instid1(VALU_DEP_3)
	v_fma_f64 v[12:13], v[12:13], v[16:17], s[2:3]
	v_ldexp_f64 v[16:17], v[10:11], 1
	v_add_f64 v[10:11], v[10:11], -v[14:15]
	s_mov_b32 s2, 0xfefa39ef
	s_mov_b32 s3, 0x3fe62e42
	v_mul_f64 v[12:13], v[18:19], v[12:13]
	v_cvt_f64_i32_e32 v[18:19], v2
	s_delay_alu instid0(VALU_DEP_3) | instskip(NEXT) | instid1(VALU_DEP_3)
	v_add_f64 v[0:1], v[0:1], -v[10:11]
	v_add_f64 v[14:15], v[16:17], v[12:13]
	s_delay_alu instid0(VALU_DEP_3) | instskip(NEXT) | instid1(VALU_DEP_3)
	v_mul_f64 v[20:21], v[18:19], s[2:3]
	v_ldexp_f64 v[0:1], v[0:1], 1
	s_delay_alu instid0(VALU_DEP_3) | instskip(NEXT) | instid1(VALU_DEP_3)
	v_add_f64 v[10:11], v[14:15], -v[16:17]
	v_fma_f64 v[16:17], v[18:19], s[2:3], -v[20:21]
	s_mov_b32 s2, 0x3b39803f
	s_mov_b32 s3, 0x3c7abc9e
	s_delay_alu instid0(VALU_DEP_2) | instskip(NEXT) | instid1(VALU_DEP_2)
	v_add_f64 v[10:11], v[12:13], -v[10:11]
	v_fma_f64 v[12:13], v[18:19], s[2:3], v[16:17]
	s_delay_alu instid0(VALU_DEP_2) | instskip(NEXT) | instid1(VALU_DEP_2)
	v_add_f64 v[0:1], v[0:1], v[10:11]
	v_add_f64 v[10:11], v[20:21], v[12:13]
	s_delay_alu instid0(VALU_DEP_2) | instskip(NEXT) | instid1(VALU_DEP_2)
	v_add_f64 v[16:17], v[14:15], v[0:1]
	v_add_f64 v[20:21], v[10:11], -v[20:21]
	s_delay_alu instid0(VALU_DEP_2) | instskip(SKIP_1) | instid1(VALU_DEP_3)
	v_add_f64 v[18:19], v[10:11], v[16:17]
	v_add_f64 v[14:15], v[16:17], -v[14:15]
	v_add_f64 v[12:13], v[12:13], -v[20:21]
	s_delay_alu instid0(VALU_DEP_3) | instskip(NEXT) | instid1(VALU_DEP_3)
	v_add_f64 v[22:23], v[18:19], -v[10:11]
	v_add_f64 v[0:1], v[0:1], -v[14:15]
	s_delay_alu instid0(VALU_DEP_2) | instskip(SKIP_1) | instid1(VALU_DEP_3)
	v_add_f64 v[24:25], v[18:19], -v[22:23]
	v_add_f64 v[14:15], v[16:17], -v[22:23]
	v_add_f64 v[16:17], v[12:13], v[0:1]
	s_delay_alu instid0(VALU_DEP_3) | instskip(NEXT) | instid1(VALU_DEP_1)
	v_add_f64 v[10:11], v[10:11], -v[24:25]
	v_add_f64 v[10:11], v[14:15], v[10:11]
	s_delay_alu instid0(VALU_DEP_3) | instskip(NEXT) | instid1(VALU_DEP_2)
	v_add_f64 v[14:15], v[16:17], -v[12:13]
	v_add_f64 v[10:11], v[16:17], v[10:11]
	s_delay_alu instid0(VALU_DEP_2) | instskip(SKIP_1) | instid1(VALU_DEP_3)
	v_add_f64 v[16:17], v[16:17], -v[14:15]
	v_add_f64 v[0:1], v[0:1], -v[14:15]
	v_add_f64 v[20:21], v[18:19], v[10:11]
	s_delay_alu instid0(VALU_DEP_3) | instskip(NEXT) | instid1(VALU_DEP_2)
	v_add_f64 v[12:13], v[12:13], -v[16:17]
	v_add_f64 v[14:15], v[20:21], -v[18:19]
	s_delay_alu instid0(VALU_DEP_2) | instskip(NEXT) | instid1(VALU_DEP_2)
	v_add_f64 v[0:1], v[0:1], v[12:13]
	v_add_f64 v[10:11], v[10:11], -v[14:15]
	v_mov_b32_e32 v14, 0
	v_mov_b32_e32 v15, 0x7ff80000
	s_delay_alu instid0(VALU_DEP_3) | instskip(NEXT) | instid1(VALU_DEP_1)
	v_add_f64 v[0:1], v[0:1], v[10:11]
	v_add_f64 v[0:1], v[20:21], v[0:1]
	s_delay_alu instid0(VALU_DEP_1) | instskip(SKIP_1) | instid1(VALU_DEP_2)
	v_dual_cndmask_b32 v1, v1, v9 :: v_dual_cndmask_b32 v0, v0, v8
	v_cmp_ngt_f64_e32 vcc_lo, 0, v[8:9]
	v_cndmask_b32_e32 v1, 0x7ff80000, v1, vcc_lo
	v_cmp_nge_f64_e32 vcc_lo, 0, v[8:9]
	s_delay_alu instid0(VALU_DEP_4) | instskip(SKIP_1) | instid1(VALU_DEP_4)
	v_cndmask_b32_e32 v12, 0, v0, vcc_lo
	v_cmp_neq_f64_e32 vcc_lo, 0, v[8:9]
	v_cndmask_b32_e32 v13, 0xfff00000, v1, vcc_lo
.LBB79_34:
	s_or_b32 exec_lo, exec_lo, s0
	s_delay_alu instid0(VALU_DEP_1) | instskip(SKIP_1) | instid1(VALU_DEP_1)
	v_mul_f64 v[0:1], v[12:13], v[6:7]
	v_bfi_b32 v15, 0x7fffffff, v15, v3
	v_mul_f64 v[6:7], v[14:15], v[6:7]
	s_delay_alu instid0(VALU_DEP_3) | instskip(NEXT) | instid1(VALU_DEP_2)
	v_fma_f64 v[2:3], v[14:15], v[4:5], v[0:1]
	v_fma_f64 v[4:5], v[12:13], v[4:5], -v[6:7]
	s_delay_alu instid0(VALU_DEP_2) | instskip(NEXT) | instid1(VALU_DEP_1)
	v_and_b32_e32 v18, 0x7fffffff, v3
	v_or_b32_e32 v0, v18, v2
	s_delay_alu instid0(VALU_DEP_1) | instskip(SKIP_1) | instid1(SALU_CYCLE_1)
	v_cmp_ne_u32_e32 vcc_lo, 0, v0
                                        ; implicit-def: $vgpr0_vgpr1
	s_and_saveexec_b32 s0, vcc_lo
	s_xor_b32 s4, exec_lo, s0
	s_cbranch_execz .LBB79_40
; %bb.35:
	s_delay_alu instid0(VALU_DEP_4) | instskip(NEXT) | instid1(VALU_DEP_1)
	v_and_b32_e32 v6, 0x7fffffff, v5
	v_or_b32_e32 v0, v6, v4
	s_delay_alu instid0(VALU_DEP_1) | instskip(SKIP_1) | instid1(SALU_CYCLE_1)
	v_cmp_ne_u32_e32 vcc_lo, 0, v0
                                        ; implicit-def: $vgpr0_vgpr1
	s_and_saveexec_b32 s0, vcc_lo
	s_xor_b32 s5, exec_lo, s0
	s_cbranch_execz .LBB79_67
; %bb.36:
                                        ; implicit-def: $vgpr0_vgpr1
	s_mov_b32 s0, exec_lo
	v_cmpx_gt_u32_e32 0x7ff00000, v18
	s_xor_b32 s6, exec_lo, s0
	s_cbranch_execz .LBB79_60
; %bb.37:
	v_add_nc_u32_e32 v0, 0xbf79d1be, v5
	s_delay_alu instid0(VALU_DEP_1) | instskip(SKIP_1) | instid1(SALU_CYCLE_1)
	v_cmp_lt_u32_e32 vcc_lo, 0x108aa2, v0
                                        ; implicit-def: $vgpr0_vgpr1
	s_and_saveexec_b32 s0, vcc_lo
	s_xor_b32 s7, exec_lo, s0
	s_cbranch_execz .LBB79_49
; %bb.38:
	v_cmp_ngt_f64_e64 s1, 0x41d00000, |v[2:3]|
                                        ; implicit-def: $vgpr12
                                        ; implicit-def: $vgpr0_vgpr1
                                        ; implicit-def: $vgpr6_vgpr7
	s_delay_alu instid0(VALU_DEP_1) | instskip(NEXT) | instid1(SALU_CYCLE_1)
	s_and_saveexec_b32 s0, s1
	s_xor_b32 s2, exec_lo, s0
	s_cbranch_execz .LBB79_42
; %bb.39:
	v_ldexp_f64 v[0:1], |v[2:3]|, 0xffffff80
	v_cmp_le_f64_e64 vcc_lo, 0x7b000000, |v[2:3]|
	v_trig_preop_f64 v[6:7], |v[2:3]|, 0
	v_trig_preop_f64 v[8:9], |v[2:3]|, 1
	;; [unrolled: 1-line block ×3, first 2 shown]
	v_mov_b32_e32 v27, 0
	s_mov_b32 s8, 0x54442d18
	s_mov_b32 s9, 0x3ff921fb
	;; [unrolled: 1-line block ×4, first 2 shown]
	v_cndmask_b32_e32 v1, v18, v1, vcc_lo
	v_cndmask_b32_e32 v0, v2, v0, vcc_lo
	s_delay_alu instid0(VALU_DEP_1) | instskip(SKIP_1) | instid1(VALU_DEP_2)
	v_mul_f64 v[10:11], v[6:7], v[0:1]
	v_mul_f64 v[12:13], v[8:9], v[0:1]
	v_fma_f64 v[6:7], v[6:7], v[0:1], -v[10:11]
	s_delay_alu instid0(VALU_DEP_2) | instskip(NEXT) | instid1(VALU_DEP_2)
	v_fma_f64 v[8:9], v[8:9], v[0:1], -v[12:13]
	v_add_f64 v[14:15], v[12:13], v[6:7]
	s_delay_alu instid0(VALU_DEP_1) | instskip(SKIP_1) | instid1(VALU_DEP_2)
	v_add_f64 v[16:17], v[14:15], -v[12:13]
	v_add_f64 v[23:24], v[10:11], v[14:15]
	v_add_f64 v[21:22], v[14:15], -v[16:17]
	v_add_f64 v[6:7], v[6:7], -v[16:17]
	s_delay_alu instid0(VALU_DEP_3) | instskip(SKIP_1) | instid1(VALU_DEP_4)
	v_ldexp_f64 v[16:17], v[23:24], -2
	v_add_f64 v[10:11], v[23:24], -v[10:11]
	v_add_f64 v[12:13], v[12:13], -v[21:22]
	s_delay_alu instid0(VALU_DEP_3) | instskip(NEXT) | instid1(VALU_DEP_3)
	v_cmp_neq_f64_e64 vcc_lo, 0x7ff00000, |v[16:17]|
	v_add_f64 v[10:11], v[14:15], -v[10:11]
	s_delay_alu instid0(VALU_DEP_3) | instskip(SKIP_1) | instid1(VALU_DEP_1)
	v_add_f64 v[6:7], v[6:7], v[12:13]
	v_fract_f64_e32 v[12:13], v[16:17]
	v_dual_cndmask_b32 v13, 0, v13 :: v_dual_cndmask_b32 v12, 0, v12
	v_mul_f64 v[25:26], v[19:20], v[0:1]
	s_delay_alu instid0(VALU_DEP_2) | instskip(NEXT) | instid1(VALU_DEP_2)
	v_ldexp_f64 v[12:13], v[12:13], 2
	v_add_f64 v[21:22], v[25:26], v[8:9]
	v_fma_f64 v[0:1], v[19:20], v[0:1], -v[25:26]
	s_delay_alu instid0(VALU_DEP_2) | instskip(NEXT) | instid1(VALU_DEP_1)
	v_add_f64 v[14:15], v[21:22], v[6:7]
	v_add_f64 v[16:17], v[10:11], v[14:15]
	s_delay_alu instid0(VALU_DEP_1) | instskip(SKIP_1) | instid1(VALU_DEP_2)
	v_add_f64 v[23:24], v[16:17], v[12:13]
	v_add_f64 v[10:11], v[16:17], -v[10:11]
	v_cmp_gt_f64_e32 vcc_lo, 0, v[23:24]
	v_add_f64 v[23:24], v[21:22], -v[25:26]
	s_delay_alu instid0(VALU_DEP_3) | instskip(SKIP_1) | instid1(VALU_DEP_3)
	v_add_f64 v[10:11], v[14:15], -v[10:11]
	v_cndmask_b32_e64 v28, 0, 0x40100000, vcc_lo
	v_add_f64 v[32:33], v[21:22], -v[23:24]
	v_add_f64 v[8:9], v[8:9], -v[23:24]
	s_delay_alu instid0(VALU_DEP_3) | instskip(SKIP_1) | instid1(VALU_DEP_4)
	v_add_f64 v[12:13], v[12:13], v[27:28]
	v_add_f64 v[28:29], v[14:15], -v[21:22]
	v_add_f64 v[23:24], v[25:26], -v[32:33]
	s_delay_alu instid0(VALU_DEP_3) | instskip(NEXT) | instid1(VALU_DEP_3)
	v_add_f64 v[30:31], v[16:17], v[12:13]
	v_add_f64 v[34:35], v[14:15], -v[28:29]
	v_add_f64 v[6:7], v[6:7], -v[28:29]
	s_delay_alu instid0(VALU_DEP_4) | instskip(NEXT) | instid1(VALU_DEP_4)
	v_add_f64 v[8:9], v[8:9], v[23:24]
	v_cvt_i32_f64_e32 v30, v[30:31]
	s_delay_alu instid0(VALU_DEP_4) | instskip(NEXT) | instid1(VALU_DEP_2)
	v_add_f64 v[21:22], v[21:22], -v[34:35]
	v_cvt_f64_i32_e32 v[28:29], v30
	s_delay_alu instid0(VALU_DEP_2) | instskip(NEXT) | instid1(VALU_DEP_2)
	v_add_f64 v[6:7], v[6:7], v[21:22]
	v_add_f64 v[12:13], v[12:13], -v[28:29]
	s_delay_alu instid0(VALU_DEP_2) | instskip(NEXT) | instid1(VALU_DEP_2)
	v_add_f64 v[6:7], v[8:9], v[6:7]
	v_add_f64 v[8:9], v[16:17], v[12:13]
	s_delay_alu instid0(VALU_DEP_2) | instskip(NEXT) | instid1(VALU_DEP_2)
	v_add_f64 v[0:1], v[0:1], v[6:7]
	v_add_f64 v[6:7], v[8:9], -v[12:13]
	v_cmp_le_f64_e32 vcc_lo, 0.5, v[8:9]
	s_delay_alu instid0(VALU_DEP_3) | instskip(NEXT) | instid1(VALU_DEP_3)
	v_add_f64 v[0:1], v[10:11], v[0:1]
	v_add_f64 v[6:7], v[16:17], -v[6:7]
	v_cndmask_b32_e64 v28, 0, 0x3ff00000, vcc_lo
	v_add_co_ci_u32_e64 v12, s0, 0, v30, vcc_lo
	s_delay_alu instid0(VALU_DEP_3) | instskip(NEXT) | instid1(VALU_DEP_3)
	v_add_f64 v[0:1], v[0:1], v[6:7]
	v_add_f64 v[6:7], v[8:9], -v[27:28]
	s_delay_alu instid0(VALU_DEP_1) | instskip(NEXT) | instid1(VALU_DEP_1)
	v_add_f64 v[8:9], v[6:7], v[0:1]
	v_mul_f64 v[10:11], v[8:9], s[8:9]
	v_add_f64 v[6:7], v[8:9], -v[6:7]
	s_delay_alu instid0(VALU_DEP_2) | instskip(NEXT) | instid1(VALU_DEP_2)
	v_fma_f64 v[13:14], v[8:9], s[8:9], -v[10:11]
	v_add_f64 v[0:1], v[0:1], -v[6:7]
	s_delay_alu instid0(VALU_DEP_2) | instskip(NEXT) | instid1(VALU_DEP_1)
	v_fma_f64 v[6:7], v[8:9], s[10:11], v[13:14]
	v_fma_f64 v[6:7], v[0:1], s[8:9], v[6:7]
	s_delay_alu instid0(VALU_DEP_1) | instskip(NEXT) | instid1(VALU_DEP_1)
	v_add_f64 v[0:1], v[10:11], v[6:7]
	v_add_f64 v[8:9], v[0:1], -v[10:11]
	s_delay_alu instid0(VALU_DEP_1)
	v_add_f64 v[6:7], v[6:7], -v[8:9]
	s_and_not1_saveexec_b32 s0, s2
	s_cbranch_execz .LBB79_44
	s_branch .LBB79_43
.LBB79_40:
	s_and_not1_saveexec_b32 s1, s4
	s_cbranch_execz .LBB79_78
.LBB79_41:
	s_mov_b32 s2, 0x652b82fe
	s_mov_b32 s3, 0x3ff71547
	;; [unrolled: 1-line block ×3, first 2 shown]
	s_delay_alu instid0(VALU_DEP_4)
	v_mul_f64 v[0:1], v[4:5], s[2:3]
	s_mov_b32 s2, 0xfefa39ef
	s_mov_b32 s3, 0xbfe62e42
	;; [unrolled: 1-line block ×3, first 2 shown]
	v_cmp_nlt_f64_e32 vcc_lo, 0x40900000, v[4:5]
	v_cmp_ngt_f64_e64 s0, 0xc090cc00, v[4:5]
	s_delay_alu instid0(VALU_DEP_3) | instskip(NEXT) | instid1(VALU_DEP_1)
	v_rndne_f64_e32 v[0:1], v[0:1]
	v_fma_f64 v[6:7], v[0:1], s[2:3], v[4:5]
	s_mov_b32 s2, 0x3b39803f
	s_mov_b32 s3, 0xbc7abc9e
	v_cvt_i32_f64_e32 v10, v[0:1]
	s_delay_alu instid0(VALU_DEP_2)
	v_fma_f64 v[6:7], v[0:1], s[2:3], v[6:7]
	s_mov_b32 s2, 0xfca7ab0c
	s_mov_b32 s3, 0x3e928af3
	s_delay_alu instid0(VALU_DEP_1) | instid1(SALU_CYCLE_1)
	v_fma_f64 v[8:9], v[6:7], s[4:5], s[2:3]
	s_mov_b32 s2, 0x623fde64
	s_mov_b32 s3, 0x3ec71dee
	s_delay_alu instid0(VALU_DEP_1) | instid1(SALU_CYCLE_1)
	;; [unrolled: 4-line block ×9, first 2 shown]
	v_fma_f64 v[8:9], v[6:7], v[8:9], s[2:3]
	s_delay_alu instid0(VALU_DEP_1) | instskip(NEXT) | instid1(VALU_DEP_1)
	v_fma_f64 v[8:9], v[6:7], v[8:9], 1.0
	v_fma_f64 v[0:1], v[6:7], v[8:9], 1.0
	s_delay_alu instid0(VALU_DEP_1) | instskip(NEXT) | instid1(VALU_DEP_1)
	v_ldexp_f64 v[0:1], v[0:1], v10
	v_cndmask_b32_e32 v1, 0x7ff00000, v1, vcc_lo
	s_and_b32 vcc_lo, s0, vcc_lo
	s_delay_alu instid0(VALU_DEP_2) | instskip(NEXT) | instid1(VALU_DEP_2)
	v_cndmask_b32_e32 v0, 0, v0, vcc_lo
	v_cndmask_b32_e64 v1, 0, v1, s0
	s_or_b32 exec_lo, exec_lo, s1
	s_setpc_b64 s[30:31]
.LBB79_42:
	s_and_not1_saveexec_b32 s0, s2
	s_cbranch_execz .LBB79_44
.LBB79_43:
	s_mov_b32 s2, 0x6dc9c883
	s_mov_b32 s3, 0x3fe45f30
	;; [unrolled: 1-line block ×3, first 2 shown]
	v_mul_f64 v[0:1], |v[2:3]|, s[2:3]
	s_mov_b32 s2, 0x54442d18
	s_mov_b32 s3, 0xbff921fb
	;; [unrolled: 1-line block ×3, first 2 shown]
	s_delay_alu instid0(VALU_DEP_1) | instskip(NEXT) | instid1(VALU_DEP_1)
	v_rndne_f64_e32 v[8:9], v[0:1]
	v_fma_f64 v[0:1], v[8:9], s[2:3], |v[2:3]|
	v_mul_f64 v[6:7], v[8:9], s[8:9]
	s_mov_b32 s2, 0x252049c0
	s_mov_b32 s3, 0xb97b839a
	s_delay_alu instid0(VALU_DEP_2) | instskip(NEXT) | instid1(VALU_DEP_2)
	v_fma_f64 v[12:13], v[8:9], s[8:9], v[0:1]
	v_add_f64 v[10:11], v[0:1], v[6:7]
	s_mov_b32 s9, 0x3c91a626
	s_delay_alu instid0(VALU_DEP_1) | instskip(NEXT) | instid1(VALU_DEP_3)
	v_add_f64 v[0:1], v[0:1], -v[10:11]
	v_add_f64 v[10:11], v[10:11], -v[12:13]
	s_delay_alu instid0(VALU_DEP_2) | instskip(SKIP_1) | instid1(VALU_DEP_2)
	v_add_f64 v[0:1], v[0:1], v[6:7]
	v_fma_f64 v[6:7], v[8:9], s[8:9], v[6:7]
	v_add_f64 v[0:1], v[10:11], v[0:1]
	s_delay_alu instid0(VALU_DEP_1) | instskip(NEXT) | instid1(VALU_DEP_1)
	v_add_f64 v[0:1], v[0:1], -v[6:7]
	v_fma_f64 v[6:7], v[8:9], s[2:3], v[0:1]
	s_delay_alu instid0(VALU_DEP_1) | instskip(NEXT) | instid1(VALU_DEP_1)
	v_add_f64 v[0:1], v[12:13], v[6:7]
	v_add_f64 v[10:11], v[0:1], -v[12:13]
	v_cvt_i32_f64_e32 v12, v[8:9]
	s_delay_alu instid0(VALU_DEP_2)
	v_add_f64 v[6:7], v[6:7], -v[10:11]
.LBB79_44:
	s_or_b32 exec_lo, exec_lo, s0
                                        ; implicit-def: $vgpr13
                                        ; implicit-def: $vgpr8_vgpr9
                                        ; implicit-def: $vgpr10_vgpr11
	s_and_saveexec_b32 s0, s1
	s_delay_alu instid0(SALU_CYCLE_1)
	s_xor_b32 s1, exec_lo, s0
	s_cbranch_execz .LBB79_46
; %bb.45:
	v_ldexp_f64 v[8:9], |v[2:3]|, 0xffffff80
	v_cmp_le_f64_e64 vcc_lo, 0x7b000000, |v[2:3]|
	v_trig_preop_f64 v[10:11], |v[2:3]|, 0
	v_trig_preop_f64 v[13:14], |v[2:3]|, 1
	;; [unrolled: 1-line block ×3, first 2 shown]
	v_mov_b32_e32 v31, 0
	s_mov_b32 s2, 0x54442d18
	s_mov_b32 s3, 0x3ff921fb
	;; [unrolled: 1-line block ×4, first 2 shown]
	v_cndmask_b32_e32 v9, v18, v9, vcc_lo
	v_cndmask_b32_e32 v8, v2, v8, vcc_lo
	s_delay_alu instid0(VALU_DEP_1) | instskip(SKIP_1) | instid1(VALU_DEP_2)
	v_mul_f64 v[15:16], v[10:11], v[8:9]
	v_mul_f64 v[17:18], v[13:14], v[8:9]
	v_fma_f64 v[10:11], v[10:11], v[8:9], -v[15:16]
	s_delay_alu instid0(VALU_DEP_2) | instskip(NEXT) | instid1(VALU_DEP_2)
	v_fma_f64 v[13:14], v[13:14], v[8:9], -v[17:18]
	v_add_f64 v[19:20], v[17:18], v[10:11]
	s_delay_alu instid0(VALU_DEP_1) | instskip(SKIP_1) | instid1(VALU_DEP_2)
	v_add_f64 v[21:22], v[19:20], -v[17:18]
	v_add_f64 v[27:28], v[15:16], v[19:20]
	v_add_f64 v[25:26], v[19:20], -v[21:22]
	v_add_f64 v[10:11], v[10:11], -v[21:22]
	s_delay_alu instid0(VALU_DEP_3) | instskip(SKIP_1) | instid1(VALU_DEP_4)
	v_ldexp_f64 v[21:22], v[27:28], -2
	v_add_f64 v[15:16], v[27:28], -v[15:16]
	v_add_f64 v[17:18], v[17:18], -v[25:26]
	s_delay_alu instid0(VALU_DEP_3) | instskip(NEXT) | instid1(VALU_DEP_3)
	v_cmp_neq_f64_e64 vcc_lo, 0x7ff00000, |v[21:22]|
	v_add_f64 v[15:16], v[19:20], -v[15:16]
	s_delay_alu instid0(VALU_DEP_3) | instskip(SKIP_1) | instid1(VALU_DEP_1)
	v_add_f64 v[10:11], v[10:11], v[17:18]
	v_fract_f64_e32 v[17:18], v[21:22]
	v_dual_cndmask_b32 v17, 0, v17 :: v_dual_cndmask_b32 v18, 0, v18
	v_mul_f64 v[29:30], v[23:24], v[8:9]
	s_delay_alu instid0(VALU_DEP_2) | instskip(NEXT) | instid1(VALU_DEP_2)
	v_ldexp_f64 v[17:18], v[17:18], 2
	v_add_f64 v[25:26], v[29:30], v[13:14]
	v_fma_f64 v[8:9], v[23:24], v[8:9], -v[29:30]
	s_delay_alu instid0(VALU_DEP_2) | instskip(NEXT) | instid1(VALU_DEP_1)
	v_add_f64 v[19:20], v[25:26], v[10:11]
	v_add_f64 v[21:22], v[15:16], v[19:20]
	s_delay_alu instid0(VALU_DEP_1) | instskip(SKIP_1) | instid1(VALU_DEP_2)
	v_add_f64 v[27:28], v[21:22], v[17:18]
	v_add_f64 v[15:16], v[21:22], -v[15:16]
	v_cmp_gt_f64_e32 vcc_lo, 0, v[27:28]
	v_add_f64 v[27:28], v[25:26], -v[29:30]
	v_cndmask_b32_e64 v32, 0, 0x40100000, vcc_lo
	s_delay_alu instid0(VALU_DEP_2) | instskip(SKIP_1) | instid1(VALU_DEP_3)
	v_add_f64 v[36:37], v[25:26], -v[27:28]
	v_add_f64 v[13:14], v[13:14], -v[27:28]
	v_add_f64 v[17:18], v[17:18], v[31:32]
	v_add_f64 v[32:33], v[19:20], -v[25:26]
	s_delay_alu instid0(VALU_DEP_4) | instskip(NEXT) | instid1(VALU_DEP_3)
	v_add_f64 v[27:28], v[29:30], -v[36:37]
	v_add_f64 v[34:35], v[21:22], v[17:18]
	s_delay_alu instid0(VALU_DEP_3) | instskip(SKIP_1) | instid1(VALU_DEP_4)
	v_add_f64 v[38:39], v[19:20], -v[32:33]
	v_add_f64 v[10:11], v[10:11], -v[32:33]
	v_add_f64 v[13:14], v[13:14], v[27:28]
	s_delay_alu instid0(VALU_DEP_4) | instskip(NEXT) | instid1(VALU_DEP_4)
	v_cvt_i32_f64_e32 v34, v[34:35]
	v_add_f64 v[25:26], v[25:26], -v[38:39]
	s_delay_alu instid0(VALU_DEP_2) | instskip(NEXT) | instid1(VALU_DEP_2)
	v_cvt_f64_i32_e32 v[32:33], v34
	v_add_f64 v[10:11], v[10:11], v[25:26]
	s_delay_alu instid0(VALU_DEP_2) | instskip(NEXT) | instid1(VALU_DEP_2)
	v_add_f64 v[17:18], v[17:18], -v[32:33]
	v_add_f64 v[10:11], v[13:14], v[10:11]
	v_add_f64 v[13:14], v[19:20], -v[15:16]
	s_delay_alu instid0(VALU_DEP_3) | instskip(NEXT) | instid1(VALU_DEP_3)
	v_add_f64 v[23:24], v[21:22], v[17:18]
	v_add_f64 v[8:9], v[8:9], v[10:11]
	s_delay_alu instid0(VALU_DEP_2) | instskip(SKIP_1) | instid1(VALU_DEP_3)
	v_add_f64 v[10:11], v[23:24], -v[17:18]
	v_cmp_le_f64_e32 vcc_lo, 0.5, v[23:24]
	v_add_f64 v[8:9], v[13:14], v[8:9]
	s_delay_alu instid0(VALU_DEP_3) | instskip(SKIP_2) | instid1(VALU_DEP_3)
	v_add_f64 v[10:11], v[21:22], -v[10:11]
	v_cndmask_b32_e64 v32, 0, 0x3ff00000, vcc_lo
	v_add_co_ci_u32_e64 v13, s0, 0, v34, vcc_lo
	v_add_f64 v[8:9], v[8:9], v[10:11]
	s_delay_alu instid0(VALU_DEP_3) | instskip(NEXT) | instid1(VALU_DEP_1)
	v_add_f64 v[10:11], v[23:24], -v[31:32]
	v_add_f64 v[14:15], v[10:11], v[8:9]
	s_delay_alu instid0(VALU_DEP_1) | instskip(SKIP_1) | instid1(VALU_DEP_2)
	v_mul_f64 v[16:17], v[14:15], s[2:3]
	v_add_f64 v[10:11], v[14:15], -v[10:11]
	v_fma_f64 v[18:19], v[14:15], s[2:3], -v[16:17]
	s_delay_alu instid0(VALU_DEP_2) | instskip(NEXT) | instid1(VALU_DEP_2)
	v_add_f64 v[8:9], v[8:9], -v[10:11]
	v_fma_f64 v[10:11], v[14:15], s[8:9], v[18:19]
	s_delay_alu instid0(VALU_DEP_1) | instskip(NEXT) | instid1(VALU_DEP_1)
	v_fma_f64 v[10:11], v[8:9], s[2:3], v[10:11]
	v_add_f64 v[8:9], v[16:17], v[10:11]
	s_delay_alu instid0(VALU_DEP_1) | instskip(NEXT) | instid1(VALU_DEP_1)
	v_add_f64 v[14:15], v[8:9], -v[16:17]
	v_add_f64 v[10:11], v[10:11], -v[14:15]
	s_and_not1_saveexec_b32 s0, s1
	s_cbranch_execnz .LBB79_47
	s_branch .LBB79_48
.LBB79_46:
	s_and_not1_saveexec_b32 s0, s1
	s_cbranch_execz .LBB79_48
.LBB79_47:
	s_mov_b32 s2, 0x6dc9c883
	s_mov_b32 s3, 0x3fe45f30
	;; [unrolled: 1-line block ×3, first 2 shown]
	v_mul_f64 v[8:9], |v[2:3]|, s[2:3]
	s_mov_b32 s2, 0x54442d18
	s_mov_b32 s3, 0xbff921fb
	;; [unrolled: 1-line block ×3, first 2 shown]
	s_delay_alu instid0(VALU_DEP_1) | instskip(NEXT) | instid1(VALU_DEP_1)
	v_rndne_f64_e32 v[13:14], v[8:9]
	v_fma_f64 v[8:9], v[13:14], s[2:3], |v[2:3]|
	v_mul_f64 v[10:11], v[13:14], s[8:9]
	s_mov_b32 s2, 0x252049c0
	s_mov_b32 s3, 0xb97b839a
	s_delay_alu instid0(VALU_DEP_2) | instskip(NEXT) | instid1(VALU_DEP_2)
	v_fma_f64 v[17:18], v[13:14], s[8:9], v[8:9]
	v_add_f64 v[15:16], v[8:9], v[10:11]
	s_mov_b32 s9, 0x3c91a626
	s_delay_alu instid0(VALU_DEP_1) | instskip(NEXT) | instid1(VALU_DEP_3)
	v_add_f64 v[8:9], v[8:9], -v[15:16]
	v_add_f64 v[15:16], v[15:16], -v[17:18]
	s_delay_alu instid0(VALU_DEP_2) | instskip(SKIP_1) | instid1(VALU_DEP_2)
	v_add_f64 v[8:9], v[8:9], v[10:11]
	v_fma_f64 v[10:11], v[13:14], s[8:9], v[10:11]
	v_add_f64 v[8:9], v[15:16], v[8:9]
	s_delay_alu instid0(VALU_DEP_1) | instskip(NEXT) | instid1(VALU_DEP_1)
	v_add_f64 v[8:9], v[8:9], -v[10:11]
	v_fma_f64 v[10:11], v[13:14], s[2:3], v[8:9]
	v_cvt_i32_f64_e32 v13, v[13:14]
	s_delay_alu instid0(VALU_DEP_2) | instskip(NEXT) | instid1(VALU_DEP_1)
	v_add_f64 v[8:9], v[17:18], v[10:11]
	v_add_f64 v[15:16], v[8:9], -v[17:18]
	s_delay_alu instid0(VALU_DEP_1)
	v_add_f64 v[10:11], v[10:11], -v[15:16]
.LBB79_48:
	s_or_b32 exec_lo, exec_lo, s0
	s_mov_b32 s0, 0x652b82fe
	s_mov_b32 s1, 0x3ff71547
	s_mov_b32 s2, 0x6a5dcb37
	v_mul_f64 v[14:15], v[4:5], s[0:1]
	s_mov_b32 s0, 0xfefa39ef
	s_mov_b32 s1, 0xbfe62e42
	;; [unrolled: 1-line block ×3, first 2 shown]
	v_mul_f64 v[20:21], v[0:1], v[0:1]
	v_mul_f64 v[22:23], v[8:9], v[8:9]
	s_mov_b32 s8, 0x1852b7b0
	s_mov_b32 s9, 0x3f56c16c
	;; [unrolled: 1-line block ×4, first 2 shown]
	s_delay_alu instid0(VALU_DEP_4)
	v_mul_f64 v[48:49], v[6:7], 0.5
	s_mov_b32 s12, 0x19f4ec90
	s_mov_b32 s13, 0x3efa01a0
	v_mul_f64 v[54:55], v[10:11], 0.5
	v_rndne_f64_e32 v[14:15], v[14:15]
	v_mul_f64 v[28:29], v[20:21], 0.5
	v_mul_f64 v[32:33], v[22:23], 0.5
	v_mul_f64 v[50:51], v[0:1], -v[20:21]
	v_mul_f64 v[64:65], v[8:9], -v[22:23]
	v_fma_f64 v[16:17], v[14:15], s[0:1], v[4:5]
	s_mov_b32 s0, 0x3b39803f
	s_mov_b32 s1, 0xbc7abc9e
	v_add_f64 v[36:37], -v[28:29], 1.0
	v_add_f64 v[38:39], -v[32:33], 1.0
	s_delay_alu instid0(VALU_DEP_3) | instskip(SKIP_2) | instid1(VALU_DEP_3)
	v_fma_f64 v[16:17], v[14:15], s[0:1], v[16:17]
	s_mov_b32 s0, 0xfca7ab0c
	s_mov_b32 s1, 0x3e928af3
	v_add_f64 v[52:53], -v[36:37], 1.0
	s_delay_alu instid0(VALU_DEP_3) | instskip(NEXT) | instid1(VALU_DEP_3)
	v_add_f64 v[66:67], -v[38:39], 1.0
	v_fma_f64 v[18:19], v[16:17], s[2:3], s[0:1]
	s_mov_b32 s0, 0x623fde64
	s_mov_b32 s1, 0x3ec71dee
	;; [unrolled: 1-line block ×4, first 2 shown]
	s_delay_alu instid0(VALU_DEP_3) | instskip(NEXT) | instid1(VALU_DEP_3)
	v_add_f64 v[28:29], v[52:53], -v[28:29]
	v_add_f64 v[32:33], v[66:67], -v[32:33]
	s_delay_alu instid0(VALU_DEP_3) | instskip(SKIP_2) | instid1(VALU_DEP_3)
	v_fma_f64 v[18:19], v[16:17], v[18:19], s[0:1]
	s_mov_b32 s0, 0x7c89e6b0
	s_mov_b32 s1, 0x3efa0199
	v_fma_f64 v[28:29], v[0:1], -v[6:7], v[28:29]
	s_delay_alu instid0(VALU_DEP_2)
	v_fma_f64 v[18:19], v[16:17], v[18:19], s[0:1]
	s_mov_b32 s0, 0x14761f6e
	s_mov_b32 s1, 0x3f2a01a0
	s_delay_alu instid0(VALU_DEP_1) | instid1(SALU_CYCLE_1)
	v_fma_f64 v[18:19], v[16:17], v[18:19], s[0:1]
	s_mov_b32 s0, 0xb42fdfa7
	s_mov_b32 s1, 0xbe5ae600
	s_delay_alu instid0(SALU_CYCLE_1)
	v_fma_f64 v[24:25], v[20:21], s[2:3], s[0:1]
	v_fma_f64 v[26:27], v[22:23], s[2:3], s[0:1]
	s_mov_b32 s2, 0x796cde01
	s_mov_b32 s3, 0x3ec71de3
	;; [unrolled: 1-line block ×4, first 2 shown]
	s_delay_alu instid0(VALU_DEP_3) | instskip(SKIP_2) | instid1(VALU_DEP_3)
	v_fma_f64 v[18:19], v[16:17], v[18:19], s[8:9]
	s_mov_b32 s8, 0x9037ab78
	s_mov_b32 s9, 0x3e21eeb6
	v_fma_f64 v[24:25], v[20:21], v[24:25], s[2:3]
	v_fma_f64 v[30:31], v[20:21], s[0:1], s[8:9]
	v_fma_f64 v[34:35], v[22:23], s[0:1], s[8:9]
	v_fma_f64 v[26:27], v[22:23], v[26:27], s[2:3]
	s_mov_b32 s2, 0x19e83e5c
	s_mov_b32 s3, 0xbf2a01a0
	s_mov_b32 s0, 0xa17f65f6
	s_mov_b32 s1, 0xbe927e4f
	s_mov_b32 s9, 0x3fa55555
	s_mov_b32 s8, 0x555502a1
	v_fma_f64 v[18:19], v[16:17], v[18:19], s[10:11]
	s_mov_b32 s10, 0x11110bb3
	v_fma_f64 v[24:25], v[20:21], v[24:25], s[2:3]
	v_fma_f64 v[30:31], v[20:21], v[30:31], s[0:1]
	;; [unrolled: 1-line block ×4, first 2 shown]
	s_mov_b32 s0, 0x55555511
	s_mov_b32 s1, 0x3fc55555
	;; [unrolled: 1-line block ×4, first 2 shown]
	v_fma_f64 v[18:19], v[16:17], v[18:19], s[8:9]
	s_mov_b32 s8, 0x55555555
	v_fma_f64 v[24:25], v[20:21], v[24:25], s[10:11]
	v_fma_f64 v[30:31], v[20:21], v[30:31], s[12:13]
	;; [unrolled: 1-line block ×5, first 2 shown]
	s_mov_b32 s0, 0x16c16967
	s_mov_b32 s1, 0xbf56c16c
	v_fma_f64 v[24:25], v[50:51], v[24:25], v[48:49]
	v_fma_f64 v[30:31], v[20:21], v[30:31], s[0:1]
	;; [unrolled: 1-line block ×4, first 2 shown]
	v_mul_f64 v[48:49], v[20:21], v[20:21]
	v_cmp_nlt_f64_e64 s1, 0x40900000, v[4:5]
	v_cmp_class_f64_e64 s0, v[2:3], 0x1f8
	v_lshlrev_b32_e32 v2, 30, v13
	s_delay_alu instid0(VALU_DEP_1) | instskip(NEXT) | instid1(VALU_DEP_1)
	v_xor_b32_e32 v2, v2, v3
	v_and_b32_e32 v2, 0x80000000, v2
	v_fma_f64 v[18:19], v[16:17], v[18:19], s[2:3]
	v_cmp_ngt_f64_e64 s2, 0xc090cc00, v[4:5]
	v_lshlrev_b32_e32 v4, 30, v12
	v_and_b32_e32 v5, 1, v13
	v_fma_f64 v[6:7], v[20:21], v[24:25], -v[6:7]
	v_fma_f64 v[30:31], v[20:21], v[30:31], s[8:9]
	v_mul_f64 v[20:21], v[22:23], v[22:23]
	v_fma_f64 v[24:25], v[8:9], -v[10:11], v[32:33]
	v_fma_f64 v[32:33], v[22:23], v[34:35], s[8:9]
	v_fma_f64 v[10:11], v[22:23], v[26:27], -v[10:11]
	s_mov_b32 s9, 0xbfc55555
	v_cvt_i32_f64_e32 v26, v[14:15]
	v_cmp_eq_u32_e64 s3, 0, v5
	v_fma_f64 v[18:19], v[16:17], v[18:19], 1.0
	v_fma_f64 v[6:7], v[50:51], s[8:9], v[6:7]
	v_fma_f64 v[22:23], v[48:49], v[30:31], v[28:29]
	;; [unrolled: 1-line block ×3, first 2 shown]
	s_delay_alu instid0(VALU_DEP_4)
	v_fma_f64 v[14:15], v[16:17], v[18:19], 1.0
	v_fma_f64 v[16:17], v[20:21], v[32:33], v[24:25]
	v_add_f64 v[0:1], v[0:1], -v[6:7]
	v_add_f64 v[18:19], v[36:37], v[22:23]
	v_add_f64 v[8:9], v[8:9], -v[10:11]
	v_ldexp_f64 v[6:7], v[14:15], v26
	v_add_f64 v[14:15], v[38:39], v[16:17]
	v_xor_b32_e32 v1, 0x80000000, v1
	v_and_b32_e32 v10, 1, v12
	s_delay_alu instid0(VALU_DEP_1) | instskip(NEXT) | instid1(VALU_DEP_3)
	v_cmp_eq_u32_e32 vcc_lo, 0, v10
	v_dual_cndmask_b32 v1, v1, v19 :: v_dual_cndmask_b32 v0, v0, v18
	s_and_b32 vcc_lo, s2, s1
	v_and_b32_e32 v3, 0x80000000, v4
                                        ; implicit-def: $vgpr18
	s_delay_alu instid0(VALU_DEP_2) | instskip(NEXT) | instid1(VALU_DEP_2)
	v_cndmask_b32_e64 v0, 0, v0, s0
	v_xor_b32_e32 v1, v1, v3
	s_delay_alu instid0(VALU_DEP_1) | instskip(SKIP_3) | instid1(VALU_DEP_2)
	v_cndmask_b32_e64 v1, 0x7ff80000, v1, s0
	v_cndmask_b32_e64 v7, 0x7ff00000, v7, s1
	;; [unrolled: 1-line block ×4, first 2 shown]
	v_xor_b32_e32 v3, v5, v2
	s_delay_alu instid0(VALU_DEP_2) | instskip(SKIP_2) | instid1(VALU_DEP_4)
	v_cndmask_b32_e64 v2, 0, v4, s0
	v_cndmask_b32_e32 v4, 0, v6, vcc_lo
	v_cndmask_b32_e64 v5, 0, v7, s2
	v_cndmask_b32_e64 v3, 0x7ff80000, v3, s0
	s_delay_alu instid0(VALU_DEP_2) | instskip(NEXT) | instid1(VALU_DEP_2)
	v_mul_f64 v[0:1], v[4:5], v[0:1]
	v_mul_f64 v[2:3], v[4:5], v[2:3]
                                        ; implicit-def: $vgpr4_vgpr5
.LBB79_49:
	s_and_not1_saveexec_b32 s7, s7
	s_cbranch_execz .LBB79_52
; %bb.50:
	s_delay_alu instid0(VALU_DEP_1) | instskip(NEXT) | instid1(VALU_DEP_1)
	v_cmp_ngt_f64_e64 s1, 0x41d00000, |v[2:3]|
                                        ; implicit-def: $vgpr12
                                        ; implicit-def: $vgpr0_vgpr1
                                        ; implicit-def: $vgpr6_vgpr7
	s_and_saveexec_b32 s0, s1
	s_delay_alu instid0(SALU_CYCLE_1)
	s_xor_b32 s2, exec_lo, s0
	s_cbranch_execz .LBB79_53
; %bb.51:
	v_ldexp_f64 v[0:1], |v[2:3]|, 0xffffff80
	v_cmp_le_f64_e64 vcc_lo, 0x7b000000, |v[2:3]|
	v_trig_preop_f64 v[6:7], |v[2:3]|, 0
	v_trig_preop_f64 v[8:9], |v[2:3]|, 1
	;; [unrolled: 1-line block ×3, first 2 shown]
	v_mov_b32_e32 v27, 0
	s_mov_b32 s8, 0x54442d18
	s_mov_b32 s9, 0x3ff921fb
	;; [unrolled: 1-line block ×4, first 2 shown]
	v_cndmask_b32_e32 v1, v18, v1, vcc_lo
	v_cndmask_b32_e32 v0, v2, v0, vcc_lo
	s_delay_alu instid0(VALU_DEP_1) | instskip(SKIP_1) | instid1(VALU_DEP_2)
	v_mul_f64 v[10:11], v[6:7], v[0:1]
	v_mul_f64 v[12:13], v[8:9], v[0:1]
	v_fma_f64 v[6:7], v[6:7], v[0:1], -v[10:11]
	s_delay_alu instid0(VALU_DEP_2) | instskip(NEXT) | instid1(VALU_DEP_2)
	v_fma_f64 v[8:9], v[8:9], v[0:1], -v[12:13]
	v_add_f64 v[14:15], v[12:13], v[6:7]
	s_delay_alu instid0(VALU_DEP_1) | instskip(SKIP_1) | instid1(VALU_DEP_2)
	v_add_f64 v[16:17], v[14:15], -v[12:13]
	v_add_f64 v[23:24], v[10:11], v[14:15]
	v_add_f64 v[21:22], v[14:15], -v[16:17]
	v_add_f64 v[6:7], v[6:7], -v[16:17]
	s_delay_alu instid0(VALU_DEP_3) | instskip(SKIP_1) | instid1(VALU_DEP_4)
	v_ldexp_f64 v[16:17], v[23:24], -2
	v_add_f64 v[10:11], v[23:24], -v[10:11]
	v_add_f64 v[12:13], v[12:13], -v[21:22]
	s_delay_alu instid0(VALU_DEP_3) | instskip(NEXT) | instid1(VALU_DEP_3)
	v_cmp_neq_f64_e64 vcc_lo, 0x7ff00000, |v[16:17]|
	v_add_f64 v[10:11], v[14:15], -v[10:11]
	s_delay_alu instid0(VALU_DEP_3) | instskip(SKIP_1) | instid1(VALU_DEP_1)
	v_add_f64 v[6:7], v[6:7], v[12:13]
	v_fract_f64_e32 v[12:13], v[16:17]
	v_dual_cndmask_b32 v13, 0, v13 :: v_dual_cndmask_b32 v12, 0, v12
	v_mul_f64 v[25:26], v[19:20], v[0:1]
	s_delay_alu instid0(VALU_DEP_2) | instskip(NEXT) | instid1(VALU_DEP_2)
	v_ldexp_f64 v[12:13], v[12:13], 2
	v_add_f64 v[21:22], v[25:26], v[8:9]
	v_fma_f64 v[0:1], v[19:20], v[0:1], -v[25:26]
	s_delay_alu instid0(VALU_DEP_2) | instskip(NEXT) | instid1(VALU_DEP_1)
	v_add_f64 v[14:15], v[21:22], v[6:7]
	v_add_f64 v[16:17], v[10:11], v[14:15]
	s_delay_alu instid0(VALU_DEP_1) | instskip(SKIP_1) | instid1(VALU_DEP_2)
	v_add_f64 v[23:24], v[16:17], v[12:13]
	v_add_f64 v[10:11], v[16:17], -v[10:11]
	v_cmp_gt_f64_e32 vcc_lo, 0, v[23:24]
	v_add_f64 v[23:24], v[21:22], -v[25:26]
	s_delay_alu instid0(VALU_DEP_3) | instskip(SKIP_1) | instid1(VALU_DEP_3)
	v_add_f64 v[10:11], v[14:15], -v[10:11]
	v_cndmask_b32_e64 v28, 0, 0x40100000, vcc_lo
	v_add_f64 v[32:33], v[21:22], -v[23:24]
	v_add_f64 v[8:9], v[8:9], -v[23:24]
	s_delay_alu instid0(VALU_DEP_3) | instskip(SKIP_1) | instid1(VALU_DEP_4)
	v_add_f64 v[12:13], v[12:13], v[27:28]
	v_add_f64 v[28:29], v[14:15], -v[21:22]
	v_add_f64 v[23:24], v[25:26], -v[32:33]
	s_delay_alu instid0(VALU_DEP_3) | instskip(NEXT) | instid1(VALU_DEP_3)
	v_add_f64 v[30:31], v[16:17], v[12:13]
	v_add_f64 v[34:35], v[14:15], -v[28:29]
	v_add_f64 v[6:7], v[6:7], -v[28:29]
	s_delay_alu instid0(VALU_DEP_4) | instskip(NEXT) | instid1(VALU_DEP_4)
	v_add_f64 v[8:9], v[8:9], v[23:24]
	v_cvt_i32_f64_e32 v30, v[30:31]
	s_delay_alu instid0(VALU_DEP_4) | instskip(NEXT) | instid1(VALU_DEP_2)
	v_add_f64 v[21:22], v[21:22], -v[34:35]
	v_cvt_f64_i32_e32 v[28:29], v30
	s_delay_alu instid0(VALU_DEP_2) | instskip(NEXT) | instid1(VALU_DEP_2)
	v_add_f64 v[6:7], v[6:7], v[21:22]
	v_add_f64 v[12:13], v[12:13], -v[28:29]
	s_delay_alu instid0(VALU_DEP_2) | instskip(NEXT) | instid1(VALU_DEP_2)
	v_add_f64 v[6:7], v[8:9], v[6:7]
	v_add_f64 v[8:9], v[16:17], v[12:13]
	s_delay_alu instid0(VALU_DEP_2) | instskip(NEXT) | instid1(VALU_DEP_2)
	v_add_f64 v[0:1], v[0:1], v[6:7]
	v_add_f64 v[6:7], v[8:9], -v[12:13]
	v_cmp_le_f64_e32 vcc_lo, 0.5, v[8:9]
	s_delay_alu instid0(VALU_DEP_3) | instskip(NEXT) | instid1(VALU_DEP_3)
	v_add_f64 v[0:1], v[10:11], v[0:1]
	v_add_f64 v[6:7], v[16:17], -v[6:7]
	v_cndmask_b32_e64 v28, 0, 0x3ff00000, vcc_lo
	v_add_co_ci_u32_e64 v12, s0, 0, v30, vcc_lo
	s_delay_alu instid0(VALU_DEP_3) | instskip(NEXT) | instid1(VALU_DEP_3)
	v_add_f64 v[0:1], v[0:1], v[6:7]
	v_add_f64 v[6:7], v[8:9], -v[27:28]
	s_delay_alu instid0(VALU_DEP_1) | instskip(NEXT) | instid1(VALU_DEP_1)
	v_add_f64 v[8:9], v[6:7], v[0:1]
	v_mul_f64 v[10:11], v[8:9], s[8:9]
	v_add_f64 v[6:7], v[8:9], -v[6:7]
	s_delay_alu instid0(VALU_DEP_2) | instskip(NEXT) | instid1(VALU_DEP_2)
	v_fma_f64 v[13:14], v[8:9], s[8:9], -v[10:11]
	v_add_f64 v[0:1], v[0:1], -v[6:7]
	s_delay_alu instid0(VALU_DEP_2) | instskip(NEXT) | instid1(VALU_DEP_1)
	v_fma_f64 v[6:7], v[8:9], s[10:11], v[13:14]
	v_fma_f64 v[6:7], v[0:1], s[8:9], v[6:7]
	s_delay_alu instid0(VALU_DEP_1) | instskip(NEXT) | instid1(VALU_DEP_1)
	v_add_f64 v[0:1], v[10:11], v[6:7]
	v_add_f64 v[8:9], v[0:1], -v[10:11]
	s_delay_alu instid0(VALU_DEP_1)
	v_add_f64 v[6:7], v[6:7], -v[8:9]
	s_and_not1_saveexec_b32 s0, s2
	s_cbranch_execz .LBB79_55
	s_branch .LBB79_54
.LBB79_52:
	s_or_b32 exec_lo, exec_lo, s7
                                        ; implicit-def: $vgpr4_vgpr5
                                        ; implicit-def: $vgpr6
	s_and_not1_saveexec_b32 s1, s6
	s_cbranch_execnz .LBB79_61
	s_branch .LBB79_66
.LBB79_53:
	s_and_not1_saveexec_b32 s0, s2
	s_cbranch_execz .LBB79_55
.LBB79_54:
	s_mov_b32 s2, 0x6dc9c883
	s_mov_b32 s3, 0x3fe45f30
	;; [unrolled: 1-line block ×3, first 2 shown]
	v_mul_f64 v[0:1], |v[2:3]|, s[2:3]
	s_mov_b32 s2, 0x54442d18
	s_mov_b32 s3, 0xbff921fb
	;; [unrolled: 1-line block ×3, first 2 shown]
	s_delay_alu instid0(VALU_DEP_1) | instskip(NEXT) | instid1(VALU_DEP_1)
	v_rndne_f64_e32 v[8:9], v[0:1]
	v_fma_f64 v[0:1], v[8:9], s[2:3], |v[2:3]|
	v_mul_f64 v[6:7], v[8:9], s[8:9]
	s_mov_b32 s2, 0x252049c0
	s_mov_b32 s3, 0xb97b839a
	s_delay_alu instid0(VALU_DEP_2) | instskip(NEXT) | instid1(VALU_DEP_2)
	v_fma_f64 v[12:13], v[8:9], s[8:9], v[0:1]
	v_add_f64 v[10:11], v[0:1], v[6:7]
	s_mov_b32 s9, 0x3c91a626
	s_delay_alu instid0(VALU_DEP_1) | instskip(NEXT) | instid1(VALU_DEP_3)
	v_add_f64 v[0:1], v[0:1], -v[10:11]
	v_add_f64 v[10:11], v[10:11], -v[12:13]
	s_delay_alu instid0(VALU_DEP_2) | instskip(SKIP_1) | instid1(VALU_DEP_2)
	v_add_f64 v[0:1], v[0:1], v[6:7]
	v_fma_f64 v[6:7], v[8:9], s[8:9], v[6:7]
	v_add_f64 v[0:1], v[10:11], v[0:1]
	s_delay_alu instid0(VALU_DEP_1) | instskip(NEXT) | instid1(VALU_DEP_1)
	v_add_f64 v[0:1], v[0:1], -v[6:7]
	v_fma_f64 v[6:7], v[8:9], s[2:3], v[0:1]
	s_delay_alu instid0(VALU_DEP_1) | instskip(NEXT) | instid1(VALU_DEP_1)
	v_add_f64 v[0:1], v[12:13], v[6:7]
	v_add_f64 v[10:11], v[0:1], -v[12:13]
	v_cvt_i32_f64_e32 v12, v[8:9]
	s_delay_alu instid0(VALU_DEP_2)
	v_add_f64 v[6:7], v[6:7], -v[10:11]
.LBB79_55:
	s_or_b32 exec_lo, exec_lo, s0
                                        ; implicit-def: $vgpr13
                                        ; implicit-def: $vgpr8_vgpr9
                                        ; implicit-def: $vgpr10_vgpr11
	s_and_saveexec_b32 s0, s1
	s_delay_alu instid0(SALU_CYCLE_1)
	s_xor_b32 s1, exec_lo, s0
	s_cbranch_execz .LBB79_57
; %bb.56:
	v_ldexp_f64 v[8:9], |v[2:3]|, 0xffffff80
	v_cmp_le_f64_e64 vcc_lo, 0x7b000000, |v[2:3]|
	v_trig_preop_f64 v[10:11], |v[2:3]|, 0
	v_trig_preop_f64 v[13:14], |v[2:3]|, 1
	;; [unrolled: 1-line block ×3, first 2 shown]
	v_mov_b32_e32 v31, 0
	s_mov_b32 s2, 0x54442d18
	s_mov_b32 s3, 0x3ff921fb
	;; [unrolled: 1-line block ×4, first 2 shown]
	v_cndmask_b32_e32 v9, v18, v9, vcc_lo
	v_cndmask_b32_e32 v8, v2, v8, vcc_lo
	s_delay_alu instid0(VALU_DEP_1) | instskip(SKIP_1) | instid1(VALU_DEP_2)
	v_mul_f64 v[15:16], v[10:11], v[8:9]
	v_mul_f64 v[17:18], v[13:14], v[8:9]
	v_fma_f64 v[10:11], v[10:11], v[8:9], -v[15:16]
	s_delay_alu instid0(VALU_DEP_2) | instskip(NEXT) | instid1(VALU_DEP_2)
	v_fma_f64 v[13:14], v[13:14], v[8:9], -v[17:18]
	v_add_f64 v[19:20], v[17:18], v[10:11]
	s_delay_alu instid0(VALU_DEP_1) | instskip(SKIP_1) | instid1(VALU_DEP_2)
	v_add_f64 v[21:22], v[19:20], -v[17:18]
	v_add_f64 v[27:28], v[15:16], v[19:20]
	v_add_f64 v[25:26], v[19:20], -v[21:22]
	v_add_f64 v[10:11], v[10:11], -v[21:22]
	s_delay_alu instid0(VALU_DEP_3) | instskip(SKIP_1) | instid1(VALU_DEP_4)
	v_ldexp_f64 v[21:22], v[27:28], -2
	v_add_f64 v[15:16], v[27:28], -v[15:16]
	v_add_f64 v[17:18], v[17:18], -v[25:26]
	s_delay_alu instid0(VALU_DEP_3) | instskip(NEXT) | instid1(VALU_DEP_3)
	v_cmp_neq_f64_e64 vcc_lo, 0x7ff00000, |v[21:22]|
	v_add_f64 v[15:16], v[19:20], -v[15:16]
	s_delay_alu instid0(VALU_DEP_3) | instskip(SKIP_1) | instid1(VALU_DEP_1)
	v_add_f64 v[10:11], v[10:11], v[17:18]
	v_fract_f64_e32 v[17:18], v[21:22]
	v_dual_cndmask_b32 v17, 0, v17 :: v_dual_cndmask_b32 v18, 0, v18
	v_mul_f64 v[29:30], v[23:24], v[8:9]
	s_delay_alu instid0(VALU_DEP_2) | instskip(NEXT) | instid1(VALU_DEP_2)
	v_ldexp_f64 v[17:18], v[17:18], 2
	v_add_f64 v[25:26], v[29:30], v[13:14]
	v_fma_f64 v[8:9], v[23:24], v[8:9], -v[29:30]
	s_delay_alu instid0(VALU_DEP_2) | instskip(NEXT) | instid1(VALU_DEP_1)
	v_add_f64 v[19:20], v[25:26], v[10:11]
	v_add_f64 v[21:22], v[15:16], v[19:20]
	s_delay_alu instid0(VALU_DEP_1) | instskip(SKIP_1) | instid1(VALU_DEP_2)
	v_add_f64 v[27:28], v[21:22], v[17:18]
	v_add_f64 v[15:16], v[21:22], -v[15:16]
	v_cmp_gt_f64_e32 vcc_lo, 0, v[27:28]
	v_add_f64 v[27:28], v[25:26], -v[29:30]
	v_cndmask_b32_e64 v32, 0, 0x40100000, vcc_lo
	s_delay_alu instid0(VALU_DEP_2) | instskip(SKIP_1) | instid1(VALU_DEP_3)
	v_add_f64 v[36:37], v[25:26], -v[27:28]
	v_add_f64 v[13:14], v[13:14], -v[27:28]
	v_add_f64 v[17:18], v[17:18], v[31:32]
	v_add_f64 v[32:33], v[19:20], -v[25:26]
	s_delay_alu instid0(VALU_DEP_4) | instskip(NEXT) | instid1(VALU_DEP_3)
	v_add_f64 v[27:28], v[29:30], -v[36:37]
	v_add_f64 v[34:35], v[21:22], v[17:18]
	s_delay_alu instid0(VALU_DEP_3) | instskip(SKIP_1) | instid1(VALU_DEP_4)
	v_add_f64 v[38:39], v[19:20], -v[32:33]
	v_add_f64 v[10:11], v[10:11], -v[32:33]
	v_add_f64 v[13:14], v[13:14], v[27:28]
	s_delay_alu instid0(VALU_DEP_4) | instskip(NEXT) | instid1(VALU_DEP_4)
	v_cvt_i32_f64_e32 v34, v[34:35]
	v_add_f64 v[25:26], v[25:26], -v[38:39]
	s_delay_alu instid0(VALU_DEP_2) | instskip(NEXT) | instid1(VALU_DEP_2)
	v_cvt_f64_i32_e32 v[32:33], v34
	v_add_f64 v[10:11], v[10:11], v[25:26]
	s_delay_alu instid0(VALU_DEP_2) | instskip(NEXT) | instid1(VALU_DEP_2)
	v_add_f64 v[17:18], v[17:18], -v[32:33]
	v_add_f64 v[10:11], v[13:14], v[10:11]
	v_add_f64 v[13:14], v[19:20], -v[15:16]
	s_delay_alu instid0(VALU_DEP_3) | instskip(NEXT) | instid1(VALU_DEP_3)
	v_add_f64 v[23:24], v[21:22], v[17:18]
	v_add_f64 v[8:9], v[8:9], v[10:11]
	s_delay_alu instid0(VALU_DEP_2) | instskip(SKIP_1) | instid1(VALU_DEP_3)
	v_add_f64 v[10:11], v[23:24], -v[17:18]
	v_cmp_le_f64_e32 vcc_lo, 0.5, v[23:24]
	v_add_f64 v[8:9], v[13:14], v[8:9]
	s_delay_alu instid0(VALU_DEP_3) | instskip(SKIP_2) | instid1(VALU_DEP_3)
	v_add_f64 v[10:11], v[21:22], -v[10:11]
	v_cndmask_b32_e64 v32, 0, 0x3ff00000, vcc_lo
	v_add_co_ci_u32_e64 v13, s0, 0, v34, vcc_lo
	v_add_f64 v[8:9], v[8:9], v[10:11]
	s_delay_alu instid0(VALU_DEP_3) | instskip(NEXT) | instid1(VALU_DEP_1)
	v_add_f64 v[10:11], v[23:24], -v[31:32]
	v_add_f64 v[14:15], v[10:11], v[8:9]
	s_delay_alu instid0(VALU_DEP_1) | instskip(SKIP_1) | instid1(VALU_DEP_2)
	v_mul_f64 v[16:17], v[14:15], s[2:3]
	v_add_f64 v[10:11], v[14:15], -v[10:11]
	v_fma_f64 v[18:19], v[14:15], s[2:3], -v[16:17]
	s_delay_alu instid0(VALU_DEP_2) | instskip(NEXT) | instid1(VALU_DEP_2)
	v_add_f64 v[8:9], v[8:9], -v[10:11]
	v_fma_f64 v[10:11], v[14:15], s[8:9], v[18:19]
	s_delay_alu instid0(VALU_DEP_1) | instskip(NEXT) | instid1(VALU_DEP_1)
	v_fma_f64 v[10:11], v[8:9], s[2:3], v[10:11]
	v_add_f64 v[8:9], v[16:17], v[10:11]
	s_delay_alu instid0(VALU_DEP_1) | instskip(NEXT) | instid1(VALU_DEP_1)
	v_add_f64 v[14:15], v[8:9], -v[16:17]
	v_add_f64 v[10:11], v[10:11], -v[14:15]
	s_and_not1_saveexec_b32 s0, s1
	s_cbranch_execnz .LBB79_58
	s_branch .LBB79_59
.LBB79_57:
	s_and_not1_saveexec_b32 s0, s1
	s_cbranch_execz .LBB79_59
.LBB79_58:
	s_mov_b32 s2, 0x6dc9c883
	s_mov_b32 s3, 0x3fe45f30
	;; [unrolled: 1-line block ×3, first 2 shown]
	v_mul_f64 v[8:9], |v[2:3]|, s[2:3]
	s_mov_b32 s2, 0x54442d18
	s_mov_b32 s3, 0xbff921fb
	;; [unrolled: 1-line block ×3, first 2 shown]
	s_delay_alu instid0(VALU_DEP_1) | instskip(NEXT) | instid1(VALU_DEP_1)
	v_rndne_f64_e32 v[13:14], v[8:9]
	v_fma_f64 v[8:9], v[13:14], s[2:3], |v[2:3]|
	v_mul_f64 v[10:11], v[13:14], s[8:9]
	s_mov_b32 s2, 0x252049c0
	s_mov_b32 s3, 0xb97b839a
	s_delay_alu instid0(VALU_DEP_2) | instskip(NEXT) | instid1(VALU_DEP_2)
	v_fma_f64 v[17:18], v[13:14], s[8:9], v[8:9]
	v_add_f64 v[15:16], v[8:9], v[10:11]
	s_mov_b32 s9, 0x3c91a626
	s_delay_alu instid0(VALU_DEP_1) | instskip(NEXT) | instid1(VALU_DEP_3)
	v_add_f64 v[8:9], v[8:9], -v[15:16]
	v_add_f64 v[15:16], v[15:16], -v[17:18]
	s_delay_alu instid0(VALU_DEP_2) | instskip(SKIP_1) | instid1(VALU_DEP_2)
	v_add_f64 v[8:9], v[8:9], v[10:11]
	v_fma_f64 v[10:11], v[13:14], s[8:9], v[10:11]
	v_add_f64 v[8:9], v[15:16], v[8:9]
	s_delay_alu instid0(VALU_DEP_1) | instskip(NEXT) | instid1(VALU_DEP_1)
	v_add_f64 v[8:9], v[8:9], -v[10:11]
	v_fma_f64 v[10:11], v[13:14], s[2:3], v[8:9]
	v_cvt_i32_f64_e32 v13, v[13:14]
	s_delay_alu instid0(VALU_DEP_2) | instskip(NEXT) | instid1(VALU_DEP_1)
	v_add_f64 v[8:9], v[17:18], v[10:11]
	v_add_f64 v[15:16], v[8:9], -v[17:18]
	s_delay_alu instid0(VALU_DEP_1)
	v_add_f64 v[10:11], v[10:11], -v[15:16]
.LBB79_59:
	s_or_b32 exec_lo, exec_lo, s0
	s_mov_b32 s0, 0x19ba0da4
	s_mov_b32 s1, 0xc0937be3
	;; [unrolled: 1-line block ×3, first 2 shown]
	v_add_f64 v[4:5], v[4:5], s[0:1]
	s_mov_b32 s0, 0x652b82fe
	s_mov_b32 s1, 0x3ff71547
	;; [unrolled: 1-line block ×3, first 2 shown]
	s_delay_alu instid0(VALU_DEP_4)
	v_mul_f64 v[20:21], v[0:1], v[0:1]
	v_mul_f64 v[22:23], v[8:9], v[8:9]
	s_mov_b32 s8, 0x1852b7b0
	s_mov_b32 s9, 0x3f56c16c
	;; [unrolled: 1-line block ×5, first 2 shown]
	s_delay_alu instid0(VALU_DEP_4)
	v_mul_f64 v[48:49], v[6:7], 0.5
	v_mul_f64 v[54:55], v[10:11], 0.5
	v_mul_f64 v[14:15], v[4:5], s[0:1]
	s_mov_b32 s0, 0xfefa39ef
	s_mov_b32 s1, 0xbfe62e42
	v_mul_f64 v[30:31], v[20:21], 0.5
	v_mul_f64 v[32:33], v[22:23], 0.5
	v_mul_f64 v[50:51], v[0:1], -v[20:21]
	v_mul_f64 v[64:65], v[8:9], -v[22:23]
	v_rndne_f64_e32 v[14:15], v[14:15]
	v_add_f64 v[36:37], -v[30:31], 1.0
	v_add_f64 v[38:39], -v[32:33], 1.0
	s_delay_alu instid0(VALU_DEP_3) | instskip(SKIP_2) | instid1(VALU_DEP_3)
	v_fma_f64 v[16:17], v[14:15], s[0:1], v[4:5]
	s_mov_b32 s0, 0x3b39803f
	s_mov_b32 s1, 0xbc7abc9e
	v_add_f64 v[52:53], -v[36:37], 1.0
	s_delay_alu instid0(VALU_DEP_3) | instskip(NEXT) | instid1(VALU_DEP_3)
	v_add_f64 v[66:67], -v[38:39], 1.0
	v_fma_f64 v[16:17], v[14:15], s[0:1], v[16:17]
	s_mov_b32 s0, 0xfca7ab0c
	s_mov_b32 s1, 0x3e928af3
	s_delay_alu instid0(VALU_DEP_3) | instskip(NEXT) | instid1(VALU_DEP_3)
	v_add_f64 v[30:31], v[52:53], -v[30:31]
	v_add_f64 v[32:33], v[66:67], -v[32:33]
	s_delay_alu instid0(VALU_DEP_3) | instskip(SKIP_4) | instid1(VALU_DEP_3)
	v_fma_f64 v[18:19], v[16:17], s[2:3], s[0:1]
	s_mov_b32 s0, 0x623fde64
	s_mov_b32 s1, 0x3ec71dee
	;; [unrolled: 1-line block ×4, first 2 shown]
	v_fma_f64 v[30:31], v[0:1], -v[6:7], v[30:31]
	s_delay_alu instid0(VALU_DEP_3) | instskip(NEXT) | instid1(VALU_DEP_3)
	v_fma_f64 v[32:33], v[8:9], -v[10:11], v[32:33]
	v_fma_f64 v[18:19], v[16:17], v[18:19], s[0:1]
	s_mov_b32 s0, 0x7c89e6b0
	s_mov_b32 s1, 0x3efa0199
	s_delay_alu instid0(VALU_DEP_1) | instid1(SALU_CYCLE_1)
	v_fma_f64 v[18:19], v[16:17], v[18:19], s[0:1]
	s_mov_b32 s0, 0x14761f6e
	s_mov_b32 s1, 0x3f2a01a0
	s_delay_alu instid0(VALU_DEP_1) | instid1(SALU_CYCLE_1)
	v_fma_f64 v[18:19], v[16:17], v[18:19], s[0:1]
	s_mov_b32 s0, 0xb42fdfa7
	s_mov_b32 s1, 0xbe5ae600
	s_delay_alu instid0(SALU_CYCLE_1)
	v_fma_f64 v[24:25], v[20:21], s[2:3], s[0:1]
	v_fma_f64 v[26:27], v[22:23], s[2:3], s[0:1]
	s_mov_b32 s0, 0x796cde01
	s_mov_b32 s1, 0x3ec71de3
	;; [unrolled: 1-line block ×4, first 2 shown]
	s_delay_alu instid0(SALU_CYCLE_1) | instskip(NEXT) | instid1(VALU_DEP_3)
	s_mov_b32 s13, s3
	v_fma_f64 v[18:19], v[16:17], v[18:19], s[8:9]
	s_mov_b32 s8, 0x9037ab78
	s_mov_b32 s9, 0x3e21eeb6
	s_delay_alu instid0(VALU_DEP_3)
	v_fma_f64 v[24:25], v[20:21], v[24:25], s[0:1]
	v_fma_f64 v[28:29], v[20:21], s[10:11], s[8:9]
	;; [unrolled: 1-line block ×4, first 2 shown]
	s_mov_b32 s8, 0x19e83e5c
	s_mov_b32 s9, 0xbf2a01a0
	;; [unrolled: 1-line block ×6, first 2 shown]
	v_fma_f64 v[18:19], v[16:17], v[18:19], s[12:13]
	s_mov_b32 s12, 0xa17f65f6
	s_mov_b32 s13, 0xbe927e4f
	v_fma_f64 v[24:25], v[20:21], v[24:25], s[8:9]
	v_fma_f64 v[28:29], v[20:21], v[28:29], s[12:13]
	;; [unrolled: 1-line block ×4, first 2 shown]
	s_mov_b32 s8, 0x19f4ec90
	s_mov_b32 s9, 0x3efa01a0
	v_fma_f64 v[18:19], v[16:17], v[18:19], s[10:11]
	s_mov_b32 s10, 0x55555511
	s_mov_b32 s11, 0x3fc55555
	v_fma_f64 v[24:25], v[20:21], v[24:25], s[2:3]
	v_fma_f64 v[28:29], v[20:21], v[28:29], s[8:9]
	;; [unrolled: 1-line block ×4, first 2 shown]
	s_mov_b32 s2, 0x16c16967
	s_mov_b32 s3, 0xbf56c16c
	;; [unrolled: 1-line block ×4, first 2 shown]
	v_fma_f64 v[18:19], v[16:17], v[18:19], s[10:11]
	v_fma_f64 v[24:25], v[50:51], v[24:25], v[48:49]
	v_fma_f64 v[28:29], v[20:21], v[28:29], s[2:3]
	v_fma_f64 v[34:35], v[22:23], v[34:35], s[2:3]
	v_fma_f64 v[26:27], v[64:65], v[26:27], v[54:55]
	v_mul_f64 v[48:49], v[20:21], v[20:21]
	v_cmp_ngt_f64_e64 s2, 0xc090cc00, v[4:5]
	v_fma_f64 v[18:19], v[16:17], v[18:19], s[8:9]
	v_fma_f64 v[6:7], v[20:21], v[24:25], -v[6:7]
	v_fma_f64 v[28:29], v[20:21], v[28:29], s[0:1]
	v_mul_f64 v[20:21], v[22:23], v[22:23]
	v_fma_f64 v[24:25], v[22:23], v[34:35], s[0:1]
	v_fma_f64 v[10:11], v[22:23], v[26:27], -v[10:11]
	s_mov_b32 s1, 0xbfc55555
	v_cvt_i32_f64_e32 v26, v[14:15]
	v_fma_f64 v[18:19], v[16:17], v[18:19], 1.0
	v_fma_f64 v[6:7], v[50:51], s[0:1], v[6:7]
	v_fma_f64 v[22:23], v[48:49], v[28:29], v[30:31]
	;; [unrolled: 1-line block ×3, first 2 shown]
	v_cmp_nlt_f64_e64 s1, 0x40900000, v[4:5]
	v_cmp_class_f64_e64 s0, v[2:3], 0x1f8
	v_lshlrev_b32_e32 v4, 30, v13
	v_lshlrev_b32_e32 v5, 30, v12
	s_delay_alu instid0(VALU_DEP_2) | instskip(NEXT) | instid1(VALU_DEP_2)
	v_xor_b32_e32 v3, v4, v3
	v_and_b32_e32 v4, 0x80000000, v5
	s_delay_alu instid0(VALU_DEP_2)
	v_and_b32_e32 v3, 0x80000000, v3
	v_fma_f64 v[14:15], v[16:17], v[18:19], 1.0
	v_fma_f64 v[16:17], v[20:21], v[24:25], v[32:33]
	v_add_f64 v[0:1], v[0:1], -v[6:7]
	v_add_f64 v[18:19], v[36:37], v[22:23]
	v_add_f64 v[8:9], v[8:9], -v[10:11]
	v_ldexp_f64 v[6:7], v[14:15], v26
	v_add_f64 v[14:15], v[38:39], v[16:17]
	v_xor_b32_e32 v1, 0x80000000, v1
	v_and_b32_e32 v10, 1, v12
	s_delay_alu instid0(VALU_DEP_1) | instskip(NEXT) | instid1(VALU_DEP_3)
	v_cmp_eq_u32_e32 vcc_lo, 0, v10
	v_dual_cndmask_b32 v1, v1, v19 :: v_dual_cndmask_b32 v0, v0, v18
	s_and_b32 vcc_lo, s2, s1
	s_delay_alu instid0(VALU_DEP_1) | instskip(NEXT) | instid1(VALU_DEP_2)
	v_xor_b32_e32 v1, v1, v4
	v_cndmask_b32_e64 v0, 0, v0, s0
	s_delay_alu instid0(VALU_DEP_2) | instskip(SKIP_2) | instid1(VALU_DEP_1)
	v_cndmask_b32_e64 v1, 0x7ff80000, v1, s0
	v_cndmask_b32_e64 v2, 0x7ff00000, v7, s1
	v_dual_cndmask_b32 v4, 0, v6 :: v_dual_and_b32 v7, 1, v13
	v_cmp_eq_u32_e64 s3, 0, v7
	s_delay_alu instid0(VALU_DEP_1) | instskip(SKIP_3) | instid1(VALU_DEP_3)
	v_cndmask_b32_e64 v7, v15, v9, s3
	v_cndmask_b32_e64 v5, v14, v8, s3
	;; [unrolled: 1-line block ×3, first 2 shown]
	s_mov_b32 s3, 0xfffff
	v_xor_b32_e32 v3, v7, v3
	s_delay_alu instid0(VALU_DEP_3) | instskip(NEXT) | instid1(VALU_DEP_3)
	v_cndmask_b32_e64 v2, 0, v5, s0
	v_and_or_b32 v5, v8, s3, 0x7fe00000
	s_delay_alu instid0(VALU_DEP_3) | instskip(NEXT) | instid1(VALU_DEP_2)
	v_cndmask_b32_e64 v3, 0x7ff80000, v3, s0
	v_mul_f64 v[0:1], v[4:5], v[0:1]
	s_delay_alu instid0(VALU_DEP_2) | instskip(SKIP_1) | instid1(VALU_DEP_1)
	v_mul_f64 v[2:3], v[4:5], v[2:3]
	v_lshrrev_b32_e32 v4, 20, v8
	v_add_nc_u32_e32 v6, 0xffffff09, v4
	s_delay_alu instid0(VALU_DEP_1) | instskip(NEXT) | instid1(VALU_DEP_1)
	v_lshrrev_b16 v4, 15, v6
	v_add_nc_u16 v4, v6, v4
	s_delay_alu instid0(VALU_DEP_1) | instskip(NEXT) | instid1(VALU_DEP_1)
	v_ashrrev_i16 v4, 1, v4
	v_bfe_i32 v7, v4, 0, 16
	v_mov_b32_e32 v4, 0
	s_delay_alu instid0(VALU_DEP_2) | instskip(NEXT) | instid1(VALU_DEP_1)
	v_lshl_add_u32 v5, v7, 20, 0x3ff00000
	v_mul_f64 v[0:1], v[0:1], v[4:5]
	v_mul_f64 v[2:3], v[2:3], v[4:5]
	v_sub_nc_u32_e32 v5, v6, v7
	s_delay_alu instid0(VALU_DEP_1) | instskip(NEXT) | instid1(VALU_DEP_1)
	v_lshl_add_u32 v5, v5, 20, 0x3ff00000
	v_mul_f64 v[0:1], v[0:1], v[4:5]
	s_delay_alu instid0(VALU_DEP_4)
	v_mul_f64 v[2:3], v[2:3], v[4:5]
	s_or_b32 exec_lo, exec_lo, s7
                                        ; implicit-def: $vgpr4_vgpr5
                                        ; implicit-def: $vgpr6
.LBB79_60:
	s_and_not1_saveexec_b32 s1, s6
	s_cbranch_execz .LBB79_66
.LBB79_61:
	s_delay_alu instid0(VALU_DEP_1) | instskip(SKIP_2) | instid1(VALU_DEP_1)
	v_add_f64 v[2:3], v[2:3], -v[2:3]
	v_cmp_ne_u32_e32 vcc_lo, 0, v4
	v_cmp_ne_u32_e64 s0, 0x7ff00000, v6
	s_or_b32 s0, vcc_lo, s0
	s_delay_alu instid0(SALU_CYCLE_1) | instskip(NEXT) | instid1(SALU_CYCLE_1)
	s_and_saveexec_b32 s2, s0
	s_xor_b32 s0, exec_lo, s2
; %bb.62:
                                        ; implicit-def: $vgpr4_vgpr5
; %bb.63:
	s_delay_alu instid0(SALU_CYCLE_1) | instskip(NEXT) | instid1(VALU_DEP_3)
	s_or_saveexec_b32 s0, s0
	v_dual_mov_b32 v0, v2 :: v_dual_mov_b32 v1, v3
	s_xor_b32 exec_lo, exec_lo, s0
; %bb.64:
	v_cmp_lt_i64_e32 vcc_lo, -1, v[4:5]
	v_dual_cndmask_b32 v1, 0, v5 :: v_dual_cndmask_b32 v0, 0, v4
	v_dual_cndmask_b32 v3, 0, v3 :: v_dual_cndmask_b32 v2, 0, v2
; %bb.65:
	s_or_b32 exec_lo, exec_lo, s0
.LBB79_66:
	s_delay_alu instid0(SALU_CYCLE_1)
	s_or_b32 exec_lo, exec_lo, s1
                                        ; implicit-def: $vgpr18
.LBB79_67:
	s_and_not1_saveexec_b32 s2, s5
	s_cbranch_execz .LBB79_77
; %bb.68:
	s_delay_alu instid0(VALU_DEP_1)
	v_cmp_ngt_f64_e64 s1, 0x41d00000, |v[2:3]|
	v_trig_preop_f64 v[10:11], |v[2:3]|, 0
	v_trig_preop_f64 v[8:9], |v[2:3]|, 1
	v_ldexp_f64 v[12:13], |v[2:3]|, 0xffffff80
	v_trig_preop_f64 v[6:7], |v[2:3]|, 2
                                        ; implicit-def: $vgpr19
                                        ; implicit-def: $vgpr0_vgpr1
                                        ; implicit-def: $vgpr4_vgpr5
	s_and_saveexec_b32 s0, s1
	s_delay_alu instid0(SALU_CYCLE_1)
	s_xor_b32 s3, exec_lo, s0
	s_cbranch_execz .LBB79_70
; %bb.69:
	v_cmp_le_f64_e64 vcc_lo, 0x7b000000, |v[2:3]|
	v_mov_b32_e32 v31, 0
	s_mov_b32 s6, 0x54442d18
	s_mov_b32 s7, 0x3ff921fb
	s_mov_b32 s8, 0x33145c07
	s_mov_b32 s9, 0x3c91a626
	s_delay_alu instid0(VALU_DEP_4) | instskip(SKIP_1) | instid1(VALU_DEP_1)
	v_cndmask_b32_e32 v1, v18, v13, vcc_lo
	v_cndmask_b32_e32 v0, v2, v12, vcc_lo
	v_mul_f64 v[4:5], v[10:11], v[0:1]
	v_mul_f64 v[14:15], v[8:9], v[0:1]
	s_delay_alu instid0(VALU_DEP_2) | instskip(NEXT) | instid1(VALU_DEP_2)
	v_fma_f64 v[16:17], v[10:11], v[0:1], -v[4:5]
	v_fma_f64 v[29:30], v[8:9], v[0:1], -v[14:15]
	s_delay_alu instid0(VALU_DEP_2) | instskip(NEXT) | instid1(VALU_DEP_1)
	v_add_f64 v[19:20], v[14:15], v[16:17]
	v_add_f64 v[21:22], v[19:20], -v[14:15]
	v_add_f64 v[25:26], v[4:5], v[19:20]
	s_delay_alu instid0(VALU_DEP_2) | instskip(SKIP_1) | instid1(VALU_DEP_3)
	v_add_f64 v[23:24], v[19:20], -v[21:22]
	v_add_f64 v[16:17], v[16:17], -v[21:22]
	v_ldexp_f64 v[21:22], v[25:26], -2
	v_add_f64 v[4:5], v[25:26], -v[4:5]
	s_delay_alu instid0(VALU_DEP_4) | instskip(NEXT) | instid1(VALU_DEP_3)
	v_add_f64 v[14:15], v[14:15], -v[23:24]
	v_cmp_neq_f64_e64 vcc_lo, 0x7ff00000, |v[21:22]|
	s_delay_alu instid0(VALU_DEP_3) | instskip(NEXT) | instid1(VALU_DEP_3)
	v_add_f64 v[4:5], v[19:20], -v[4:5]
	v_add_f64 v[14:15], v[16:17], v[14:15]
	v_fract_f64_e32 v[16:17], v[21:22]
	s_delay_alu instid0(VALU_DEP_1) | instskip(SKIP_1) | instid1(VALU_DEP_2)
	v_dual_cndmask_b32 v17, 0, v17 :: v_dual_cndmask_b32 v16, 0, v16
	v_mul_f64 v[27:28], v[6:7], v[0:1]
	v_ldexp_f64 v[16:17], v[16:17], 2
	s_delay_alu instid0(VALU_DEP_2) | instskip(SKIP_1) | instid1(VALU_DEP_2)
	v_add_f64 v[23:24], v[27:28], v[29:30]
	v_fma_f64 v[0:1], v[6:7], v[0:1], -v[27:28]
	v_add_f64 v[19:20], v[23:24], v[14:15]
	s_delay_alu instid0(VALU_DEP_1) | instskip(NEXT) | instid1(VALU_DEP_1)
	v_add_f64 v[21:22], v[4:5], v[19:20]
	v_add_f64 v[25:26], v[21:22], v[16:17]
	v_add_f64 v[4:5], v[21:22], -v[4:5]
	s_delay_alu instid0(VALU_DEP_2) | instskip(SKIP_1) | instid1(VALU_DEP_3)
	v_cmp_gt_f64_e32 vcc_lo, 0, v[25:26]
	v_add_f64 v[25:26], v[23:24], -v[27:28]
	v_add_f64 v[4:5], v[19:20], -v[4:5]
	v_cndmask_b32_e64 v32, 0, 0x40100000, vcc_lo
	s_delay_alu instid0(VALU_DEP_3) | instskip(SKIP_1) | instid1(VALU_DEP_3)
	v_add_f64 v[36:37], v[23:24], -v[25:26]
	v_add_f64 v[25:26], v[29:30], -v[25:26]
	v_add_f64 v[16:17], v[16:17], v[31:32]
	v_add_f64 v[32:33], v[19:20], -v[23:24]
	s_delay_alu instid0(VALU_DEP_4) | instskip(NEXT) | instid1(VALU_DEP_3)
	v_add_f64 v[29:30], v[27:28], -v[36:37]
	v_add_f64 v[34:35], v[21:22], v[16:17]
	s_delay_alu instid0(VALU_DEP_3) | instskip(SKIP_1) | instid1(VALU_DEP_4)
	v_add_f64 v[38:39], v[19:20], -v[32:33]
	v_add_f64 v[14:15], v[14:15], -v[32:33]
	v_add_f64 v[25:26], v[25:26], v[29:30]
	s_delay_alu instid0(VALU_DEP_4) | instskip(NEXT) | instid1(VALU_DEP_4)
	v_cvt_i32_f64_e32 v34, v[34:35]
	v_add_f64 v[23:24], v[23:24], -v[38:39]
	s_delay_alu instid0(VALU_DEP_2) | instskip(NEXT) | instid1(VALU_DEP_2)
	v_cvt_f64_i32_e32 v[32:33], v34
	v_add_f64 v[14:15], v[14:15], v[23:24]
	s_delay_alu instid0(VALU_DEP_2) | instskip(NEXT) | instid1(VALU_DEP_2)
	v_add_f64 v[16:17], v[16:17], -v[32:33]
	v_add_f64 v[14:15], v[25:26], v[14:15]
	s_delay_alu instid0(VALU_DEP_2) | instskip(NEXT) | instid1(VALU_DEP_2)
	v_add_f64 v[23:24], v[21:22], v[16:17]
	v_add_f64 v[0:1], v[0:1], v[14:15]
	s_delay_alu instid0(VALU_DEP_2) | instskip(SKIP_1) | instid1(VALU_DEP_3)
	v_add_f64 v[14:15], v[23:24], -v[16:17]
	v_cmp_le_f64_e32 vcc_lo, 0.5, v[23:24]
	v_add_f64 v[0:1], v[4:5], v[0:1]
	s_delay_alu instid0(VALU_DEP_3) | instskip(SKIP_2) | instid1(VALU_DEP_3)
	v_add_f64 v[4:5], v[21:22], -v[14:15]
	v_cndmask_b32_e64 v32, 0, 0x3ff00000, vcc_lo
	v_add_co_ci_u32_e64 v19, s0, 0, v34, vcc_lo
	v_add_f64 v[0:1], v[0:1], v[4:5]
	s_delay_alu instid0(VALU_DEP_3) | instskip(NEXT) | instid1(VALU_DEP_1)
	v_add_f64 v[4:5], v[23:24], -v[31:32]
	v_add_f64 v[14:15], v[4:5], v[0:1]
	s_delay_alu instid0(VALU_DEP_1) | instskip(SKIP_1) | instid1(VALU_DEP_2)
	v_mul_f64 v[16:17], v[14:15], s[6:7]
	v_add_f64 v[4:5], v[14:15], -v[4:5]
	v_fma_f64 v[20:21], v[14:15], s[6:7], -v[16:17]
	s_delay_alu instid0(VALU_DEP_2) | instskip(NEXT) | instid1(VALU_DEP_2)
	v_add_f64 v[0:1], v[0:1], -v[4:5]
	v_fma_f64 v[4:5], v[14:15], s[8:9], v[20:21]
	s_delay_alu instid0(VALU_DEP_1) | instskip(NEXT) | instid1(VALU_DEP_1)
	v_fma_f64 v[4:5], v[0:1], s[6:7], v[4:5]
	v_add_f64 v[0:1], v[16:17], v[4:5]
	s_delay_alu instid0(VALU_DEP_1) | instskip(NEXT) | instid1(VALU_DEP_1)
	v_add_f64 v[14:15], v[0:1], -v[16:17]
	v_add_f64 v[4:5], v[4:5], -v[14:15]
	s_and_not1_saveexec_b32 s0, s3
	s_cbranch_execz .LBB79_72
	s_branch .LBB79_71
.LBB79_70:
	s_and_not1_saveexec_b32 s0, s3
	s_cbranch_execz .LBB79_72
.LBB79_71:
	s_mov_b32 s6, 0x6dc9c883
	s_mov_b32 s7, 0x3fe45f30
	;; [unrolled: 1-line block ×3, first 2 shown]
	v_mul_f64 v[0:1], |v[2:3]|, s[6:7]
	s_mov_b32 s6, 0x54442d18
	s_mov_b32 s7, 0xbff921fb
	;; [unrolled: 1-line block ×3, first 2 shown]
	s_delay_alu instid0(VALU_DEP_1) | instskip(NEXT) | instid1(VALU_DEP_1)
	v_rndne_f64_e32 v[14:15], v[0:1]
	v_fma_f64 v[0:1], v[14:15], s[6:7], |v[2:3]|
	v_mul_f64 v[4:5], v[14:15], s[8:9]
	s_mov_b32 s6, 0x252049c0
	s_mov_b32 s7, 0xb97b839a
	s_delay_alu instid0(VALU_DEP_2) | instskip(NEXT) | instid1(VALU_DEP_2)
	v_fma_f64 v[19:20], v[14:15], s[8:9], v[0:1]
	v_add_f64 v[16:17], v[0:1], v[4:5]
	s_mov_b32 s9, 0x3c91a626
	s_delay_alu instid0(VALU_DEP_1) | instskip(NEXT) | instid1(VALU_DEP_3)
	v_add_f64 v[0:1], v[0:1], -v[16:17]
	v_add_f64 v[16:17], v[16:17], -v[19:20]
	s_delay_alu instid0(VALU_DEP_2) | instskip(SKIP_1) | instid1(VALU_DEP_2)
	v_add_f64 v[0:1], v[0:1], v[4:5]
	v_fma_f64 v[4:5], v[14:15], s[8:9], v[4:5]
	v_add_f64 v[0:1], v[16:17], v[0:1]
	s_delay_alu instid0(VALU_DEP_1) | instskip(NEXT) | instid1(VALU_DEP_1)
	v_add_f64 v[0:1], v[0:1], -v[4:5]
	v_fma_f64 v[4:5], v[14:15], s[6:7], v[0:1]
	s_delay_alu instid0(VALU_DEP_1) | instskip(NEXT) | instid1(VALU_DEP_1)
	v_add_f64 v[0:1], v[19:20], v[4:5]
	v_add_f64 v[16:17], v[0:1], -v[19:20]
	v_cvt_i32_f64_e32 v19, v[14:15]
	s_delay_alu instid0(VALU_DEP_2)
	v_add_f64 v[4:5], v[4:5], -v[16:17]
.LBB79_72:
	s_or_b32 exec_lo, exec_lo, s0
                                        ; implicit-def: $vgpr20
                                        ; implicit-def: $vgpr14_vgpr15
                                        ; implicit-def: $vgpr16_vgpr17
	s_and_saveexec_b32 s0, s1
	s_delay_alu instid0(SALU_CYCLE_1)
	s_xor_b32 s1, exec_lo, s0
	s_cbranch_execz .LBB79_74
; %bb.73:
	v_cmp_le_f64_e64 vcc_lo, 0x7b000000, |v[2:3]|
	v_mov_b32_e32 v30, 0
	s_mov_b32 s6, 0x54442d18
	s_mov_b32 s7, 0x3ff921fb
	;; [unrolled: 1-line block ×4, first 2 shown]
	s_delay_alu instid0(VALU_DEP_4) | instskip(SKIP_1) | instid1(VALU_DEP_1)
	v_cndmask_b32_e32 v13, v18, v13, vcc_lo
	v_cndmask_b32_e32 v12, v2, v12, vcc_lo
	v_mul_f64 v[14:15], v[10:11], v[12:13]
	v_mul_f64 v[16:17], v[8:9], v[12:13]
	s_delay_alu instid0(VALU_DEP_2) | instskip(NEXT) | instid1(VALU_DEP_2)
	v_fma_f64 v[10:11], v[10:11], v[12:13], -v[14:15]
	v_fma_f64 v[8:9], v[8:9], v[12:13], -v[16:17]
	s_delay_alu instid0(VALU_DEP_2) | instskip(NEXT) | instid1(VALU_DEP_1)
	v_add_f64 v[20:21], v[16:17], v[10:11]
	v_add_f64 v[22:23], v[20:21], -v[16:17]
	v_add_f64 v[26:27], v[14:15], v[20:21]
	s_delay_alu instid0(VALU_DEP_2) | instskip(SKIP_1) | instid1(VALU_DEP_3)
	v_add_f64 v[24:25], v[20:21], -v[22:23]
	v_add_f64 v[10:11], v[10:11], -v[22:23]
	v_ldexp_f64 v[22:23], v[26:27], -2
	v_add_f64 v[14:15], v[26:27], -v[14:15]
	s_delay_alu instid0(VALU_DEP_4) | instskip(NEXT) | instid1(VALU_DEP_3)
	v_add_f64 v[16:17], v[16:17], -v[24:25]
	v_cmp_neq_f64_e64 vcc_lo, 0x7ff00000, |v[22:23]|
	s_delay_alu instid0(VALU_DEP_3) | instskip(NEXT) | instid1(VALU_DEP_3)
	v_add_f64 v[14:15], v[20:21], -v[14:15]
	v_add_f64 v[10:11], v[10:11], v[16:17]
	v_fract_f64_e32 v[16:17], v[22:23]
	s_delay_alu instid0(VALU_DEP_1) | instskip(SKIP_1) | instid1(VALU_DEP_2)
	v_dual_cndmask_b32 v17, 0, v17 :: v_dual_cndmask_b32 v16, 0, v16
	v_mul_f64 v[28:29], v[6:7], v[12:13]
	v_ldexp_f64 v[16:17], v[16:17], 2
	s_delay_alu instid0(VALU_DEP_2) | instskip(SKIP_1) | instid1(VALU_DEP_2)
	v_add_f64 v[24:25], v[28:29], v[8:9]
	v_fma_f64 v[6:7], v[6:7], v[12:13], -v[28:29]
	v_add_f64 v[20:21], v[24:25], v[10:11]
	s_delay_alu instid0(VALU_DEP_1) | instskip(NEXT) | instid1(VALU_DEP_1)
	v_add_f64 v[22:23], v[14:15], v[20:21]
	v_add_f64 v[26:27], v[22:23], v[16:17]
	v_add_f64 v[12:13], v[22:23], -v[14:15]
	s_delay_alu instid0(VALU_DEP_2) | instskip(SKIP_1) | instid1(VALU_DEP_3)
	v_cmp_gt_f64_e32 vcc_lo, 0, v[26:27]
	v_add_f64 v[26:27], v[24:25], -v[28:29]
	v_add_f64 v[12:13], v[20:21], -v[12:13]
	v_cndmask_b32_e64 v31, 0, 0x40100000, vcc_lo
	s_delay_alu instid0(VALU_DEP_3) | instskip(SKIP_1) | instid1(VALU_DEP_3)
	v_add_f64 v[35:36], v[24:25], -v[26:27]
	v_add_f64 v[8:9], v[8:9], -v[26:27]
	v_add_f64 v[16:17], v[16:17], v[30:31]
	v_add_f64 v[31:32], v[20:21], -v[24:25]
	s_delay_alu instid0(VALU_DEP_4) | instskip(NEXT) | instid1(VALU_DEP_3)
	v_add_f64 v[26:27], v[28:29], -v[35:36]
	v_add_f64 v[33:34], v[22:23], v[16:17]
	s_delay_alu instid0(VALU_DEP_3) | instskip(SKIP_1) | instid1(VALU_DEP_4)
	v_add_f64 v[37:38], v[20:21], -v[31:32]
	v_add_f64 v[10:11], v[10:11], -v[31:32]
	v_add_f64 v[8:9], v[8:9], v[26:27]
	s_delay_alu instid0(VALU_DEP_4) | instskip(NEXT) | instid1(VALU_DEP_4)
	v_cvt_i32_f64_e32 v18, v[33:34]
	v_add_f64 v[24:25], v[24:25], -v[37:38]
	s_delay_alu instid0(VALU_DEP_2) | instskip(NEXT) | instid1(VALU_DEP_2)
	v_cvt_f64_i32_e32 v[31:32], v18
	v_add_f64 v[10:11], v[10:11], v[24:25]
	s_delay_alu instid0(VALU_DEP_2) | instskip(NEXT) | instid1(VALU_DEP_2)
	v_add_f64 v[16:17], v[16:17], -v[31:32]
	v_add_f64 v[8:9], v[8:9], v[10:11]
	s_delay_alu instid0(VALU_DEP_2) | instskip(NEXT) | instid1(VALU_DEP_2)
	v_add_f64 v[10:11], v[22:23], v[16:17]
	v_add_f64 v[6:7], v[6:7], v[8:9]
	s_delay_alu instid0(VALU_DEP_2) | instskip(SKIP_1) | instid1(VALU_DEP_3)
	v_add_f64 v[8:9], v[10:11], -v[16:17]
	v_cmp_le_f64_e32 vcc_lo, 0.5, v[10:11]
	v_add_f64 v[6:7], v[12:13], v[6:7]
	s_delay_alu instid0(VALU_DEP_3) | instskip(SKIP_2) | instid1(VALU_DEP_3)
	v_add_f64 v[8:9], v[22:23], -v[8:9]
	v_cndmask_b32_e64 v31, 0, 0x3ff00000, vcc_lo
	v_add_co_ci_u32_e64 v20, s0, 0, v18, vcc_lo
	v_add_f64 v[6:7], v[6:7], v[8:9]
	s_delay_alu instid0(VALU_DEP_3) | instskip(NEXT) | instid1(VALU_DEP_1)
	v_add_f64 v[8:9], v[10:11], -v[30:31]
	v_add_f64 v[10:11], v[8:9], v[6:7]
	s_delay_alu instid0(VALU_DEP_1) | instskip(SKIP_1) | instid1(VALU_DEP_2)
	v_mul_f64 v[12:13], v[10:11], s[6:7]
	v_add_f64 v[8:9], v[10:11], -v[8:9]
	v_fma_f64 v[14:15], v[10:11], s[6:7], -v[12:13]
	s_delay_alu instid0(VALU_DEP_2) | instskip(NEXT) | instid1(VALU_DEP_2)
	v_add_f64 v[6:7], v[6:7], -v[8:9]
	v_fma_f64 v[8:9], v[10:11], s[8:9], v[14:15]
	s_delay_alu instid0(VALU_DEP_1) | instskip(NEXT) | instid1(VALU_DEP_1)
	v_fma_f64 v[6:7], v[6:7], s[6:7], v[8:9]
	v_add_f64 v[14:15], v[12:13], v[6:7]
	s_delay_alu instid0(VALU_DEP_1) | instskip(NEXT) | instid1(VALU_DEP_1)
	v_add_f64 v[8:9], v[14:15], -v[12:13]
	v_add_f64 v[16:17], v[6:7], -v[8:9]
	s_and_not1_saveexec_b32 s0, s1
	s_cbranch_execnz .LBB79_75
	s_branch .LBB79_76
.LBB79_74:
	s_and_not1_saveexec_b32 s0, s1
	s_cbranch_execz .LBB79_76
.LBB79_75:
	s_mov_b32 s6, 0x6dc9c883
	s_mov_b32 s7, 0x3fe45f30
	;; [unrolled: 1-line block ×3, first 2 shown]
	v_mul_f64 v[6:7], |v[2:3]|, s[6:7]
	s_mov_b32 s6, 0x54442d18
	s_mov_b32 s7, 0xbff921fb
	;; [unrolled: 1-line block ×3, first 2 shown]
	s_delay_alu instid0(VALU_DEP_1) | instskip(NEXT) | instid1(VALU_DEP_1)
	v_rndne_f64_e32 v[6:7], v[6:7]
	v_fma_f64 v[8:9], v[6:7], s[6:7], |v[2:3]|
	v_mul_f64 v[10:11], v[6:7], s[8:9]
	s_mov_b32 s6, 0x252049c0
	s_mov_b32 s7, 0xb97b839a
	v_cvt_i32_f64_e32 v20, v[6:7]
	s_delay_alu instid0(VALU_DEP_3) | instskip(NEXT) | instid1(VALU_DEP_3)
	v_fma_f64 v[16:17], v[6:7], s[8:9], v[8:9]
	v_add_f64 v[12:13], v[8:9], v[10:11]
	s_mov_b32 s9, 0x3c91a626
	s_delay_alu instid0(VALU_DEP_1) | instskip(NEXT) | instid1(VALU_DEP_3)
	v_add_f64 v[8:9], v[8:9], -v[12:13]
	v_add_f64 v[12:13], v[12:13], -v[16:17]
	s_delay_alu instid0(VALU_DEP_2) | instskip(SKIP_1) | instid1(VALU_DEP_2)
	v_add_f64 v[8:9], v[8:9], v[10:11]
	v_fma_f64 v[10:11], v[6:7], s[8:9], v[10:11]
	v_add_f64 v[8:9], v[12:13], v[8:9]
	s_delay_alu instid0(VALU_DEP_1) | instskip(NEXT) | instid1(VALU_DEP_1)
	v_add_f64 v[8:9], v[8:9], -v[10:11]
	v_fma_f64 v[8:9], v[6:7], s[6:7], v[8:9]
	s_delay_alu instid0(VALU_DEP_1) | instskip(NEXT) | instid1(VALU_DEP_1)
	v_add_f64 v[14:15], v[16:17], v[8:9]
	v_add_f64 v[10:11], v[14:15], -v[16:17]
	s_delay_alu instid0(VALU_DEP_1)
	v_add_f64 v[16:17], v[8:9], -v[10:11]
.LBB79_76:
	s_or_b32 exec_lo, exec_lo, s0
	v_mul_f64 v[6:7], v[0:1], v[0:1]
	v_mul_f64 v[8:9], v[14:15], v[14:15]
	s_mov_b32 s0, 0xb42fdfa7
	s_mov_b32 s6, 0xf9a43bb8
	;; [unrolled: 1-line block ×6, first 2 shown]
	s_delay_alu instid0(VALU_DEP_3) | instskip(NEXT) | instid1(VALU_DEP_4)
	v_mul_f64 v[33:34], v[4:5], 0.5
	v_mul_f64 v[48:49], v[16:17], 0.5
	s_delay_alu instid0(VALU_DEP_4) | instskip(NEXT) | instid1(VALU_DEP_4)
	v_fma_f64 v[10:11], v[6:7], s[6:7], s[0:1]
	v_fma_f64 v[12:13], v[8:9], s[6:7], s[0:1]
	v_mul_f64 v[23:24], v[6:7], 0.5
	s_mov_b32 s0, 0x9037ab78
	s_mov_b32 s6, 0x46cc5e42
	;; [unrolled: 1-line block ×4, first 2 shown]
	v_mul_f64 v[25:26], v[8:9], 0.5
	v_fma_f64 v[21:22], v[6:7], s[6:7], s[0:1]
	v_fma_f64 v[27:28], v[8:9], s[6:7], s[0:1]
	s_mov_b32 s6, 0x19e83e5c
	s_mov_b32 s7, 0xbf2a01a0
	;; [unrolled: 1-line block ×4, first 2 shown]
	v_mul_f64 v[35:36], v[0:1], -v[6:7]
	v_mul_f64 v[50:51], v[14:15], -v[8:9]
	v_fma_f64 v[10:11], v[6:7], v[10:11], s[8:9]
	v_fma_f64 v[12:13], v[8:9], v[12:13], s[8:9]
	v_add_f64 v[29:30], -v[23:24], 1.0
	v_add_f64 v[31:32], -v[25:26], 1.0
	v_fma_f64 v[21:22], v[6:7], v[21:22], s[0:1]
	v_fma_f64 v[27:28], v[8:9], v[27:28], s[0:1]
	s_mov_b32 s0, 0x19f4ec90
	s_mov_b32 s1, 0x3efa01a0
	v_fma_f64 v[10:11], v[6:7], v[10:11], s[6:7]
	v_fma_f64 v[12:13], v[8:9], v[12:13], s[6:7]
	s_mov_b32 s6, 0x11110bb3
	s_mov_b32 s7, 0x3f811111
	v_add_f64 v[37:38], -v[29:30], 1.0
	v_add_f64 v[52:53], -v[31:32], 1.0
	v_fma_f64 v[21:22], v[6:7], v[21:22], s[0:1]
	v_fma_f64 v[27:28], v[8:9], v[27:28], s[0:1]
	s_mov_b32 s0, 0x16c16967
	s_mov_b32 s1, 0xbf56c16c
	v_fma_f64 v[10:11], v[6:7], v[10:11], s[6:7]
	v_fma_f64 v[12:13], v[8:9], v[12:13], s[6:7]
	v_add_f64 v[23:24], v[37:38], -v[23:24]
	v_add_f64 v[25:26], v[52:53], -v[25:26]
	v_fma_f64 v[21:22], v[6:7], v[21:22], s[0:1]
	v_fma_f64 v[27:28], v[8:9], v[27:28], s[0:1]
	s_mov_b32 s0, 0x55555555
	s_mov_b32 s1, 0x3fa55555
	v_fma_f64 v[10:11], v[35:36], v[10:11], v[33:34]
	v_fma_f64 v[12:13], v[50:51], v[12:13], v[48:49]
	v_mul_f64 v[33:34], v[6:7], v[6:7]
	v_fma_f64 v[23:24], v[0:1], -v[4:5], v[23:24]
	v_fma_f64 v[25:26], v[14:15], -v[16:17], v[25:26]
	v_fma_f64 v[21:22], v[6:7], v[21:22], s[0:1]
	v_fma_f64 v[4:5], v[6:7], v[10:11], -v[4:5]
	v_mul_f64 v[6:7], v[8:9], v[8:9]
	v_fma_f64 v[10:11], v[8:9], v[27:28], s[0:1]
	v_fma_f64 v[8:9], v[8:9], v[12:13], -v[16:17]
	s_mov_b32 s1, 0xbfc55555
	v_fma_f64 v[12:13], v[33:34], v[21:22], v[23:24]
	v_fma_f64 v[4:5], v[35:36], s[0:1], v[4:5]
	s_delay_alu instid0(VALU_DEP_4) | instskip(NEXT) | instid1(VALU_DEP_4)
	v_fma_f64 v[6:7], v[6:7], v[10:11], v[25:26]
	v_fma_f64 v[8:9], v[50:51], s[0:1], v[8:9]
	v_cmp_class_f64_e64 s0, v[2:3], 0x1f8
	v_add_f64 v[10:11], v[29:30], v[12:13]
	v_add_f64 v[0:1], v[0:1], -v[4:5]
	v_add_f64 v[4:5], v[31:32], v[6:7]
	v_add_f64 v[6:7], v[14:15], -v[8:9]
	v_and_b32_e32 v8, 1, v19
	v_lshlrev_b32_e32 v9, 30, v19
	s_delay_alu instid0(VALU_DEP_2) | instskip(SKIP_1) | instid1(VALU_DEP_1)
	v_cmp_eq_u32_e32 vcc_lo, 0, v8
	v_and_b32_e32 v8, 1, v20
	v_cmp_eq_u32_e64 s1, 0, v8
	v_xor_b32_e32 v1, 0x80000000, v1
	v_lshlrev_b32_e32 v2, 30, v20
	v_cndmask_b32_e32 v0, v0, v10, vcc_lo
	s_delay_alu instid0(VALU_DEP_4)
	v_cndmask_b32_e64 v5, v5, v7, s1
	v_cndmask_b32_e64 v4, v4, v6, s1
	v_cndmask_b32_e32 v1, v1, v11, vcc_lo
	v_xor_b32_e32 v2, v2, v3
	v_and_b32_e32 v3, 0x80000000, v9
	v_cndmask_b32_e64 v0, 0, v0, s0
	s_delay_alu instid0(VALU_DEP_3) | instskip(NEXT) | instid1(VALU_DEP_3)
	v_and_b32_e32 v2, 0x80000000, v2
	v_xor_b32_e32 v1, v1, v3
	s_delay_alu instid0(VALU_DEP_2) | instskip(NEXT) | instid1(VALU_DEP_2)
	v_xor_b32_e32 v3, v5, v2
	v_cndmask_b32_e64 v1, 0x7ff80000, v1, s0
	v_cndmask_b32_e64 v2, 0, v4, s0
	s_delay_alu instid0(VALU_DEP_3)
	v_cndmask_b32_e64 v3, 0x7ff80000, v3, s0
.LBB79_77:
	s_or_b32 exec_lo, exec_lo, s2
                                        ; implicit-def: $vgpr4_vgpr5
	s_and_not1_saveexec_b32 s1, s4
	s_cbranch_execnz .LBB79_41
.LBB79_78:
	s_or_b32 exec_lo, exec_lo, s1
	s_setpc_b64 s[30:31]
.Lfunc_end79:
	.size	_ZNK2at6native12_GLOBAL__N_113power_functorIN3c107complexIdEEEclERKS5_S8_, .Lfunc_end79-_ZNK2at6native12_GLOBAL__N_113power_functorIN3c107complexIdEEEclERKS5_S8_
                                        ; -- End function
	.section	.AMDGPU.csdata,"",@progbits
; Function info:
; codeLenInByte = 25836
; NumSgprs: 34
; NumVgprs: 68
; ScratchSize: 0
; MemoryBound: 0
	.section	.text._ZN2at6native12_GLOBAL__N_125multi_tensor_apply_kernelINS1_28TensorListScalarListMetadataIN3c107complexIdEELi1EEENS1_25BinaryOpScalarListFunctorIS6_Li1ELi1ELi0EEEJNS1_13power_functorIS6_EEEEEvT_T0_DpT1_,"axG",@progbits,_ZN2at6native12_GLOBAL__N_125multi_tensor_apply_kernelINS1_28TensorListScalarListMetadataIN3c107complexIdEELi1EEENS1_25BinaryOpScalarListFunctorIS6_Li1ELi1ELi0EEEJNS1_13power_functorIS6_EEEEEvT_T0_DpT1_,comdat
	.globl	_ZN2at6native12_GLOBAL__N_125multi_tensor_apply_kernelINS1_28TensorListScalarListMetadataIN3c107complexIdEELi1EEENS1_25BinaryOpScalarListFunctorIS6_Li1ELi1ELi0EEEJNS1_13power_functorIS6_EEEEEvT_T0_DpT1_ ; -- Begin function _ZN2at6native12_GLOBAL__N_125multi_tensor_apply_kernelINS1_28TensorListScalarListMetadataIN3c107complexIdEELi1EEENS1_25BinaryOpScalarListFunctorIS6_Li1ELi1ELi0EEEJNS1_13power_functorIS6_EEEEEvT_T0_DpT1_
	.p2align	8
	.type	_ZN2at6native12_GLOBAL__N_125multi_tensor_apply_kernelINS1_28TensorListScalarListMetadataIN3c107complexIdEELi1EEENS1_25BinaryOpScalarListFunctorIS6_Li1ELi1ELi0EEEJNS1_13power_functorIS6_EEEEEvT_T0_DpT1_,@function
_ZN2at6native12_GLOBAL__N_125multi_tensor_apply_kernelINS1_28TensorListScalarListMetadataIN3c107complexIdEELi1EEENS1_25BinaryOpScalarListFunctorIS6_Li1ELi1ELi0EEEJNS1_13power_functorIS6_EEEEEvT_T0_DpT1_: ; @_ZN2at6native12_GLOBAL__N_125multi_tensor_apply_kernelINS1_28TensorListScalarListMetadataIN3c107complexIdEELi1EEENS1_25BinaryOpScalarListFunctorIS6_Li1ELi1ELi0EEEJNS1_13power_functorIS6_EEEEEvT_T0_DpT1_
; %bb.0:
	v_mov_b32_e32 v60, v0
	v_mov_b32_e32 v0, s15
	s_mov_b64 s[18:19], s[0:1]
	s_mul_hi_u32 s2, s15, 3
	s_mov_b32 s32, 0
	global_load_u8 v0, v0, s[0:1] offset:2304
	s_add_u32 s0, s18, s15
	s_mul_i32 s1, s15, 3
	s_addc_u32 s3, s19, 0
	s_add_u32 s0, s0, s1
	s_addc_u32 s1, s3, s2
	s_waitcnt vmcnt(0)
	v_lshlrev_b32_e32 v0, 3, v0
	s_delay_alu instid0(VALU_DEP_1) | instskip(SKIP_4) | instid1(VALU_DEP_1)
	v_readfirstlane_b32 s6, v0
	s_clause 0x1
	s_load_b32 s0, s[0:1], 0xa40
	s_load_b64 s[34:35], s[18:19], s6 offset:0x0
	v_add_co_u32 v0, s1, s18, v0
	v_add_co_ci_u32_e64 v1, null, s19, 0, s1
	s_load_b64 s[2:3], s[18:19], s6 offset:0x240
	s_delay_alu instid0(VALU_DEP_2) | instskip(NEXT) | instid1(VALU_DEP_2)
	v_readfirstlane_b32 s4, v0
	v_readfirstlane_b32 s5, v1
	s_load_b128 s[24:27], s[4:5], s6 offset:0x480
	s_waitcnt lgkmcnt(0)
	s_ashr_i32 s1, s0, 31
	s_delay_alu instid0(SALU_CYCLE_1) | instskip(NEXT) | instid1(SALU_CYCLE_1)
	s_lshl_b64 s[36:37], s[0:1], 20
	s_add_u32 s23, s34, s36
	s_addc_u32 s33, s35, s37
	s_lshl_b64 s[0:1], s[0:1], 16
	s_and_b32 s4, s23, 63
	s_sub_u32 s28, s2, s0
	s_subb_u32 s29, s3, s1
	s_and_b32 s0, s2, 3
	s_mov_b32 s1, 0
	s_or_b32 s0, s4, s0
	s_delay_alu instid0(SALU_CYCLE_1)
	s_cmp_eq_u64 s[0:1], 0
	s_cbranch_scc1 .LBB80_21
; %bb.1:
	v_cmp_lt_i64_e64 s0, s[28:29], 1
	s_delay_alu instid0(VALU_DEP_1)
	s_and_b32 vcc_lo, exec_lo, s0
	s_cbranch_vccnz .LBB80_20
; %bb.2:
	s_load_b32 s0, s[18:19], 0xf54
	v_cmp_gt_u64_e64 s1, 0x10000, s[28:29]
	v_dual_mov_b32 v62, 0 :: v_dual_lshlrev_b32 v61, 4, v60
	s_mov_b64 s[40:41], 0
	s_waitcnt lgkmcnt(0)
	s_and_b32 s0, s0, 0xffff
	s_delay_alu instid0(VALU_DEP_2)
	s_and_b32 s1, s1, exec_lo
	v_add_co_u32 v63, s3, v60, s0
	v_mad_u64_u32 v[68:69], null, s0, 48, v[61:62]
	s_cselect_b32 s39, s29, 0
	s_cselect_b32 s38, s28, 0x10000
	v_add_co_ci_u32_e64 v70, null, 0, 0, s3
	s_lshl_b32 s3, s0, 5
	s_lshl_b32 s1, s0, 1
	v_add_co_u32 v0, s3, s3, v61
	s_mul_i32 s2, s0, 3
	v_add_co_u32 v75, s1, s1, v60
	v_add_co_u32 v62, s2, s2, v60
	s_delay_alu instid0(VALU_DEP_1)
	v_add_co_ci_u32_e64 v71, null, 0, 0, s2
	v_add_co_ci_u32_e64 v72, null, 0, 0, s3
	v_lshlrev_b32_e32 v73, 4, v63
	v_or_b32_e32 v74, 8, v0
	v_or_b32_e32 v68, 8, v68
	v_add_co_ci_u32_e64 v76, null, 0, 0, s1
	s_lshl_b32 s42, s0, 2
	s_lshl_b32 s43, s0, 6
	s_branch .LBB80_4
.LBB80_3:                               ;   in Loop: Header=BB80_4 Depth=1
	s_or_b32 exec_lo, exec_lo, s21
	s_add_u32 s40, s40, s42
	s_addc_u32 s41, s41, 0
	s_delay_alu instid0(SALU_CYCLE_1) | instskip(SKIP_1) | instid1(VALU_DEP_1)
	v_cmp_lt_i64_e64 s0, s[40:41], s[28:29]
	v_cmp_gt_u64_e64 s1, 0x10000, s[40:41]
	s_and_b32 s0, s0, s1
	s_add_u32 s23, s23, s43
	s_addc_u32 s33, s33, 0
	s_and_b32 vcc_lo, exec_lo, s0
	s_cbranch_vccz .LBB80_20
.LBB80_4:                               ; =>This Inner Loop Header: Depth=1
	s_waitcnt vmcnt(0)
	v_add_co_u32 v0, s0, v60, s40
	s_delay_alu instid0(VALU_DEP_1) | instskip(SKIP_2) | instid1(VALU_DEP_2)
	v_add_co_ci_u32_e64 v1, null, 0, s41, s0
	v_mov_b32_e32 v46, 0
	v_mov_b32_e32 v47, 0
	;; [unrolled: 1-line block ×3, first 2 shown]
	s_delay_alu instid0(VALU_DEP_4) | instskip(NEXT) | instid1(VALU_DEP_3)
	v_cmp_gt_u64_e32 vcc_lo, s[38:39], v[0:1]
	v_dual_mov_b32 v0, v46 :: v_dual_mov_b32 v1, v47
	v_mov_b32_e32 v3, v47
	s_and_saveexec_b32 s0, vcc_lo
	s_cbranch_execz .LBB80_6
; %bb.5:                                ;   in Loop: Header=BB80_4 Depth=1
	v_add_co_u32 v0, s1, s23, v61
	s_delay_alu instid0(VALU_DEP_1)
	v_add_co_ci_u32_e64 v1, null, s33, 0, s1
	global_load_b128 v[0:3], v[0:1], off
.LBB80_6:                               ;   in Loop: Header=BB80_4 Depth=1
	s_or_b32 exec_lo, exec_lo, s0
	v_add_co_u32 v4, s0, v63, s40
	s_delay_alu instid0(VALU_DEP_1) | instskip(SKIP_1) | instid1(VALU_DEP_2)
	v_add_co_ci_u32_e64 v5, s0, s41, v70, s0
	v_dual_mov_b32 v44, v46 :: v_dual_mov_b32 v45, v47
	v_cmp_gt_u64_e64 s22, s[38:39], v[4:5]
	s_delay_alu instid0(VALU_DEP_1)
	s_and_saveexec_b32 s0, s22
	s_cbranch_execz .LBB80_8
; %bb.7:                                ;   in Loop: Header=BB80_4 Depth=1
	v_add_co_u32 v4, s1, s23, v73
	s_delay_alu instid0(VALU_DEP_1)
	v_add_co_ci_u32_e64 v5, null, s33, 0, s1
	global_load_b128 v[44:47], v[4:5], off
.LBB80_8:                               ;   in Loop: Header=BB80_4 Depth=1
	s_or_b32 exec_lo, exec_lo, s0
	v_add_co_u32 v4, s0, v75, s40
	s_delay_alu instid0(VALU_DEP_1) | instskip(SKIP_2) | instid1(VALU_DEP_3)
	v_add_co_ci_u32_e64 v5, s0, s41, v76, s0
	v_mov_b32_e32 v42, 0
	v_mov_b32_e32 v43, 0
	v_cmp_gt_u64_e64 s21, s[38:39], v[4:5]
	s_delay_alu instid0(VALU_DEP_2) | instskip(SKIP_1) | instid1(VALU_DEP_3)
	v_dual_mov_b32 v59, v43 :: v_dual_mov_b32 v58, v42
	v_dual_mov_b32 v57, v43 :: v_dual_mov_b32 v56, v42
	s_and_saveexec_b32 s1, s21
	s_cbranch_execz .LBB80_10
; %bb.9:                                ;   in Loop: Header=BB80_4 Depth=1
	v_add_co_u32 v4, s0, s23, v74
	s_delay_alu instid0(VALU_DEP_1)
	v_add_co_ci_u32_e64 v5, s0, s33, v72, s0
	global_load_b128 v[56:59], v[4:5], off offset:-8
.LBB80_10:                              ;   in Loop: Header=BB80_4 Depth=1
	s_or_b32 exec_lo, exec_lo, s1
	v_add_co_u32 v4, s0, v62, s40
	s_delay_alu instid0(VALU_DEP_1) | instskip(SKIP_1) | instid1(VALU_DEP_2)
	v_add_co_ci_u32_e64 v5, s0, s41, v71, s0
	v_dual_mov_b32 v40, v42 :: v_dual_mov_b32 v41, v43
	v_cmp_gt_u64_e64 s20, s[38:39], v[4:5]
	s_delay_alu instid0(VALU_DEP_1)
	s_and_saveexec_b32 s1, s20
	s_cbranch_execnz .LBB80_15
; %bb.11:                               ;   in Loop: Header=BB80_4 Depth=1
	s_or_b32 exec_lo, exec_lo, s1
	s_and_saveexec_b32 s44, vcc_lo
	s_cbranch_execnz .LBB80_16
.LBB80_12:                              ;   in Loop: Header=BB80_4 Depth=1
	s_or_b32 exec_lo, exec_lo, s44
	s_and_saveexec_b32 s44, s22
	s_cbranch_execnz .LBB80_17
.LBB80_13:                              ;   in Loop: Header=BB80_4 Depth=1
	s_or_b32 exec_lo, exec_lo, s44
	s_and_saveexec_b32 s22, s21
	s_cbranch_execnz .LBB80_18
.LBB80_14:                              ;   in Loop: Header=BB80_4 Depth=1
	s_or_b32 exec_lo, exec_lo, s22
	s_and_saveexec_b32 s21, s20
	s_cbranch_execz .LBB80_3
	s_branch .LBB80_19
.LBB80_15:                              ;   in Loop: Header=BB80_4 Depth=1
	v_add_co_u32 v4, s0, s23, v68
	s_delay_alu instid0(VALU_DEP_1)
	v_add_co_ci_u32_e64 v5, s0, s33, v69, s0
	global_load_b128 v[40:43], v[4:5], off offset:-8
	s_or_b32 exec_lo, exec_lo, s1
	s_and_saveexec_b32 s44, vcc_lo
	s_cbranch_execz .LBB80_12
.LBB80_16:                              ;   in Loop: Header=BB80_4 Depth=1
	v_dual_mov_b32 v4, s24 :: v_dual_mov_b32 v5, s25
	v_dual_mov_b32 v6, s26 :: v_dual_mov_b32 v7, s27
	s_getpc_b64 s[0:1]
	s_add_u32 s0, s0, _ZNK2at6native12_GLOBAL__N_113power_functorIN3c107complexIdEEEclERKS5_S8_@rel32@lo+4
	s_addc_u32 s1, s1, _ZNK2at6native12_GLOBAL__N_113power_functorIN3c107complexIdEEEclERKS5_S8_@rel32@hi+12
	s_delay_alu instid0(SALU_CYCLE_1) | instskip(SKIP_1) | instid1(VALU_DEP_1)
	s_swappc_b64 s[30:31], s[0:1]
	v_add_co_u32 v4, s0, s23, v61
	v_add_co_ci_u32_e64 v5, null, s33, 0, s0
	global_store_b128 v[4:5], v[0:3], off
	s_or_b32 exec_lo, exec_lo, s44
	s_and_saveexec_b32 s44, s22
	s_cbranch_execz .LBB80_13
.LBB80_17:                              ;   in Loop: Header=BB80_4 Depth=1
	s_waitcnt vmcnt(0)
	v_dual_mov_b32 v0, v44 :: v_dual_mov_b32 v1, v45
	v_dual_mov_b32 v2, v46 :: v_dual_mov_b32 v3, v47
	;; [unrolled: 1-line block ×4, first 2 shown]
	s_getpc_b64 s[0:1]
	s_add_u32 s0, s0, _ZNK2at6native12_GLOBAL__N_113power_functorIN3c107complexIdEEEclERKS5_S8_@rel32@lo+4
	s_addc_u32 s1, s1, _ZNK2at6native12_GLOBAL__N_113power_functorIN3c107complexIdEEEclERKS5_S8_@rel32@hi+12
	s_delay_alu instid0(SALU_CYCLE_1) | instskip(SKIP_1) | instid1(VALU_DEP_1)
	s_swappc_b64 s[30:31], s[0:1]
	v_add_co_u32 v4, s0, s23, v73
	v_add_co_ci_u32_e64 v5, null, s33, 0, s0
	global_store_b128 v[4:5], v[0:3], off
	s_or_b32 exec_lo, exec_lo, s44
	s_and_saveexec_b32 s22, s21
	s_cbranch_execz .LBB80_14
.LBB80_18:                              ;   in Loop: Header=BB80_4 Depth=1
	s_waitcnt vmcnt(0)
	v_dual_mov_b32 v0, v56 :: v_dual_mov_b32 v1, v57
	v_dual_mov_b32 v2, v58 :: v_dual_mov_b32 v3, v59
	;; [unrolled: 1-line block ×4, first 2 shown]
	s_getpc_b64 s[0:1]
	s_add_u32 s0, s0, _ZNK2at6native12_GLOBAL__N_113power_functorIN3c107complexIdEEEclERKS5_S8_@rel32@lo+4
	s_addc_u32 s1, s1, _ZNK2at6native12_GLOBAL__N_113power_functorIN3c107complexIdEEEclERKS5_S8_@rel32@hi+12
	s_delay_alu instid0(SALU_CYCLE_1)
	s_swappc_b64 s[30:31], s[0:1]
	v_add_co_u32 v4, vcc_lo, s23, v74
	v_add_co_ci_u32_e32 v5, vcc_lo, s33, v72, vcc_lo
	global_store_b128 v[4:5], v[0:3], off offset:-8
	s_or_b32 exec_lo, exec_lo, s22
	s_and_saveexec_b32 s21, s20
	s_cbranch_execz .LBB80_3
.LBB80_19:                              ;   in Loop: Header=BB80_4 Depth=1
	s_waitcnt vmcnt(0)
	v_dual_mov_b32 v0, v40 :: v_dual_mov_b32 v1, v41
	v_dual_mov_b32 v2, v42 :: v_dual_mov_b32 v3, v43
	;; [unrolled: 1-line block ×4, first 2 shown]
	s_getpc_b64 s[0:1]
	s_add_u32 s0, s0, _ZNK2at6native12_GLOBAL__N_113power_functorIN3c107complexIdEEEclERKS5_S8_@rel32@lo+4
	s_addc_u32 s1, s1, _ZNK2at6native12_GLOBAL__N_113power_functorIN3c107complexIdEEEclERKS5_S8_@rel32@hi+12
	s_delay_alu instid0(SALU_CYCLE_1)
	s_swappc_b64 s[30:31], s[0:1]
	v_add_co_u32 v4, vcc_lo, s23, v68
	v_add_co_ci_u32_e32 v5, vcc_lo, s33, v69, vcc_lo
	global_store_b128 v[4:5], v[0:3], off offset:-8
	s_branch .LBB80_3
.LBB80_20:
	s_cbranch_execz .LBB80_22
	s_branch .LBB80_25
.LBB80_21:
.LBB80_22:
	v_dual_mov_b32 v69, 0 :: v_dual_lshlrev_b32 v68, 2, v60
	s_mov_b32 s20, 0
	s_mov_b32 s0, exec_lo
	s_delay_alu instid0(VALU_DEP_1)
	v_cmpx_gt_i64_e64 s[28:29], v[68:69]
	s_cbranch_execz .LBB80_25
; %bb.23:
	s_load_b32 s0, s[18:19], 0xf54
	s_waitcnt vmcnt(0)
	v_lshlrev_b32_e32 v0, 6, v60
	s_waitcnt lgkmcnt(0)
	s_and_b32 s0, s0, 0xffff
	s_delay_alu instid0(SALU_CYCLE_1)
	s_lshl_b32 s18, s0, 2
	s_add_u32 s1, s34, s36
	s_addc_u32 s2, s35, s37
	v_add_co_u32 v70, s1, s1, v0
	v_add_lshl_u32 v68, v60, s0, 2
	v_add_co_ci_u32_e64 v71, null, s2, 0, s1
	s_lshl_b32 s19, s0, 6
.LBB80_24:                              ; =>This Inner Loop Header: Depth=1
	s_clause 0x3
	global_load_b128 v[0:3], v[70:71], off
	global_load_b128 v[40:43], v[70:71], off offset:16
	global_load_b128 v[44:47], v[70:71], off offset:48
	;; [unrolled: 1-line block ×3, first 2 shown]
	v_dual_mov_b32 v4, s24 :: v_dual_mov_b32 v5, s25
	v_dual_mov_b32 v6, s26 :: v_dual_mov_b32 v7, s27
	s_getpc_b64 s[22:23]
	s_add_u32 s22, s22, _ZNK2at6native12_GLOBAL__N_113power_functorIN3c107complexIdEEEclERKS5_S8_@rel32@lo+4
	s_addc_u32 s23, s23, _ZNK2at6native12_GLOBAL__N_113power_functorIN3c107complexIdEEEclERKS5_S8_@rel32@hi+12
	s_delay_alu instid0(SALU_CYCLE_1)
	s_swappc_b64 s[30:31], s[22:23]
	v_dual_mov_b32 v60, v0 :: v_dual_mov_b32 v61, v1
	v_dual_mov_b32 v62, v2 :: v_dual_mov_b32 v63, v3
	v_dual_mov_b32 v0, v40 :: v_dual_mov_b32 v1, v41
	v_dual_mov_b32 v2, v42 :: v_dual_mov_b32 v3, v43
	v_dual_mov_b32 v4, s24 :: v_dual_mov_b32 v5, s25
	v_dual_mov_b32 v6, s26 :: v_dual_mov_b32 v7, s27
	s_swappc_b64 s[30:31], s[22:23]
	v_dual_mov_b32 v40, v0 :: v_dual_mov_b32 v41, v1
	v_dual_mov_b32 v42, v2 :: v_dual_mov_b32 v43, v3
	v_dual_mov_b32 v0, v56 :: v_dual_mov_b32 v1, v57
	v_dual_mov_b32 v2, v58 :: v_dual_mov_b32 v3, v59
	v_dual_mov_b32 v4, s24 :: v_dual_mov_b32 v5, s25
	v_dual_mov_b32 v6, s26 :: v_dual_mov_b32 v7, s27
	;; [unrolled: 7-line block ×3, first 2 shown]
	s_swappc_b64 s[30:31], s[22:23]
	v_cmp_le_i64_e32 vcc_lo, s[28:29], v[68:69]
	v_cmp_lt_u64_e64 s0, 0xffff, v[68:69]
	v_add_co_u32 v68, s1, v68, s18
	s_delay_alu instid0(VALU_DEP_1)
	v_add_co_ci_u32_e64 v69, s1, 0, v69, s1
	s_clause 0x3
	global_store_b128 v[70:71], v[60:63], off
	global_store_b128 v[70:71], v[40:43], off offset:16
	global_store_b128 v[70:71], v[56:59], off offset:32
	global_store_b128 v[70:71], v[0:3], off offset:48
	v_add_co_u32 v70, s1, v70, s19
	s_or_b32 s0, vcc_lo, s0
	v_add_co_ci_u32_e64 v71, vcc_lo, 0, v71, s1
	s_and_b32 s0, exec_lo, s0
	s_delay_alu instid0(SALU_CYCLE_1) | instskip(NEXT) | instid1(SALU_CYCLE_1)
	s_or_b32 s20, s0, s20
	s_and_not1_b32 exec_lo, exec_lo, s20
	s_cbranch_execnz .LBB80_24
.LBB80_25:
	s_endpgm
	.section	.rodata,"a",@progbits
	.p2align	6, 0x0
	.amdhsa_kernel _ZN2at6native12_GLOBAL__N_125multi_tensor_apply_kernelINS1_28TensorListScalarListMetadataIN3c107complexIdEELi1EEENS1_25BinaryOpScalarListFunctorIS6_Li1ELi1ELi0EEEJNS1_13power_functorIS6_EEEEEvT_T0_DpT1_
		.amdhsa_group_segment_fixed_size 0
		.amdhsa_private_segment_fixed_size 0
		.amdhsa_kernarg_size 4168
		.amdhsa_user_sgpr_count 15
		.amdhsa_user_sgpr_dispatch_ptr 0
		.amdhsa_user_sgpr_queue_ptr 0
		.amdhsa_user_sgpr_kernarg_segment_ptr 1
		.amdhsa_user_sgpr_dispatch_id 0
		.amdhsa_user_sgpr_private_segment_size 0
		.amdhsa_wavefront_size32 1
		.amdhsa_uses_dynamic_stack 0
		.amdhsa_enable_private_segment 0
		.amdhsa_system_sgpr_workgroup_id_x 1
		.amdhsa_system_sgpr_workgroup_id_y 0
		.amdhsa_system_sgpr_workgroup_id_z 0
		.amdhsa_system_sgpr_workgroup_info 0
		.amdhsa_system_vgpr_workitem_id 0
		.amdhsa_next_free_vgpr 77
		.amdhsa_next_free_sgpr 45
		.amdhsa_reserve_vcc 1
		.amdhsa_float_round_mode_32 0
		.amdhsa_float_round_mode_16_64 0
		.amdhsa_float_denorm_mode_32 3
		.amdhsa_float_denorm_mode_16_64 3
		.amdhsa_dx10_clamp 1
		.amdhsa_ieee_mode 1
		.amdhsa_fp16_overflow 0
		.amdhsa_workgroup_processor_mode 1
		.amdhsa_memory_ordered 1
		.amdhsa_forward_progress 0
		.amdhsa_shared_vgpr_count 0
		.amdhsa_exception_fp_ieee_invalid_op 0
		.amdhsa_exception_fp_denorm_src 0
		.amdhsa_exception_fp_ieee_div_zero 0
		.amdhsa_exception_fp_ieee_overflow 0
		.amdhsa_exception_fp_ieee_underflow 0
		.amdhsa_exception_fp_ieee_inexact 0
		.amdhsa_exception_int_div_zero 0
	.end_amdhsa_kernel
	.section	.text._ZN2at6native12_GLOBAL__N_125multi_tensor_apply_kernelINS1_28TensorListScalarListMetadataIN3c107complexIdEELi1EEENS1_25BinaryOpScalarListFunctorIS6_Li1ELi1ELi0EEEJNS1_13power_functorIS6_EEEEEvT_T0_DpT1_,"axG",@progbits,_ZN2at6native12_GLOBAL__N_125multi_tensor_apply_kernelINS1_28TensorListScalarListMetadataIN3c107complexIdEELi1EEENS1_25BinaryOpScalarListFunctorIS6_Li1ELi1ELi0EEEJNS1_13power_functorIS6_EEEEEvT_T0_DpT1_,comdat
.Lfunc_end80:
	.size	_ZN2at6native12_GLOBAL__N_125multi_tensor_apply_kernelINS1_28TensorListScalarListMetadataIN3c107complexIdEELi1EEENS1_25BinaryOpScalarListFunctorIS6_Li1ELi1ELi0EEEJNS1_13power_functorIS6_EEEEEvT_T0_DpT1_, .Lfunc_end80-_ZN2at6native12_GLOBAL__N_125multi_tensor_apply_kernelINS1_28TensorListScalarListMetadataIN3c107complexIdEELi1EEENS1_25BinaryOpScalarListFunctorIS6_Li1ELi1ELi0EEEJNS1_13power_functorIS6_EEEEEvT_T0_DpT1_
                                        ; -- End function
	.section	.AMDGPU.csdata,"",@progbits
; Kernel info:
; codeLenInByte = 1684
; NumSgprs: 47
; NumVgprs: 77
; ScratchSize: 0
; MemoryBound: 1
; FloatMode: 240
; IeeeMode: 1
; LDSByteSize: 0 bytes/workgroup (compile time only)
; SGPRBlocks: 5
; VGPRBlocks: 9
; NumSGPRsForWavesPerEU: 47
; NumVGPRsForWavesPerEU: 77
; Occupancy: 16
; WaveLimiterHint : 0
; COMPUTE_PGM_RSRC2:SCRATCH_EN: 0
; COMPUTE_PGM_RSRC2:USER_SGPR: 15
; COMPUTE_PGM_RSRC2:TRAP_HANDLER: 0
; COMPUTE_PGM_RSRC2:TGID_X_EN: 1
; COMPUTE_PGM_RSRC2:TGID_Y_EN: 0
; COMPUTE_PGM_RSRC2:TGID_Z_EN: 0
; COMPUTE_PGM_RSRC2:TIDIG_COMP_CNT: 0
	.text
	.p2align	2                               ; -- Begin function _ZNK2at6native12_GLOBAL__N_113power_functorIN3c107complexIfEEEclERKS5_S8_
	.type	_ZNK2at6native12_GLOBAL__N_113power_functorIN3c107complexIfEEEclERKS5_S8_,@function
_ZNK2at6native12_GLOBAL__N_113power_functorIN3c107complexIfEEEclERKS5_S8_: ; @_ZNK2at6native12_GLOBAL__N_113power_functorIN3c107complexIfEEEclERKS5_S8_
; %bb.0:
                                        ; implicit-def: $vgpr5
                                        ; implicit-def: $vgpr4
	s_waitcnt vmcnt(0) expcnt(0) lgkmcnt(0)
	s_mov_b32 s0, exec_lo
	v_cmpx_o_f32_e32 v0, v1
	s_xor_b32 s7, exec_lo, s0
	s_cbranch_execz .LBB81_28
; %bb.1:
	v_cmp_lt_f32_e64 s0, |v0|, |v1|
                                        ; implicit-def: $vgpr5
                                        ; implicit-def: $vgpr4
	s_mov_b32 s1, exec_lo
	s_delay_alu instid0(VALU_DEP_1) | instskip(NEXT) | instid1(VALU_DEP_1)
	v_cndmask_b32_e64 v6, |v1|, |v0|, s0
	v_cmpx_nlt_f32_e32 0x77f684df, v6
	s_xor_b32 s8, exec_lo, s1
	s_cbranch_execz .LBB81_25
; %bb.2:
	v_and_b32_e32 v4, 0x7fffffff, v1
                                        ; implicit-def: $vgpr5
	s_mov_b32 s1, exec_lo
	s_delay_alu instid0(VALU_DEP_1) | instskip(NEXT) | instid1(VALU_DEP_1)
	v_cndmask_b32_e64 v7, |v0|, v4, s0
                                        ; implicit-def: $vgpr4
	v_cmpx_neq_f32_e32 1.0, v7
	s_xor_b32 s9, exec_lo, s1
	s_cbranch_execz .LBB81_18
; %bb.3:
	v_dual_max_f32 v4, v6, v6 :: v_dual_max_f32 v5, v7, v7
	s_delay_alu instid0(VALU_DEP_1) | instskip(SKIP_1) | instid1(VALU_DEP_2)
	v_min_f32_e32 v8, v5, v4
	v_max_f32_e32 v4, v5, v4
                                        ; implicit-def: $vgpr5
	v_cmp_ngt_f32_e32 vcc_lo, 0x358637bd, v8
	s_delay_alu instid0(VALU_DEP_2) | instskip(NEXT) | instid1(VALU_DEP_1)
	v_cmp_nlt_f32_e64 s1, 0x49742400, v4
                                        ; implicit-def: $vgpr4
	s_and_b32 s1, s1, vcc_lo
	s_delay_alu instid0(SALU_CYCLE_1) | instskip(NEXT) | instid1(SALU_CYCLE_1)
	s_and_saveexec_b32 s2, s1
	s_xor_b32 s10, exec_lo, s2
	s_cbranch_execz .LBB81_15
; %bb.4:
                                        ; implicit-def: $vgpr5
                                        ; implicit-def: $vgpr4
	s_mov_b32 s1, exec_lo
	v_cmpx_le_f32_e32 1.0, v7
	s_xor_b32 s2, exec_lo, s1
	s_cbranch_execz .LBB81_6
; %bb.5:
	v_add_f32_e32 v4, -1.0, v7
	v_add_f32_e32 v5, 1.0, v7
	s_mov_b32 s1, 0x3e9b6dac
	v_cmp_class_f32_e64 s3, v0, 0x204
	s_delay_alu instid0(VALU_DEP_2) | instskip(NEXT) | instid1(VALU_DEP_1)
	v_mul_f32_e32 v7, v4, v5
	v_fmac_f32_e32 v7, v6, v6
	s_delay_alu instid0(VALU_DEP_1) | instskip(NEXT) | instid1(VALU_DEP_1)
	v_add_f32_e32 v6, 1.0, v7
	v_cvt_f64_f32_e32 v[4:5], v6
	s_delay_alu instid0(VALU_DEP_1) | instskip(SKIP_1) | instid1(VALU_DEP_1)
	v_frexp_exp_i32_f64_e32 v4, v[4:5]
	v_frexp_mant_f32_e32 v5, v6
	v_cmp_gt_f32_e32 vcc_lo, 0x3f2aaaab, v5
	v_add_f32_e32 v5, -1.0, v6
	s_delay_alu instid0(VALU_DEP_1) | instskip(SKIP_3) | instid1(VALU_DEP_2)
	v_sub_f32_e32 v9, v5, v6
	v_sub_f32_e32 v5, v7, v5
	v_subrev_co_ci_u32_e32 v4, vcc_lo, 0, v4, vcc_lo
	v_cmp_eq_f32_e32 vcc_lo, 0x7f800000, v7
	v_sub_nc_u32_e32 v8, 0, v4
	v_cvt_f32_i32_e32 v4, v4
	s_delay_alu instid0(VALU_DEP_2) | instskip(NEXT) | instid1(VALU_DEP_1)
	v_ldexp_f32 v6, v6, v8
	v_dual_add_f32 v10, 1.0, v6 :: v_dual_add_f32 v9, 1.0, v9
	s_delay_alu instid0(VALU_DEP_1) | instskip(NEXT) | instid1(VALU_DEP_2)
	v_add_f32_e32 v5, v5, v9
	v_add_f32_e32 v9, -1.0, v10
	s_delay_alu instid0(VALU_DEP_2) | instskip(NEXT) | instid1(VALU_DEP_2)
	v_ldexp_f32 v5, v5, v8
	v_dual_add_f32 v8, -1.0, v6 :: v_dual_sub_f32 v9, v6, v9
	s_delay_alu instid0(VALU_DEP_1) | instskip(NEXT) | instid1(VALU_DEP_1)
	v_add_f32_e32 v11, 1.0, v8
	v_dual_add_f32 v9, v5, v9 :: v_dual_sub_f32 v6, v6, v11
	s_delay_alu instid0(VALU_DEP_1) | instskip(NEXT) | instid1(VALU_DEP_2)
	v_add_f32_e32 v11, v10, v9
	v_add_f32_e32 v5, v5, v6
	s_delay_alu instid0(VALU_DEP_2) | instskip(SKIP_1) | instid1(VALU_DEP_1)
	v_rcp_f32_e32 v6, v11
	v_sub_f32_e32 v10, v11, v10
	v_dual_add_f32 v12, v8, v5 :: v_dual_sub_f32 v9, v9, v10
	s_delay_alu instid0(VALU_DEP_1) | instskip(SKIP_2) | instid1(VALU_DEP_1)
	v_sub_f32_e32 v8, v12, v8
	s_waitcnt_depctr 0xfff
	v_mul_f32_e32 v13, v12, v6
	v_mul_f32_e32 v14, v11, v13
	s_delay_alu instid0(VALU_DEP_1) | instskip(NEXT) | instid1(VALU_DEP_1)
	v_fma_f32 v10, v13, v11, -v14
	v_fmac_f32_e32 v10, v13, v9
	s_delay_alu instid0(VALU_DEP_1) | instskip(NEXT) | instid1(VALU_DEP_1)
	v_add_f32_e32 v15, v14, v10
	v_sub_f32_e32 v16, v12, v15
	s_delay_alu instid0(VALU_DEP_1) | instskip(NEXT) | instid1(VALU_DEP_1)
	v_sub_f32_e32 v12, v12, v16
	v_dual_sub_f32 v12, v12, v15 :: v_dual_sub_f32 v5, v5, v8
	v_sub_f32_e32 v8, v15, v14
	s_delay_alu instid0(VALU_DEP_1) | instskip(NEXT) | instid1(VALU_DEP_1)
	v_dual_sub_f32 v8, v8, v10 :: v_dual_add_f32 v5, v5, v12
	v_add_f32_e32 v5, v8, v5
	s_delay_alu instid0(VALU_DEP_1) | instskip(NEXT) | instid1(VALU_DEP_1)
	v_add_f32_e32 v8, v16, v5
	v_mul_f32_e32 v10, v6, v8
	s_delay_alu instid0(VALU_DEP_1) | instskip(NEXT) | instid1(VALU_DEP_1)
	v_dual_sub_f32 v15, v16, v8 :: v_dual_mul_f32 v12, v11, v10
	v_fma_f32 v11, v10, v11, -v12
	s_delay_alu instid0(VALU_DEP_1) | instskip(NEXT) | instid1(VALU_DEP_1)
	v_fmac_f32_e32 v11, v10, v9
	v_add_f32_e32 v9, v12, v11
	s_delay_alu instid0(VALU_DEP_1) | instskip(SKIP_1) | instid1(VALU_DEP_2)
	v_sub_f32_e32 v14, v8, v9
	v_sub_f32_e32 v12, v9, v12
	v_dual_sub_f32 v8, v8, v14 :: v_dual_add_f32 v5, v5, v15
	s_delay_alu instid0(VALU_DEP_1) | instskip(NEXT) | instid1(VALU_DEP_1)
	v_sub_f32_e32 v8, v8, v9
	v_add_f32_e32 v5, v5, v8
	s_delay_alu instid0(VALU_DEP_4) | instskip(SKIP_1) | instid1(VALU_DEP_2)
	v_dual_add_f32 v8, v13, v10 :: v_dual_sub_f32 v9, v12, v11
	v_max_f32_e64 v11, |v1|, |v1|
	v_add_f32_e32 v5, v9, v5
	s_delay_alu instid0(VALU_DEP_3) | instskip(NEXT) | instid1(VALU_DEP_2)
	v_sub_f32_e32 v9, v8, v13
	v_dual_add_f32 v5, v14, v5 :: v_dual_mul_f32 v14, 0x3f317218, v4
	s_delay_alu instid0(VALU_DEP_1) | instskip(NEXT) | instid1(VALU_DEP_2)
	v_mul_f32_e32 v5, v6, v5
	v_fma_f32 v15, 0x3f317218, v4, -v14
	s_delay_alu instid0(VALU_DEP_1) | instskip(NEXT) | instid1(VALU_DEP_1)
	v_dual_sub_f32 v9, v10, v9 :: v_dual_fmamk_f32 v4, v4, 0xb102e308, v15
	v_add_f32_e32 v5, v9, v5
	s_delay_alu instid0(VALU_DEP_1) | instskip(NEXT) | instid1(VALU_DEP_1)
	v_add_f32_e32 v6, v8, v5
	v_mul_f32_e32 v9, v6, v6
	s_delay_alu instid0(VALU_DEP_1) | instskip(SKIP_2) | instid1(VALU_DEP_2)
	v_fmaak_f32 v10, s1, v9, 0x3ecc95a3
	v_mul_f32_e32 v12, v6, v9
	s_mov_b32 s1, 0x3b2d2a58
	v_fmaak_f32 v9, v9, v10, 0x3f2aaada
	v_max_f32_e64 v10, |v0|, |v0|
	v_ldexp_f32 v13, v6, 1
	s_delay_alu instid0(VALU_DEP_3) | instskip(NEXT) | instid1(VALU_DEP_3)
	v_dual_sub_f32 v6, v6, v8 :: v_dual_mul_f32 v9, v12, v9
	v_max_f32_e32 v12, v10, v11
	s_delay_alu instid0(VALU_DEP_2) | instskip(NEXT) | instid1(VALU_DEP_3)
	v_dual_min_f32 v10, v10, v11 :: v_dual_sub_f32 v5, v5, v6
	v_add_f32_e32 v8, v13, v9
	s_delay_alu instid0(VALU_DEP_3) | instskip(SKIP_1) | instid1(VALU_DEP_4)
	v_frexp_mant_f32_e32 v11, v12
	v_frexp_exp_i32_f32_e32 v12, v12
	v_ldexp_f32 v5, v5, 1
	s_delay_alu instid0(VALU_DEP_4) | instskip(NEXT) | instid1(VALU_DEP_4)
	v_sub_f32_e32 v6, v8, v13
	v_rcp_f32_e32 v11, v11
	v_frexp_exp_i32_f32_e32 v13, v10
	s_delay_alu instid0(VALU_DEP_2) | instskip(SKIP_1) | instid1(VALU_DEP_3)
	v_sub_f32_e32 v6, v9, v6
	v_frexp_mant_f32_e32 v9, v10
	v_sub_nc_u32_e32 v10, v13, v12
	s_delay_alu instid0(VALU_DEP_3) | instskip(SKIP_3) | instid1(VALU_DEP_2)
	v_add_f32_e32 v5, v5, v6
	s_waitcnt_depctr 0xfff
	v_dual_mul_f32 v6, v9, v11 :: v_dual_add_f32 v9, v14, v4
	v_add_f32_e32 v11, v8, v5
	v_ldexp_f32 v6, v6, v10
	s_delay_alu instid0(VALU_DEP_3) | instskip(NEXT) | instid1(VALU_DEP_3)
	v_sub_f32_e32 v14, v9, v14
	v_sub_f32_e32 v8, v11, v8
	s_delay_alu instid0(VALU_DEP_3) | instskip(SKIP_1) | instid1(VALU_DEP_3)
	v_mul_f32_e32 v12, v6, v6
	v_add_f32_e32 v10, v9, v11
	v_dual_sub_f32 v4, v4, v14 :: v_dual_sub_f32 v5, v5, v8
	s_delay_alu instid0(VALU_DEP_3) | instskip(NEXT) | instid1(VALU_DEP_3)
	v_fmaak_f32 v15, s1, v12, 0xbc7a590c
	v_sub_f32_e32 v13, v10, v9
	v_cmp_neq_f32_e64 s1, -1.0, v7
	s_delay_alu instid0(VALU_DEP_2) | instskip(SKIP_2) | instid1(VALU_DEP_3)
	v_sub_f32_e32 v16, v10, v13
	v_sub_f32_e32 v8, v11, v13
	v_add_f32_e32 v13, v4, v5
	v_sub_f32_e32 v9, v9, v16
	s_delay_alu instid0(VALU_DEP_1) | instskip(NEXT) | instid1(VALU_DEP_1)
	v_add_f32_e32 v8, v8, v9
	v_dual_fmaak_f32 v15, v12, v15, 0x3d29fb3f :: v_dual_add_f32 v8, v13, v8
	s_delay_alu instid0(VALU_DEP_1) | instskip(NEXT) | instid1(VALU_DEP_1)
	v_dual_fmaak_f32 v11, v12, v15, 0xbd97d4d7 :: v_dual_add_f32 v14, v10, v8
	v_dual_fmaak_f32 v9, v12, v11, 0x3dd931b2 :: v_dual_sub_f32 v10, v14, v10
	v_sub_f32_e32 v11, v13, v4
	s_delay_alu instid0(VALU_DEP_1) | instskip(NEXT) | instid1(VALU_DEP_1)
	v_sub_f32_e32 v13, v13, v11
	v_dual_sub_f32 v5, v5, v11 :: v_dual_sub_f32 v4, v4, v13
	s_delay_alu instid0(VALU_DEP_1) | instskip(SKIP_1) | instid1(VALU_DEP_1)
	v_dual_add_f32 v4, v5, v4 :: v_dual_fmaak_f32 v9, v12, v9, 0xbe1160e6
	v_sub_f32_e32 v5, v8, v10
	v_add_f32_e32 v4, v4, v5
	s_delay_alu instid0(VALU_DEP_1) | instskip(NEXT) | instid1(VALU_DEP_1)
	v_dual_fmaak_f32 v9, v12, v9, 0x3e4cb8bf :: v_dual_add_f32 v4, v14, v4
	v_fmaak_f32 v9, v12, v9, 0xbeaaaa62
	s_delay_alu instid0(VALU_DEP_1) | instskip(NEXT) | instid1(VALU_DEP_1)
	v_mul_f32_e32 v8, v12, v9
	v_fmac_f32_e32 v6, v6, v8
	s_delay_alu instid0(VALU_DEP_1) | instskip(NEXT) | instid1(VALU_DEP_1)
	v_sub_f32_e32 v5, 0x3fc90fdb, v6
	v_cndmask_b32_e64 v5, v6, v5, s0
	v_cndmask_b32_e32 v4, v4, v7, vcc_lo
	v_cmp_gt_i32_e32 vcc_lo, 0, v0
	v_mov_b32_e32 v6, 0x4016cbe4
	s_delay_alu instid0(VALU_DEP_4) | instskip(SKIP_4) | instid1(VALU_DEP_2)
	v_sub_f32_e32 v9, 0x40490fdb, v5
	v_cndmask_b32_e64 v8, 0, 0x40490fdb, vcc_lo
	v_cmp_ngt_f32_e32 vcc_lo, -1.0, v7
	v_cndmask_b32_e32 v4, 0x7fc00000, v4, vcc_lo
	v_cmp_gt_f32_e32 vcc_lo, 0, v0
	v_cndmask_b32_e64 v0, 0xff800000, v4, s1
	v_cndmask_b32_e32 v4, v5, v9, vcc_lo
	v_cndmask_b32_e32 v6, 0x3f490fdb, v6, vcc_lo
	v_cmp_gt_f32_e64 vcc_lo, 0x33800000, |v7|
	v_cmp_class_f32_e64 s1, v1, 0x204
	v_cndmask_b32_e32 v0, v0, v7, vcc_lo
	v_cmp_eq_f32_e32 vcc_lo, 0, v1
                                        ; implicit-def: $vgpr7
	s_delay_alu instid0(VALU_DEP_2) | instskip(SKIP_2) | instid1(VALU_DEP_1)
	v_mul_f32_e32 v5, 0.5, v0
	v_cndmask_b32_e32 v4, v4, v8, vcc_lo
	s_and_b32 vcc_lo, s3, s1
                                        ; implicit-def: $vgpr0
	v_cndmask_b32_e32 v4, v4, v6, vcc_lo
                                        ; implicit-def: $vgpr6
.LBB81_6:
	s_and_not1_saveexec_b32 s11, s2
	s_cbranch_execz .LBB81_14
; %bb.7:
	v_mul_f32_e32 v8, v6, v6
                                        ; implicit-def: $vgpr5
                                        ; implicit-def: $vgpr4
	s_mov_b32 s1, exec_lo
	s_delay_alu instid0(VALU_DEP_1) | instskip(NEXT) | instid1(VALU_DEP_1)
	v_fmac_f32_e32 v8, v7, v7
	v_cmpx_ge_f32_e32 0x3f333333, v8
	s_xor_b32 s2, exec_lo, s1
	s_cbranch_execz .LBB81_9
; %bb.8:
	v_max_f32_e64 v4, |v1|, |v1|
	v_max_f32_e64 v5, |v0|, |v0|
	v_cmp_gt_f32_e32 vcc_lo, 0x800000, v8
	s_mov_b32 s1, 0x3b2d2a58
	v_cmp_class_f32_e64 s3, v0, 0x204
	v_cmp_class_f32_e64 s4, v1, 0x204
	v_max_f32_e32 v6, v5, v4
	v_min_f32_e32 v4, v5, v4
	v_cndmask_b32_e64 v10, 0, 0x41b17218, vcc_lo
	s_delay_alu instid0(VALU_DEP_3) | instskip(SKIP_1) | instid1(VALU_DEP_2)
	v_frexp_mant_f32_e32 v7, v6
	v_frexp_exp_i32_f32_e32 v6, v6
	v_rcp_f32_e32 v5, v7
	v_frexp_exp_i32_f32_e32 v7, v4
	v_frexp_mant_f32_e32 v4, v4
	s_delay_alu instid0(VALU_DEP_2) | instskip(SKIP_4) | instid1(VALU_DEP_2)
	v_sub_nc_u32_e32 v6, v7, v6
	v_cndmask_b32_e64 v7, 1.0, 0x4f800000, vcc_lo
	s_waitcnt_depctr 0xfff
	v_mul_f32_e32 v4, v4, v5
	v_mul_f32_e32 v7, v8, v7
	v_ldexp_f32 v4, v4, v6
	s_delay_alu instid0(VALU_DEP_2) | instskip(NEXT) | instid1(VALU_DEP_1)
	v_log_f32_e32 v7, v7
	v_mul_f32_e32 v5, v4, v4
	s_delay_alu instid0(VALU_DEP_1) | instskip(SKIP_4) | instid1(VALU_DEP_1)
	v_fmaak_f32 v6, s1, v5, 0xbc7a590c
	v_cmp_gt_i32_e64 s1, 0, v0
	s_waitcnt_depctr 0xfff
	v_cmp_gt_f32_e64 vcc_lo, 0x7f800000, |v7|
	v_fmaak_f32 v6, v5, v6, 0x3d29fb3f
	v_fmaak_f32 v6, v5, v6, 0xbd97d4d7
	s_delay_alu instid0(VALU_DEP_1) | instskip(NEXT) | instid1(VALU_DEP_1)
	v_fmaak_f32 v6, v5, v6, 0x3dd931b2
	v_fmaak_f32 v6, v5, v6, 0xbe1160e6
	s_delay_alu instid0(VALU_DEP_1) | instskip(NEXT) | instid1(VALU_DEP_1)
	;; [unrolled: 3-line block ×3, first 2 shown]
	v_dual_mul_f32 v5, v5, v6 :: v_dual_mul_f32 v6, 0x3f317217, v7
	v_fmac_f32_e32 v4, v4, v5
	s_delay_alu instid0(VALU_DEP_2) | instskip(NEXT) | instid1(VALU_DEP_1)
	v_fma_f32 v5, 0x3f317217, v7, -v6
	v_fmamk_f32 v5, v7, 0x3377d1cf, v5
	s_delay_alu instid0(VALU_DEP_1) | instskip(NEXT) | instid1(VALU_DEP_1)
	v_dual_sub_f32 v8, 0x3fc90fdb, v4 :: v_dual_add_f32 v5, v6, v5
	v_cndmask_b32_e64 v4, v4, v8, s0
	v_cndmask_b32_e64 v8, 0, 0x40490fdb, s1
	v_mov_b32_e32 v6, 0x4016cbe4
	v_cmp_eq_f32_e64 s1, 0, v1
	v_cndmask_b32_e32 v5, v7, v5, vcc_lo
	v_sub_f32_e32 v9, 0x40490fdb, v4
	v_cmp_gt_f32_e32 vcc_lo, 0, v0
                                        ; implicit-def: $vgpr7
	s_delay_alu instid0(VALU_DEP_3) | instskip(NEXT) | instid1(VALU_DEP_3)
	v_sub_f32_e32 v0, v5, v10
	v_cndmask_b32_e32 v4, v4, v9, vcc_lo
	v_cndmask_b32_e32 v6, 0x3f490fdb, v6, vcc_lo
	s_and_b32 vcc_lo, s3, s4
	s_delay_alu instid0(VALU_DEP_3) | instskip(NEXT) | instid1(VALU_DEP_3)
	v_mul_f32_e32 v5, 0.5, v0
                                        ; implicit-def: $vgpr0
	v_cndmask_b32_e64 v4, v4, v8, s1
	s_delay_alu instid0(VALU_DEP_1)
	v_cndmask_b32_e32 v4, v4, v6, vcc_lo
                                        ; implicit-def: $vgpr6
.LBB81_9:
	s_and_not1_saveexec_b32 s12, s2
	s_cbranch_execz .LBB81_13
; %bb.10:
	v_and_b32_e32 v8, 0x7fff0000, v6
	v_and_b32_e32 v5, 0x7fff0000, v7
	s_mov_b32 s13, 0
	s_delay_alu instid0(VALU_DEP_2) | instskip(SKIP_1) | instid1(VALU_DEP_3)
	v_sub_f32_e32 v9, v6, v8
	v_mul_f32_e32 v6, v8, v8
	v_mul_f32_e32 v4, v5, v5
	v_sub_f32_e32 v7, v7, v5
	s_delay_alu instid0(VALU_DEP_1) | instskip(NEXT) | instid1(VALU_DEP_1)
	v_dual_add_f32 v15, v8, v8 :: v_dual_and_b32 v10, 0xffff0000, v7
	v_dual_sub_f32 v8, v7, v10 :: v_dual_and_b32 v11, 0xffff0000, v9
	s_delay_alu instid0(VALU_DEP_1) | instskip(SKIP_2) | instid1(VALU_DEP_3)
	v_dual_add_f32 v12, v5, v5 :: v_dual_mul_f32 v5, v15, v11
	v_dual_sub_f32 v16, v9, v11 :: v_dual_mul_f32 v7, v10, v10
	v_add_f32_e32 v9, v10, v10
	v_dual_mul_f32 v14, v12, v10 :: v_dual_add_f32 v17, v11, v11
	v_dual_mul_f32 v13, v11, v11 :: v_dual_mul_f32 v10, v12, v8
	s_delay_alu instid0(VALU_DEP_4) | instskip(NEXT) | instid1(VALU_DEP_4)
	v_mul_f32_e32 v12, v15, v16
	v_mul_f32_e32 v11, v9, v8
	;; [unrolled: 1-line block ×5, first 2 shown]
.LBB81_11:                              ; =>This Inner Loop Header: Depth=1
	v_cmp_nlt_f32_e32 vcc_lo, v4, v6
	s_delay_alu instid0(VALU_DEP_2) | instskip(SKIP_1) | instid1(VALU_DEP_2)
	v_dual_mov_b32 v17, v15 :: v_dual_cndmask_b32 v16, v4, v6
	v_cndmask_b32_e32 v4, v6, v4, vcc_lo
	v_cmp_nlt_f32_e64 s1, v16, v14
	s_delay_alu instid0(VALU_DEP_1) | instskip(SKIP_2) | instid1(VALU_DEP_2)
	v_cndmask_b32_e64 v15, v16, v14, s1
	v_cndmask_b32_e64 v6, v14, v16, s1
	s_and_b32 s14, vcc_lo, s1
	v_cmp_nlt_f32_e64 s2, v15, v5
	s_delay_alu instid0(VALU_DEP_1) | instskip(SKIP_1) | instid1(VALU_DEP_2)
	v_cndmask_b32_e64 v18, v15, v5, s2
	v_cndmask_b32_e64 v14, v5, v15, s2
	v_cmp_nlt_f32_e64 s3, v18, v7
	s_delay_alu instid0(VALU_DEP_1) | instskip(SKIP_2) | instid1(VALU_DEP_2)
	v_cndmask_b32_e64 v16, v18, v7, s3
	v_cndmask_b32_e64 v5, v7, v18, s3
	s_and_b32 s15, s2, s3
	v_cmp_nlt_f32_e64 s4, v16, v13
	s_delay_alu instid0(VALU_DEP_1) | instskip(SKIP_1) | instid1(VALU_DEP_2)
	v_cndmask_b32_e64 v19, v16, v13, s4
	v_cndmask_b32_e64 v7, v13, v16, s4
	v_cmp_nlt_f32_e64 s5, v19, v10
	s_delay_alu instid0(VALU_DEP_1) | instskip(SKIP_2) | instid1(VALU_DEP_2)
	v_cndmask_b32_e64 v20, v19, v10, s5
	s_and_b32 s3, s4, s5
	v_cndmask_b32_e64 v13, v10, v19, s5
	v_cmp_nlt_f32_e64 s6, v20, v12
	s_delay_alu instid0(VALU_DEP_1) | instskip(SKIP_2) | instid1(VALU_DEP_2)
	v_cndmask_b32_e64 v21, v20, v12, s6
	s_and_b32 s3, s3, s6
	v_cndmask_b32_e64 v10, v12, v20, s6
	v_cmp_nlt_f32_e32 vcc_lo, v21, v11
	v_cndmask_b32_e32 v22, v21, v11, vcc_lo
	s_and_b32 s4, s3, vcc_lo
	v_cndmask_b32_e32 v12, v11, v21, vcc_lo
	s_delay_alu instid0(VALU_DEP_2) | instskip(NEXT) | instid1(VALU_DEP_1)
	v_cmp_nlt_f32_e64 s1, v22, v9
	v_cndmask_b32_e64 v18, v22, v9, s1
	s_and_b32 s4, s4, s1
	v_cndmask_b32_e64 v11, v9, v22, s1
	s_delay_alu instid0(VALU_DEP_2) | instskip(NEXT) | instid1(VALU_DEP_1)
	v_cmp_nlt_f32_e64 s2, v18, v8
	v_cndmask_b32_e64 v16, v18, v8, s2
	s_and_b32 s4, s4, s2
	v_cndmask_b32_e64 v9, v8, v18, s2
	s_delay_alu instid0(VALU_DEP_2) | instskip(NEXT) | instid1(VALU_DEP_1)
	v_cmp_nlt_f32_e64 s3, v16, v17
	s_and_b32 s4, s4, s3
	v_cndmask_b32_e64 v15, v16, v17, s3
	s_and_b32 s1, s4, s15
	v_cndmask_b32_e64 v8, v17, v16, s3
	s_and_b32 s1, s1, s14
	s_delay_alu instid0(SALU_CYCLE_1) | instskip(NEXT) | instid1(SALU_CYCLE_1)
	s_and_b32 s1, exec_lo, s1
	s_or_b32 s13, s1, s13
	s_delay_alu instid0(SALU_CYCLE_1)
	s_and_not1_b32 exec_lo, exec_lo, s13
	s_cbranch_execnz .LBB81_11
; %bb.12:
	s_or_b32 exec_lo, exec_lo, s13
	v_add_f32_e32 v4, -1.0, v4
	s_mov_b32 s1, 0x3e9b6dac
	v_cmp_class_f32_e64 s2, v0, 0x204
	s_delay_alu instid0(VALU_DEP_2) | instskip(NEXT) | instid1(VALU_DEP_1)
	v_add_f32_e32 v4, v4, v6
	v_add_f32_e32 v4, v4, v14
	s_delay_alu instid0(VALU_DEP_1) | instskip(NEXT) | instid1(VALU_DEP_1)
	v_add_f32_e32 v4, v4, v5
	v_add_f32_e32 v4, v4, v7
	s_delay_alu instid0(VALU_DEP_1) | instskip(NEXT) | instid1(VALU_DEP_1)
	;; [unrolled: 3-line block ×5, first 2 shown]
	v_add_f32_e32 v6, v15, v4
	v_add_f32_e32 v7, 1.0, v6
	s_delay_alu instid0(VALU_DEP_1) | instskip(NEXT) | instid1(VALU_DEP_1)
	v_cvt_f64_f32_e32 v[4:5], v7
	v_frexp_exp_i32_f64_e32 v4, v[4:5]
	v_frexp_mant_f32_e32 v5, v7
	s_delay_alu instid0(VALU_DEP_1) | instskip(SKIP_1) | instid1(VALU_DEP_1)
	v_cmp_gt_f32_e32 vcc_lo, 0x3f2aaaab, v5
	v_add_f32_e32 v5, -1.0, v7
	v_sub_f32_e32 v9, v5, v7
	v_sub_f32_e32 v5, v6, v5
	s_delay_alu instid0(VALU_DEP_2) | instskip(NEXT) | instid1(VALU_DEP_1)
	v_add_f32_e32 v9, 1.0, v9
	v_add_f32_e32 v5, v5, v9
	v_subrev_co_ci_u32_e32 v4, vcc_lo, 0, v4, vcc_lo
	s_delay_alu instid0(VALU_DEP_1) | instskip(SKIP_1) | instid1(VALU_DEP_2)
	v_sub_nc_u32_e32 v8, 0, v4
	v_cvt_f32_i32_e32 v4, v4
	v_ldexp_f32 v7, v7, v8
	v_ldexp_f32 v5, v5, v8
	s_delay_alu instid0(VALU_DEP_2) | instskip(NEXT) | instid1(VALU_DEP_1)
	v_add_f32_e32 v10, 1.0, v7
	v_add_f32_e32 v9, -1.0, v10
	s_delay_alu instid0(VALU_DEP_1) | instskip(NEXT) | instid1(VALU_DEP_1)
	v_sub_f32_e32 v9, v7, v9
	v_dual_add_f32 v9, v5, v9 :: v_dual_add_f32 v8, -1.0, v7
	s_delay_alu instid0(VALU_DEP_1) | instskip(NEXT) | instid1(VALU_DEP_1)
	v_add_f32_e32 v11, 1.0, v8
	v_sub_f32_e32 v7, v7, v11
	s_delay_alu instid0(VALU_DEP_1) | instskip(NEXT) | instid1(VALU_DEP_1)
	v_add_f32_e32 v5, v5, v7
	v_add_f32_e32 v12, v8, v5
	s_delay_alu instid0(VALU_DEP_1) | instskip(NEXT) | instid1(VALU_DEP_1)
	v_sub_f32_e32 v8, v12, v8
	v_sub_f32_e32 v5, v5, v8
	v_add_f32_e32 v11, v10, v9
	v_cmp_eq_f32_e32 vcc_lo, 0x7f800000, v6
	s_delay_alu instid0(VALU_DEP_2) | instskip(SKIP_1) | instid1(VALU_DEP_1)
	v_rcp_f32_e32 v7, v11
	v_sub_f32_e32 v10, v11, v10
	v_sub_f32_e32 v9, v9, v10
	s_waitcnt_depctr 0xfff
	v_mul_f32_e32 v13, v12, v7
	s_delay_alu instid0(VALU_DEP_1) | instskip(NEXT) | instid1(VALU_DEP_1)
	v_mul_f32_e32 v14, v11, v13
	v_fma_f32 v10, v13, v11, -v14
	s_delay_alu instid0(VALU_DEP_1) | instskip(NEXT) | instid1(VALU_DEP_1)
	v_fmac_f32_e32 v10, v13, v9
	v_add_f32_e32 v15, v14, v10
	s_delay_alu instid0(VALU_DEP_1) | instskip(NEXT) | instid1(VALU_DEP_1)
	v_sub_f32_e32 v16, v12, v15
	v_sub_f32_e32 v12, v12, v16
	s_delay_alu instid0(VALU_DEP_1) | instskip(NEXT) | instid1(VALU_DEP_1)
	v_sub_f32_e32 v12, v12, v15
	v_dual_add_f32 v5, v5, v12 :: v_dual_sub_f32 v8, v15, v14
	s_delay_alu instid0(VALU_DEP_1) | instskip(NEXT) | instid1(VALU_DEP_1)
	v_sub_f32_e32 v8, v8, v10
	v_add_f32_e32 v5, v8, v5
	s_delay_alu instid0(VALU_DEP_1) | instskip(NEXT) | instid1(VALU_DEP_1)
	v_add_f32_e32 v8, v16, v5
	v_mul_f32_e32 v10, v7, v8
	s_delay_alu instid0(VALU_DEP_1) | instskip(NEXT) | instid1(VALU_DEP_1)
	v_mul_f32_e32 v12, v11, v10
	v_fma_f32 v11, v10, v11, -v12
	s_delay_alu instid0(VALU_DEP_1) | instskip(SKIP_1) | instid1(VALU_DEP_2)
	v_fmac_f32_e32 v11, v10, v9
	v_sub_f32_e32 v15, v16, v8
	v_add_f32_e32 v9, v12, v11
	s_delay_alu instid0(VALU_DEP_1) | instskip(NEXT) | instid1(VALU_DEP_1)
	v_dual_add_f32 v5, v5, v15 :: v_dual_sub_f32 v14, v8, v9
	v_sub_f32_e32 v8, v8, v14
	s_delay_alu instid0(VALU_DEP_1) | instskip(NEXT) | instid1(VALU_DEP_1)
	v_sub_f32_e32 v8, v8, v9
	v_add_f32_e32 v5, v5, v8
	v_add_f32_e32 v8, v13, v10
	v_sub_f32_e32 v12, v9, v12
	s_delay_alu instid0(VALU_DEP_1) | instskip(SKIP_1) | instid1(VALU_DEP_2)
	v_sub_f32_e32 v9, v12, v11
	v_max_f32_e64 v11, |v1|, |v1|
	v_add_f32_e32 v5, v9, v5
	s_delay_alu instid0(VALU_DEP_1) | instskip(NEXT) | instid1(VALU_DEP_1)
	v_dual_add_f32 v5, v14, v5 :: v_dual_mul_f32 v14, 0x3f317218, v4
	v_mul_f32_e32 v5, v7, v5
	v_sub_f32_e32 v9, v8, v13
	s_delay_alu instid0(VALU_DEP_3) | instskip(NEXT) | instid1(VALU_DEP_2)
	v_fma_f32 v15, 0x3f317218, v4, -v14
	v_sub_f32_e32 v9, v10, v9
	s_delay_alu instid0(VALU_DEP_1) | instskip(NEXT) | instid1(VALU_DEP_1)
	v_add_f32_e32 v5, v9, v5
	v_add_f32_e32 v7, v8, v5
	s_delay_alu instid0(VALU_DEP_1) | instskip(NEXT) | instid1(VALU_DEP_1)
	v_mul_f32_e32 v9, v7, v7
	v_fmaak_f32 v10, s1, v9, 0x3ecc95a3
	v_mul_f32_e32 v12, v7, v9
	s_mov_b32 s1, 0x3b2d2a58
	s_delay_alu instid0(VALU_DEP_2) | instskip(SKIP_1) | instid1(VALU_DEP_1)
	v_fmaak_f32 v9, v9, v10, 0x3f2aaada
	v_max_f32_e64 v10, |v0|, |v0|
	v_dual_mul_f32 v9, v12, v9 :: v_dual_max_f32 v12, v10, v11
	v_min_f32_e32 v10, v10, v11
	v_ldexp_f32 v13, v7, 1
	v_sub_f32_e32 v7, v7, v8
	s_delay_alu instid0(VALU_DEP_4) | instskip(SKIP_1) | instid1(VALU_DEP_3)
	v_frexp_mant_f32_e32 v11, v12
	v_frexp_exp_i32_f32_e32 v12, v12
	v_sub_f32_e32 v5, v5, v7
	s_delay_alu instid0(VALU_DEP_3) | instskip(NEXT) | instid1(VALU_DEP_1)
	v_rcp_f32_e32 v11, v11
	v_ldexp_f32 v5, v5, 1
	v_fmamk_f32 v4, v4, 0xb102e308, v15
	v_add_f32_e32 v8, v13, v9
	s_delay_alu instid0(VALU_DEP_1) | instskip(SKIP_1) | instid1(VALU_DEP_2)
	v_sub_f32_e32 v7, v8, v13
	v_frexp_exp_i32_f32_e32 v13, v10
	v_sub_f32_e32 v7, v9, v7
	v_frexp_mant_f32_e32 v9, v10
	s_delay_alu instid0(VALU_DEP_3) | instskip(NEXT) | instid1(VALU_DEP_3)
	v_sub_nc_u32_e32 v10, v13, v12
	v_add_f32_e32 v5, v5, v7
	s_delay_alu instid0(VALU_DEP_3) | instskip(SKIP_1) | instid1(VALU_DEP_1)
	v_mul_f32_e32 v7, v9, v11
	v_add_f32_e32 v9, v14, v4
	v_dual_add_f32 v11, v8, v5 :: v_dual_sub_f32 v14, v9, v14
	s_delay_alu instid0(VALU_DEP_1) | instskip(NEXT) | instid1(VALU_DEP_4)
	v_sub_f32_e32 v8, v11, v8
	v_ldexp_f32 v7, v7, v10
	v_add_f32_e32 v10, v9, v11
	s_delay_alu instid0(VALU_DEP_4) | instskip(NEXT) | instid1(VALU_DEP_2)
	v_sub_f32_e32 v4, v4, v14
	v_dual_mul_f32 v12, v7, v7 :: v_dual_sub_f32 v13, v10, v9
	s_delay_alu instid0(VALU_DEP_1) | instskip(SKIP_1) | instid1(VALU_DEP_2)
	v_dual_fmaak_f32 v15, s1, v12, 0xbc7a590c :: v_dual_sub_f32 v16, v10, v13
	v_cmp_neq_f32_e64 s1, -1.0, v6
	v_fmaak_f32 v15, v12, v15, 0x3d29fb3f
	s_delay_alu instid0(VALU_DEP_3) | instskip(SKIP_1) | instid1(VALU_DEP_1)
	v_sub_f32_e32 v9, v9, v16
	v_dual_sub_f32 v5, v5, v8 :: v_dual_sub_f32 v8, v11, v13
	v_add_f32_e32 v8, v8, v9
	s_delay_alu instid0(VALU_DEP_2) | instskip(NEXT) | instid1(VALU_DEP_1)
	v_add_f32_e32 v13, v4, v5
	v_dual_fmaak_f32 v11, v12, v15, 0xbd97d4d7 :: v_dual_add_f32 v8, v13, v8
	s_delay_alu instid0(VALU_DEP_1) | instskip(NEXT) | instid1(VALU_DEP_1)
	v_dual_add_f32 v14, v10, v8 :: v_dual_fmaak_f32 v9, v12, v11, 0x3dd931b2
	v_dual_sub_f32 v10, v14, v10 :: v_dual_fmaak_f32 v9, v12, v9, 0xbe1160e6
	s_delay_alu instid0(VALU_DEP_1) | instskip(NEXT) | instid1(VALU_DEP_1)
	v_fmaak_f32 v9, v12, v9, 0x3e4cb8bf
	v_fmaak_f32 v9, v12, v9, 0xbeaaaa62
	v_sub_f32_e32 v11, v13, v4
	s_delay_alu instid0(VALU_DEP_1) | instskip(NEXT) | instid1(VALU_DEP_1)
	v_sub_f32_e32 v13, v13, v11
	v_dual_sub_f32 v5, v5, v11 :: v_dual_sub_f32 v4, v4, v13
	s_delay_alu instid0(VALU_DEP_1) | instskip(SKIP_1) | instid1(VALU_DEP_1)
	v_dual_add_f32 v4, v5, v4 :: v_dual_sub_f32 v5, v8, v10
	v_mul_f32_e32 v8, v12, v9
	v_dual_add_f32 v4, v4, v5 :: v_dual_fmac_f32 v7, v7, v8
	s_delay_alu instid0(VALU_DEP_1) | instskip(NEXT) | instid1(VALU_DEP_1)
	v_add_f32_e32 v4, v14, v4
	v_cndmask_b32_e32 v4, v4, v6, vcc_lo
	v_cmp_gt_i32_e32 vcc_lo, 0, v0
	v_cndmask_b32_e64 v8, 0, 0x40490fdb, vcc_lo
	v_cmp_ngt_f32_e32 vcc_lo, -1.0, v6
	s_delay_alu instid0(VALU_DEP_4) | instskip(SKIP_1) | instid1(VALU_DEP_2)
	v_cndmask_b32_e32 v4, 0x7fc00000, v4, vcc_lo
	v_cmp_gt_f32_e32 vcc_lo, 0, v0
	v_cndmask_b32_e64 v0, 0xff800000, v4, s1
	v_sub_f32_e32 v5, 0x3fc90fdb, v7
	v_cmp_class_f32_e64 s1, v1, 0x204
	s_delay_alu instid0(VALU_DEP_2) | instskip(NEXT) | instid1(VALU_DEP_1)
	v_cndmask_b32_e64 v5, v7, v5, s0
	v_sub_f32_e32 v9, 0x40490fdb, v5
	s_delay_alu instid0(VALU_DEP_1) | instskip(NEXT) | instid1(VALU_DEP_1)
	v_dual_cndmask_b32 v4, v5, v9 :: v_dual_mov_b32 v7, 0x4016cbe4
	v_cndmask_b32_e32 v7, 0x3f490fdb, v7, vcc_lo
	v_cmp_gt_f32_e64 vcc_lo, 0x33800000, |v6|
	v_cndmask_b32_e32 v0, v0, v6, vcc_lo
	v_cmp_eq_f32_e32 vcc_lo, 0, v1
	s_delay_alu instid0(VALU_DEP_2) | instskip(SKIP_2) | instid1(VALU_DEP_1)
	v_mul_f32_e32 v5, 0.5, v0
	v_cndmask_b32_e32 v4, v4, v8, vcc_lo
	s_and_b32 vcc_lo, s2, s1
	v_cndmask_b32_e32 v4, v4, v7, vcc_lo
.LBB81_13:
	s_or_b32 exec_lo, exec_lo, s12
.LBB81_14:
	s_delay_alu instid0(SALU_CYCLE_1)
	s_or_b32 exec_lo, exec_lo, s11
                                        ; implicit-def: $vgpr0
.LBB81_15:
	s_and_not1_saveexec_b32 s2, s10
	s_cbranch_execz .LBB81_17
; %bb.16:
	v_max_f32_e64 v6, |v1|, |v1|
	v_max_f32_e64 v7, |v0|, |v0|
	s_mov_b32 s1, 0x3b2d2a58
	v_cmp_class_f32_e64 s3, v0, 0x204
	v_cmp_class_f32_e64 s4, v1, 0x204
	s_delay_alu instid0(VALU_DEP_3) | instskip(SKIP_1) | instid1(VALU_DEP_2)
	v_max_f32_e32 v8, v7, v6
	v_min_f32_e32 v6, v7, v6
	v_cvt_f64_f32_e32 v[4:5], v8
	s_delay_alu instid0(VALU_DEP_2) | instskip(SKIP_1) | instid1(VALU_DEP_3)
	v_frexp_exp_i32_f32_e32 v9, v6
	v_frexp_mant_f32_e32 v6, v6
	v_frexp_exp_i32_f64_e32 v4, v[4:5]
	v_frexp_mant_f32_e32 v5, v8
	s_delay_alu instid0(VALU_DEP_1) | instskip(SKIP_4) | instid1(VALU_DEP_2)
	v_rcp_f32_e32 v5, v5
	s_waitcnt_depctr 0xfff
	v_mul_f32_e32 v5, v6, v5
	v_frexp_exp_i32_f32_e32 v7, v8
	v_cmp_neq_f32_e32 vcc_lo, 0x7f800000, v8
	v_sub_nc_u32_e32 v7, v9, v7
	s_delay_alu instid0(VALU_DEP_1) | instskip(NEXT) | instid1(VALU_DEP_1)
	v_ldexp_f32 v5, v5, v7
	v_mul_f32_e32 v9, v5, v5
	v_sub_nc_u32_e32 v10, 0, v4
	s_delay_alu instid0(VALU_DEP_1) | instskip(SKIP_1) | instid1(VALU_DEP_2)
	v_ldexp_f32 v6, |v1|, v10
	v_ldexp_f32 v7, |v0|, v10
	v_mul_f32_e32 v6, v6, v6
	s_delay_alu instid0(VALU_DEP_1) | instskip(SKIP_1) | instid1(VALU_DEP_2)
	v_dual_fmac_f32 v6, v7, v7 :: v_dual_fmaak_f32 v7, s1, v9, 0xbc7a590c
	v_cmp_gt_i32_e64 s1, 0, v0
	v_sqrt_f32_e32 v6, v6
	s_delay_alu instid0(VALU_DEP_2) | instskip(NEXT) | instid1(VALU_DEP_1)
	v_fmaak_f32 v7, v9, v7, 0x3d29fb3f
	v_fmaak_f32 v7, v9, v7, 0xbd97d4d7
	s_waitcnt_depctr 0xfff
	v_ldexp_f32 v4, v6, v4
	v_fmaak_f32 v6, v9, v7, 0x3dd931b2
	s_delay_alu instid0(VALU_DEP_1) | instskip(NEXT) | instid1(VALU_DEP_1)
	v_fmaak_f32 v6, v9, v6, 0xbe1160e6
	v_fmaak_f32 v6, v9, v6, 0x3e4cb8bf
	s_delay_alu instid0(VALU_DEP_1) | instskip(NEXT) | instid1(VALU_DEP_1)
	v_fmaak_f32 v6, v9, v6, 0xbeaaaa62
	v_mul_f32_e32 v6, v9, v6
	v_cndmask_b32_e32 v4, 0x7f800000, v4, vcc_lo
	v_mov_b32_e32 v9, 0x4016cbe4
	s_delay_alu instid0(VALU_DEP_3) | instskip(NEXT) | instid1(VALU_DEP_3)
	v_fmac_f32_e32 v5, v5, v6
	v_cmp_gt_f32_e32 vcc_lo, 0x800000, v4
	v_cndmask_b32_e64 v7, 1.0, 0x4f800000, vcc_lo
	s_delay_alu instid0(VALU_DEP_1) | instskip(NEXT) | instid1(VALU_DEP_1)
	v_dual_mul_f32 v4, v4, v7 :: v_dual_sub_f32 v7, 0x3fc90fdb, v5
	v_log_f32_e32 v4, v4
	s_delay_alu instid0(VALU_DEP_1) | instskip(SKIP_2) | instid1(VALU_DEP_3)
	v_cndmask_b32_e64 v5, v5, v7, s0
	v_cndmask_b32_e64 v7, 0, 0x40490fdb, s1
	v_cmp_gt_f32_e64 s1, 0, v0
	v_sub_f32_e32 v10, 0x40490fdb, v5
	s_waitcnt_depctr 0xfff
	v_mul_f32_e32 v6, 0x3f317217, v4
	v_cndmask_b32_e64 v5, v5, v10, s1
	s_delay_alu instid0(VALU_DEP_2) | instskip(NEXT) | instid1(VALU_DEP_1)
	v_fma_f32 v8, 0x3f317217, v4, -v6
	v_fmamk_f32 v8, v4, 0x3377d1cf, v8
	s_delay_alu instid0(VALU_DEP_1) | instskip(SKIP_3) | instid1(VALU_DEP_4)
	v_add_f32_e32 v0, v6, v8
	v_cndmask_b32_e64 v8, 0, 0x41b17218, vcc_lo
	v_cmp_gt_f32_e64 vcc_lo, 0x7f800000, |v4|
	v_cndmask_b32_e64 v6, 0x3f490fdb, v9, s1
	v_cndmask_b32_e32 v0, v4, v0, vcc_lo
	v_cmp_eq_f32_e32 vcc_lo, 0, v1
	v_cndmask_b32_e32 v4, v5, v7, vcc_lo
	s_and_b32 vcc_lo, s3, s4
	s_delay_alu instid0(VALU_DEP_3) | instskip(NEXT) | instid1(VALU_DEP_2)
	v_sub_f32_e32 v5, v0, v8
	v_cndmask_b32_e32 v4, v4, v6, vcc_lo
.LBB81_17:
	s_or_b32 exec_lo, exec_lo, s2
                                        ; implicit-def: $vgpr6
                                        ; implicit-def: $vgpr0
.LBB81_18:
	s_and_not1_saveexec_b32 s2, s9
	s_cbranch_execz .LBB81_24
; %bb.19:
                                        ; implicit-def: $vgpr5
                                        ; implicit-def: $vgpr4
	s_mov_b32 s1, exec_lo
	v_cmpx_ngt_f32_e32 0x1fec1e4a, v6
	s_xor_b32 s3, exec_lo, s1
	s_cbranch_execz .LBB81_21
; %bb.20:
	v_mul_f32_e32 v6, v6, v6
	s_mov_b32 s1, 0x3e9b6dac
	v_cmp_class_f32_e64 s4, v0, 0x204
	v_cmp_class_f32_e64 s6, v1, 0x204
	s_delay_alu instid0(VALU_DEP_3) | instskip(NEXT) | instid1(VALU_DEP_1)
	v_add_f32_e32 v7, 1.0, v6
	v_cvt_f64_f32_e32 v[4:5], v7
	s_delay_alu instid0(VALU_DEP_1) | instskip(SKIP_1) | instid1(VALU_DEP_1)
	v_frexp_exp_i32_f64_e32 v4, v[4:5]
	v_frexp_mant_f32_e32 v5, v7
	v_cmp_gt_f32_e32 vcc_lo, 0x3f2aaaab, v5
	v_add_f32_e32 v5, -1.0, v7
	v_cmp_gt_f32_e64 s5, 0x33800000, |v6|
	s_delay_alu instid0(VALU_DEP_2) | instskip(SKIP_2) | instid1(VALU_DEP_2)
	v_sub_f32_e32 v9, v5, v7
	v_subrev_co_ci_u32_e32 v4, vcc_lo, 0, v4, vcc_lo
	v_cmp_gt_i32_e32 vcc_lo, 0, v0
	v_sub_nc_u32_e32 v8, 0, v4
	v_cvt_f32_i32_e32 v4, v4
	s_delay_alu instid0(VALU_DEP_2) | instskip(SKIP_1) | instid1(VALU_DEP_2)
	v_ldexp_f32 v7, v7, v8
	v_sub_f32_e32 v5, v6, v5
	v_dual_add_f32 v9, 1.0, v9 :: v_dual_add_f32 v10, 1.0, v7
	s_delay_alu instid0(VALU_DEP_1) | instskip(NEXT) | instid1(VALU_DEP_2)
	v_add_f32_e32 v5, v5, v9
	v_add_f32_e32 v9, -1.0, v10
	s_delay_alu instid0(VALU_DEP_2) | instskip(NEXT) | instid1(VALU_DEP_2)
	v_ldexp_f32 v5, v5, v8
	v_dual_add_f32 v8, -1.0, v7 :: v_dual_sub_f32 v9, v7, v9
	s_delay_alu instid0(VALU_DEP_1) | instskip(NEXT) | instid1(VALU_DEP_2)
	v_add_f32_e32 v11, 1.0, v8
	v_add_f32_e32 v9, v5, v9
	s_delay_alu instid0(VALU_DEP_2) | instskip(NEXT) | instid1(VALU_DEP_2)
	v_sub_f32_e32 v7, v7, v11
	v_add_f32_e32 v11, v10, v9
	s_delay_alu instid0(VALU_DEP_2) | instskip(NEXT) | instid1(VALU_DEP_2)
	v_add_f32_e32 v5, v5, v7
	v_rcp_f32_e32 v7, v11
	v_sub_f32_e32 v10, v10, v11
	s_delay_alu instid0(VALU_DEP_1) | instskip(NEXT) | instid1(VALU_DEP_1)
	v_dual_add_f32 v12, v8, v5 :: v_dual_add_f32 v9, v9, v10
	v_sub_f32_e32 v8, v8, v12
	s_waitcnt_depctr 0xfff
	v_mul_f32_e32 v13, v12, v7
	s_delay_alu instid0(VALU_DEP_1) | instskip(NEXT) | instid1(VALU_DEP_1)
	v_dual_add_f32 v5, v5, v8 :: v_dual_mul_f32 v14, v11, v13
	v_fma_f32 v10, v13, v11, -v14
	s_delay_alu instid0(VALU_DEP_1) | instskip(NEXT) | instid1(VALU_DEP_1)
	v_fmac_f32_e32 v10, v13, v9
	v_add_f32_e32 v15, v14, v10
	s_delay_alu instid0(VALU_DEP_1) | instskip(SKIP_1) | instid1(VALU_DEP_2)
	v_sub_f32_e32 v16, v12, v15
	v_sub_f32_e32 v8, v15, v14
	;; [unrolled: 1-line block ×3, first 2 shown]
	s_delay_alu instid0(VALU_DEP_2) | instskip(NEXT) | instid1(VALU_DEP_2)
	v_sub_f32_e32 v8, v8, v10
	v_sub_f32_e32 v12, v12, v15
	s_delay_alu instid0(VALU_DEP_1) | instskip(NEXT) | instid1(VALU_DEP_1)
	v_add_f32_e32 v5, v5, v12
	v_add_f32_e32 v5, v8, v5
	s_delay_alu instid0(VALU_DEP_1) | instskip(NEXT) | instid1(VALU_DEP_1)
	v_add_f32_e32 v8, v16, v5
	v_mul_f32_e32 v10, v7, v8
	s_delay_alu instid0(VALU_DEP_1) | instskip(NEXT) | instid1(VALU_DEP_1)
	v_dual_sub_f32 v15, v16, v8 :: v_dual_mul_f32 v12, v11, v10
	v_fma_f32 v11, v10, v11, -v12
	s_delay_alu instid0(VALU_DEP_1) | instskip(NEXT) | instid1(VALU_DEP_1)
	v_fmac_f32_e32 v11, v10, v9
	v_add_f32_e32 v9, v12, v11
	s_delay_alu instid0(VALU_DEP_1) | instskip(SKIP_1) | instid1(VALU_DEP_2)
	v_sub_f32_e32 v14, v8, v9
	v_sub_f32_e32 v12, v9, v12
	v_dual_sub_f32 v8, v8, v14 :: v_dual_add_f32 v5, v5, v15
	s_delay_alu instid0(VALU_DEP_1) | instskip(NEXT) | instid1(VALU_DEP_1)
	v_sub_f32_e32 v8, v8, v9
	v_add_f32_e32 v5, v5, v8
	s_delay_alu instid0(VALU_DEP_4) | instskip(NEXT) | instid1(VALU_DEP_1)
	v_dual_add_f32 v8, v13, v10 :: v_dual_sub_f32 v9, v12, v11
	v_add_f32_e32 v5, v9, v5
	s_delay_alu instid0(VALU_DEP_2) | instskip(NEXT) | instid1(VALU_DEP_2)
	v_sub_f32_e32 v9, v8, v13
	v_add_f32_e32 v5, v14, v5
	s_delay_alu instid0(VALU_DEP_2) | instskip(SKIP_1) | instid1(VALU_DEP_3)
	v_sub_f32_e32 v9, v10, v9
	v_max_f32_e64 v10, |v0|, |v0|
	v_mul_f32_e32 v5, v7, v5
	v_max_f32_e64 v7, |v1|, |v1|
	s_delay_alu instid0(VALU_DEP_1) | instskip(SKIP_1) | instid1(VALU_DEP_2)
	v_dual_add_f32 v5, v9, v5 :: v_dual_max_f32 v12, v10, v7
	v_min_f32_e32 v7, v10, v7
	v_add_f32_e32 v9, v8, v5
	s_delay_alu instid0(VALU_DEP_3) | instskip(SKIP_1) | instid1(VALU_DEP_3)
	v_frexp_mant_f32_e32 v14, v12
	v_frexp_exp_i32_f32_e32 v10, v12
	v_mul_f32_e32 v11, v9, v9
	v_ldexp_f32 v15, v9, 1
	s_delay_alu instid0(VALU_DEP_2) | instskip(SKIP_1) | instid1(VALU_DEP_2)
	v_dual_sub_f32 v8, v9, v8 :: v_dual_fmaak_f32 v13, s1, v11, 0x3ecc95a3
	v_mul_f32_e32 v12, v9, v11
	v_sub_f32_e32 v5, v5, v8
	s_mov_b32 s1, 0x3b2d2a58
	s_delay_alu instid0(VALU_DEP_3)
	v_fmaak_f32 v11, v11, v13, 0x3f2aaada
	v_rcp_f32_e32 v13, v14
	v_frexp_exp_i32_f32_e32 v14, v7
	v_frexp_mant_f32_e32 v7, v7
	v_ldexp_f32 v5, v5, 1
	v_dual_mul_f32 v11, v12, v11 :: v_dual_mul_f32 v12, 0x3f317218, v4
	s_delay_alu instid0(VALU_DEP_4) | instskip(SKIP_2) | instid1(VALU_DEP_1)
	v_sub_nc_u32_e32 v10, v14, v10
	s_waitcnt_depctr 0xfff
	v_mul_f32_e32 v7, v7, v13
	v_ldexp_f32 v7, v7, v10
	v_fma_f32 v10, 0x3f317218, v4, -v12
	s_delay_alu instid0(VALU_DEP_1) | instskip(NEXT) | instid1(VALU_DEP_1)
	v_fmamk_f32 v4, v4, 0xb102e308, v10
	v_dual_add_f32 v10, v12, v4 :: v_dual_add_f32 v9, v15, v11
	s_delay_alu instid0(VALU_DEP_1) | instskip(NEXT) | instid1(VALU_DEP_2)
	v_sub_f32_e32 v12, v10, v12
	v_sub_f32_e32 v8, v9, v15
	s_delay_alu instid0(VALU_DEP_2) | instskip(NEXT) | instid1(VALU_DEP_2)
	v_sub_f32_e32 v4, v4, v12
	v_sub_f32_e32 v8, v11, v8
	s_delay_alu instid0(VALU_DEP_1) | instskip(NEXT) | instid1(VALU_DEP_1)
	v_add_f32_e32 v5, v5, v8
	v_add_f32_e32 v13, v9, v5
	s_delay_alu instid0(VALU_DEP_1) | instskip(NEXT) | instid1(VALU_DEP_1)
	v_add_f32_e32 v14, v10, v13
	v_sub_f32_e32 v15, v14, v10
	s_delay_alu instid0(VALU_DEP_1) | instskip(NEXT) | instid1(VALU_DEP_1)
	v_sub_f32_e32 v16, v14, v15
	v_dual_sub_f32 v10, v10, v16 :: v_dual_sub_f32 v9, v13, v9
	s_delay_alu instid0(VALU_DEP_1) | instskip(NEXT) | instid1(VALU_DEP_1)
	v_sub_f32_e32 v5, v5, v9
	v_dual_mul_f32 v11, v7, v7 :: v_dual_add_f32 v12, v4, v5
	s_delay_alu instid0(VALU_DEP_1) | instskip(SKIP_1) | instid1(VALU_DEP_2)
	v_fmaak_f32 v8, s1, v11, 0xbc7a590c
	v_cmp_gt_f32_e64 s1, 0, v0
	v_fmaak_f32 v8, v11, v8, 0x3d29fb3f
	s_delay_alu instid0(VALU_DEP_1) | instskip(NEXT) | instid1(VALU_DEP_1)
	v_fmaak_f32 v8, v11, v8, 0xbd97d4d7
	v_fmaak_f32 v8, v11, v8, 0x3dd931b2
	s_delay_alu instid0(VALU_DEP_1) | instskip(NEXT) | instid1(VALU_DEP_1)
	v_fmaak_f32 v8, v11, v8, 0xbe1160e6
	v_fmaak_f32 v8, v11, v8, 0x3e4cb8bf
	s_delay_alu instid0(VALU_DEP_1) | instskip(NEXT) | instid1(VALU_DEP_1)
	v_dual_fmaak_f32 v8, v11, v8, 0xbeaaaa62 :: v_dual_sub_f32 v9, v13, v15
	v_mul_f32_e32 v8, v11, v8
	s_delay_alu instid0(VALU_DEP_1) | instskip(NEXT) | instid1(VALU_DEP_3)
	v_fmac_f32_e32 v7, v7, v8
	v_dual_add_f32 v9, v9, v10 :: v_dual_sub_f32 v10, v12, v4
	s_delay_alu instid0(VALU_DEP_1) | instskip(NEXT) | instid1(VALU_DEP_3)
	v_sub_f32_e32 v11, v12, v10
	v_dual_sub_f32 v5, v5, v10 :: v_dual_sub_f32 v10, 0x3fc90fdb, v7
	s_delay_alu instid0(VALU_DEP_2) | instskip(NEXT) | instid1(VALU_DEP_1)
	v_sub_f32_e32 v4, v4, v11
	v_dual_add_f32 v9, v12, v9 :: v_dual_add_f32 v4, v5, v4
	s_delay_alu instid0(VALU_DEP_1) | instskip(NEXT) | instid1(VALU_DEP_1)
	v_add_f32_e32 v12, v14, v9
	v_sub_f32_e32 v8, v12, v14
	s_delay_alu instid0(VALU_DEP_1) | instskip(SKIP_2) | instid1(VALU_DEP_3)
	v_sub_f32_e32 v5, v9, v8
	v_cndmask_b32_e64 v8, 0, 0x40490fdb, vcc_lo
	v_cmp_eq_f32_e32 vcc_lo, 0x7f800000, v6
	v_add_f32_e32 v4, v4, v5
	v_cndmask_b32_e64 v7, v7, v10, s0
	s_or_b32 vcc_lo, vcc_lo, s5
	s_delay_alu instid0(VALU_DEP_1) | instskip(NEXT) | instid1(VALU_DEP_1)
	v_dual_add_f32 v0, v12, v4 :: v_dual_sub_f32 v5, 0x40490fdb, v7
	v_cndmask_b32_e32 v0, v0, v6, vcc_lo
	s_delay_alu instid0(VALU_DEP_2) | instskip(SKIP_2) | instid1(VALU_DEP_3)
	v_cndmask_b32_e64 v4, v7, v5, s1
	v_cmp_eq_f32_e32 vcc_lo, 0, v1
	v_mov_b32_e32 v9, 0x4016cbe4
                                        ; implicit-def: $vgpr6
	v_cndmask_b32_e32 v4, v4, v8, vcc_lo
	s_delay_alu instid0(VALU_DEP_2) | instskip(SKIP_2) | instid1(VALU_DEP_2)
	v_cndmask_b32_e64 v7, 0x3f490fdb, v9, s1
	s_and_b32 vcc_lo, s4, s6
	v_mul_f32_e32 v5, 0.5, v0
                                        ; implicit-def: $vgpr0
	v_cndmask_b32_e32 v4, v4, v7, vcc_lo
.LBB81_21:
	s_and_not1_saveexec_b32 s3, s3
	s_cbranch_execz .LBB81_23
; %bb.22:
	v_max_f32_e64 v4, |v1|, |v1|
	v_max_f32_e64 v5, |v0|, |v0|
	s_mov_b32 s1, 0x3b2d2a58
	v_cmp_gt_i32_e32 vcc_lo, 0, v0
	v_cmp_class_f32_e64 s4, v0, 0x204
	v_cmp_class_f32_e64 s5, v1, 0x204
	v_max_f32_e32 v7, v5, v4
	v_min_f32_e32 v4, v5, v4
	s_delay_alu instid0(VALU_DEP_2) | instskip(NEXT) | instid1(VALU_DEP_1)
	v_frexp_mant_f32_e32 v8, v7
	v_rcp_f32_e32 v5, v8
	s_delay_alu instid0(VALU_DEP_2) | instskip(SKIP_4) | instid1(VALU_DEP_1)
	v_frexp_exp_i32_f32_e32 v8, v4
	v_frexp_mant_f32_e32 v4, v4
	s_waitcnt_depctr 0xfff
	v_mul_f32_e32 v4, v4, v5
	v_frexp_exp_i32_f32_e32 v7, v7
	v_sub_nc_u32_e32 v7, v8, v7
	v_cndmask_b32_e64 v8, 0, 0x40490fdb, vcc_lo
	v_cmp_gt_f32_e32 vcc_lo, 0, v0
	s_delay_alu instid0(VALU_DEP_3) | instskip(NEXT) | instid1(VALU_DEP_1)
	v_ldexp_f32 v4, v4, v7
	v_mul_f32_e32 v5, v4, v4
	s_delay_alu instid0(VALU_DEP_1) | instskip(SKIP_1) | instid1(VALU_DEP_2)
	v_fmaak_f32 v7, s1, v5, 0xbc7a590c
	v_cmp_eq_f32_e64 s1, 0, v1
	v_fmaak_f32 v7, v5, v7, 0x3d29fb3f
	s_delay_alu instid0(VALU_DEP_1) | instskip(NEXT) | instid1(VALU_DEP_1)
	v_fmaak_f32 v7, v5, v7, 0xbd97d4d7
	v_fmaak_f32 v7, v5, v7, 0x3dd931b2
	s_delay_alu instid0(VALU_DEP_1) | instskip(NEXT) | instid1(VALU_DEP_1)
	v_fmaak_f32 v7, v5, v7, 0xbe1160e6
	;; [unrolled: 3-line block ×3, first 2 shown]
	v_mul_f32_e32 v5, v5, v7
	s_delay_alu instid0(VALU_DEP_1) | instskip(NEXT) | instid1(VALU_DEP_1)
	v_fmac_f32_e32 v4, v4, v5
	v_sub_f32_e32 v5, 0x3fc90fdb, v4
	s_delay_alu instid0(VALU_DEP_1) | instskip(NEXT) | instid1(VALU_DEP_1)
	v_cndmask_b32_e64 v4, v4, v5, s0
	v_sub_f32_e32 v5, 0x40490fdb, v4
	s_delay_alu instid0(VALU_DEP_1) | instskip(SKIP_1) | instid1(VALU_DEP_2)
	v_dual_cndmask_b32 v4, v4, v5 :: v_dual_mov_b32 v5, 0x4016cbe4
	v_mul_f32_e32 v7, 0.5, v6
	v_cndmask_b32_e64 v0, v4, v8, s1
	s_delay_alu instid0(VALU_DEP_3) | instskip(SKIP_1) | instid1(VALU_DEP_1)
	v_cndmask_b32_e32 v4, 0x3f490fdb, v5, vcc_lo
	s_and_b32 vcc_lo, s4, s5
	v_dual_mul_f32 v5, v6, v7 :: v_dual_cndmask_b32 v4, v0, v4
.LBB81_23:
	s_or_b32 exec_lo, exec_lo, s3
.LBB81_24:
	s_delay_alu instid0(SALU_CYCLE_1)
	s_or_b32 exec_lo, exec_lo, s2
                                        ; implicit-def: $vgpr0
.LBB81_25:
	s_and_not1_saveexec_b32 s2, s8
	s_cbranch_execz .LBB81_27
; %bb.26:
	v_div_scale_f32 v4, null, 0x402df854, 0x402df854, v0
	v_div_scale_f32 v5, null, 0x402df854, 0x402df854, v1
	v_div_scale_f32 v10, vcc_lo, v0, 0x402df854, v0
	s_delay_alu instid0(VALU_DEP_3) | instskip(NEXT) | instid1(VALU_DEP_2)
	v_rcp_f32_e32 v6, v4
	v_rcp_f32_e32 v7, v5
	v_cmp_class_f32_e64 s3, v1, 0x204
	s_waitcnt_depctr 0xfff
	v_fma_f32 v8, -v4, v6, 1.0
	v_fma_f32 v9, -v5, v7, 1.0
	s_delay_alu instid0(VALU_DEP_1) | instskip(SKIP_1) | instid1(VALU_DEP_2)
	v_dual_fmac_f32 v6, v8, v6 :: v_dual_fmac_f32 v7, v9, v7
	v_div_scale_f32 v8, s1, v1, 0x402df854, v1
	v_mul_f32_e32 v9, v10, v6
	s_delay_alu instid0(VALU_DEP_1) | instskip(NEXT) | instid1(VALU_DEP_1)
	v_fma_f32 v12, -v4, v9, v10
	v_fmac_f32_e32 v9, v12, v6
	s_delay_alu instid0(VALU_DEP_1) | instskip(NEXT) | instid1(VALU_DEP_1)
	v_fma_f32 v4, -v4, v9, v10
	v_div_fmas_f32 v4, v4, v6, v9
	v_max_f32_e64 v9, |v0|, |v0|
	v_mul_f32_e32 v11, v8, v7
	s_mov_b32 vcc_lo, s1
	s_mov_b32 s1, 0x3b2d2a58
	v_div_fixup_f32 v6, v4, 0x402df854, v0
	s_delay_alu instid0(VALU_DEP_2) | instskip(NEXT) | instid1(VALU_DEP_1)
	v_fma_f32 v13, -v5, v11, v8
	v_fmac_f32_e32 v11, v13, v7
	s_delay_alu instid0(VALU_DEP_1) | instskip(NEXT) | instid1(VALU_DEP_1)
	v_fma_f32 v5, -v5, v11, v8
	v_div_fmas_f32 v5, v5, v7, v11
	s_delay_alu instid0(VALU_DEP_1) | instskip(NEXT) | instid1(VALU_DEP_1)
	v_div_fixup_f32 v7, v5, 0x402df854, v1
	v_max_f32_e64 v8, |v6|, |v7|
	s_delay_alu instid0(VALU_DEP_1) | instskip(SKIP_1) | instid1(VALU_DEP_2)
	v_cvt_f64_f32_e32 v[4:5], v8
	v_cmp_neq_f32_e32 vcc_lo, 0x7f800000, v8
	v_frexp_exp_i32_f64_e32 v4, v[4:5]
	v_max_f32_e64 v5, |v1|, |v1|
	s_delay_alu instid0(VALU_DEP_1) | instskip(SKIP_1) | instid1(VALU_DEP_2)
	v_max_f32_e32 v10, v9, v5
	v_min_f32_e32 v5, v9, v5
	v_frexp_mant_f32_e32 v11, v10
	v_frexp_exp_i32_f32_e32 v10, v10
	s_delay_alu instid0(VALU_DEP_3) | instskip(SKIP_1) | instid1(VALU_DEP_4)
	v_frexp_exp_i32_f32_e32 v12, v5
	v_frexp_mant_f32_e32 v5, v5
	v_rcp_f32_e32 v9, v11
	s_delay_alu instid0(VALU_DEP_2) | instskip(SKIP_1) | instid1(VALU_DEP_1)
	v_sub_nc_u32_e32 v10, v12, v10
	v_sub_nc_u32_e32 v11, 0, v4
	v_ldexp_f32 v7, |v7|, v11
	v_ldexp_f32 v6, |v6|, v11
	s_delay_alu instid0(VALU_DEP_2) | instskip(NEXT) | instid1(VALU_DEP_1)
	v_mul_f32_e32 v7, v7, v7
	v_fmac_f32_e32 v7, v6, v6
	s_delay_alu instid0(VALU_DEP_1) | instskip(SKIP_2) | instid1(VALU_DEP_1)
	v_sqrt_f32_e32 v7, v7
	s_waitcnt_depctr 0xfff
	v_ldexp_f32 v4, v7, v4
	v_cndmask_b32_e32 v4, 0x7f800000, v4, vcc_lo
	s_delay_alu instid0(VALU_DEP_1) | instskip(SKIP_1) | instid1(VALU_DEP_1)
	v_cmp_gt_f32_e32 vcc_lo, 0x800000, v4
	v_cndmask_b32_e64 v8, 1.0, 0x4f800000, vcc_lo
	v_mul_f32_e32 v4, v4, v8
	s_delay_alu instid0(VALU_DEP_1) | instskip(SKIP_1) | instid1(VALU_DEP_1)
	v_log_f32_e32 v4, v4
	v_mul_f32_e32 v5, v5, v9
	v_ldexp_f32 v5, v5, v10
	v_cndmask_b32_e64 v10, 0, 0x41b17218, vcc_lo
	s_waitcnt_depctr 0xfff
	v_cmp_gt_f32_e64 vcc_lo, 0x7f800000, |v4|
	v_mul_f32_e32 v6, v5, v5
	s_delay_alu instid0(VALU_DEP_1) | instskip(SKIP_1) | instid1(VALU_DEP_2)
	v_fmaak_f32 v9, s1, v6, 0xbc7a590c
	v_cmp_class_f32_e64 s1, v0, 0x204
	v_fmaak_f32 v9, v6, v9, 0x3d29fb3f
	s_delay_alu instid0(VALU_DEP_1) | instskip(SKIP_1) | instid1(VALU_DEP_2)
	v_fmaak_f32 v7, v6, v9, 0xbd97d4d7
	v_mov_b32_e32 v9, 0x4016cbe4
	v_fmaak_f32 v7, v6, v7, 0x3dd931b2
	s_delay_alu instid0(VALU_DEP_1) | instskip(NEXT) | instid1(VALU_DEP_1)
	v_fmaak_f32 v7, v6, v7, 0xbe1160e6
	v_fmaak_f32 v7, v6, v7, 0x3e4cb8bf
	s_delay_alu instid0(VALU_DEP_1) | instskip(NEXT) | instid1(VALU_DEP_1)
	v_fmaak_f32 v7, v6, v7, 0xbeaaaa62
	v_dual_mul_f32 v6, v6, v7 :: v_dual_mul_f32 v7, 0x3f317217, v4
	s_delay_alu instid0(VALU_DEP_1) | instskip(NEXT) | instid1(VALU_DEP_2)
	v_fmac_f32_e32 v5, v5, v6
	v_fma_f32 v6, 0x3f317217, v4, -v7
	s_delay_alu instid0(VALU_DEP_2) | instskip(NEXT) | instid1(VALU_DEP_2)
	v_sub_f32_e32 v8, 0x3fc90fdb, v5
	v_fmamk_f32 v6, v4, 0x3377d1cf, v6
	s_delay_alu instid0(VALU_DEP_2) | instskip(SKIP_1) | instid1(VALU_DEP_2)
	v_cndmask_b32_e64 v5, v5, v8, s0
	v_cmp_gt_i32_e64 s0, 0, v0
	v_dual_add_f32 v6, v7, v6 :: v_dual_sub_f32 v7, 0x40490fdb, v5
	s_delay_alu instid0(VALU_DEP_2) | instskip(SKIP_1) | instid1(VALU_DEP_3)
	v_cndmask_b32_e64 v8, 0, 0x40490fdb, s0
	v_cmp_gt_f32_e64 s0, 0, v0
	v_cndmask_b32_e32 v4, v4, v6, vcc_lo
	v_cmp_eq_f32_e32 vcc_lo, 0, v1
	s_delay_alu instid0(VALU_DEP_3) | instskip(SKIP_1) | instid1(VALU_DEP_4)
	v_cndmask_b32_e64 v0, v5, v7, s0
	v_cndmask_b32_e64 v6, 0x3f490fdb, v9, s0
	v_sub_f32_e32 v4, v4, v10
	s_delay_alu instid0(VALU_DEP_3) | instskip(SKIP_1) | instid1(VALU_DEP_1)
	v_cndmask_b32_e32 v0, v0, v8, vcc_lo
	s_and_b32 vcc_lo, s1, s3
	v_dual_add_f32 v5, 1.0, v4 :: v_dual_cndmask_b32 v4, v0, v6
.LBB81_27:
	s_or_b32 exec_lo, exec_lo, s2
                                        ; implicit-def: $vgpr0
.LBB81_28:
	s_and_not1_saveexec_b32 s0, s7
	s_cbranch_execz .LBB81_34
; %bb.29:
	v_cmp_ngt_f32_e64 s1, 0x20000000, |v0|
	v_cmp_ngt_f32_e64 s2, 0x20000000, |v1|
                                        ; implicit-def: $vgpr4
	s_delay_alu instid0(VALU_DEP_1) | instskip(NEXT) | instid1(SALU_CYCLE_1)
	s_or_b32 s1, s1, s2
	s_and_saveexec_b32 s2, s1
	s_delay_alu instid0(SALU_CYCLE_1)
	s_xor_b32 s1, exec_lo, s2
; %bb.30:
	v_mul_f32_e32 v4, v1, v1
	s_delay_alu instid0(VALU_DEP_1)
	v_fmac_f32_e32 v4, v0, v0
                                        ; implicit-def: $vgpr0
; %bb.31:
	s_and_not1_saveexec_b32 s1, s1
; %bb.32:
	v_mul_f32_e32 v4, 4.0, v1
	v_mul_f32_e32 v0, 4.0, v0
	s_delay_alu instid0(VALU_DEP_2) | instskip(NEXT) | instid1(VALU_DEP_1)
	v_mul_f32_e32 v4, v4, v4
	v_fmac_f32_e32 v4, v0, v0
	s_delay_alu instid0(VALU_DEP_1)
	v_mul_f32_e32 v4, 0x3d800000, v4
; %bb.33:
	s_or_b32 exec_lo, exec_lo, s1
	s_delay_alu instid0(VALU_DEP_1) | instskip(SKIP_1) | instid1(VALU_DEP_1)
	v_cmp_gt_f32_e32 vcc_lo, 0x800000, v4
	v_cndmask_b32_e64 v0, 1.0, 0x4f800000, vcc_lo
	v_mul_f32_e32 v0, v4, v0
	s_delay_alu instid0(VALU_DEP_1) | instskip(SKIP_2) | instid1(VALU_DEP_1)
	v_log_f32_e32 v0, v0
	s_waitcnt_depctr 0xfff
	v_mul_f32_e32 v4, 0x3f317217, v0
	v_fma_f32 v5, 0x3f317217, v0, -v4
	s_delay_alu instid0(VALU_DEP_1) | instskip(NEXT) | instid1(VALU_DEP_1)
	v_fmamk_f32 v5, v0, 0x3377d1cf, v5
	v_add_f32_e32 v4, v4, v5
	v_cndmask_b32_e64 v5, 0, 0x41b17218, vcc_lo
	v_cmp_gt_f32_e64 vcc_lo, 0x7f800000, |v0|
	s_delay_alu instid0(VALU_DEP_3) | instskip(NEXT) | instid1(VALU_DEP_1)
	v_cndmask_b32_e32 v0, v0, v4, vcc_lo
	v_dual_mov_b32 v4, 0x7fc00000 :: v_dual_sub_f32 v5, v0, v5
.LBB81_34:
	s_or_b32 exec_lo, exec_lo, s0
	s_delay_alu instid0(VALU_DEP_1) | instskip(SKIP_1) | instid1(VALU_DEP_1)
	v_bfi_b32 v0, 0x7fffffff, v4, v1
	s_mov_b32 s0, exec_lo
	v_mul_f32_e64 v4, v0, -v3
	s_delay_alu instid0(VALU_DEP_1) | instskip(NEXT) | instid1(VALU_DEP_1)
	v_dual_mul_f32 v1, v5, v3 :: v_dual_fmac_f32 v4, v2, v5
	v_fmac_f32_e32 v1, v2, v0
                                        ; implicit-def: $vgpr0
	s_delay_alu instid0(VALU_DEP_1) | instskip(NEXT) | instid1(VALU_DEP_1)
	v_and_b32_e32 v3, 0x7fffffff, v1
	v_cmpx_ne_u32_e32 0, v3
	s_xor_b32 s3, exec_lo, s0
	s_cbranch_execz .LBB81_40
; %bb.35:
	v_and_b32_e32 v2, 0x7fffffff, v4
                                        ; implicit-def: $vgpr0
	s_mov_b32 s0, exec_lo
	s_delay_alu instid0(VALU_DEP_1)
	v_cmpx_ne_u32_e32 0, v2
	s_xor_b32 s4, exec_lo, s0
	s_cbranch_execz .LBB81_67
; %bb.36:
                                        ; implicit-def: $vgpr0
	s_mov_b32 s0, exec_lo
	v_cmpx_gt_u32_e32 0x7f800000, v3
	s_xor_b32 s5, exec_lo, s0
	s_cbranch_execz .LBB81_60
; %bb.37:
	v_add_nc_u32_e32 v0, 0xbd4e8de8, v4
	s_delay_alu instid0(VALU_DEP_1) | instskip(SKIP_1) | instid1(SALU_CYCLE_1)
	v_cmp_lt_u32_e32 vcc_lo, 0x8e8e5c, v0
                                        ; implicit-def: $vgpr0
	s_and_saveexec_b32 s0, vcc_lo
	s_xor_b32 s6, exec_lo, s0
	s_cbranch_execz .LBB81_49
; %bb.38:
	v_cmp_ngt_f32_e64 s7, 0x48000000, |v1|
                                        ; implicit-def: $vgpr2
                                        ; implicit-def: $vgpr0
	s_delay_alu instid0(VALU_DEP_1) | instskip(NEXT) | instid1(SALU_CYCLE_1)
	s_and_saveexec_b32 s0, s7
	s_xor_b32 s8, exec_lo, s0
	s_cbranch_execz .LBB81_42
; %bb.39:
	s_mov_b32 s0, 0x7fffff
	v_mov_b32_e32 v7, 0
	v_and_or_b32 v0, v3, s0, 0x800000
	v_lshrrev_b32_e32 v2, 23, v3
	s_delay_alu instid0(VALU_DEP_2) | instskip(NEXT) | instid1(VALU_DEP_1)
	v_mad_u64_u32 v[5:6], null, 0xfe5163ab, v0, 0
	v_mad_u64_u32 v[8:9], null, 0x3c439041, v0, v[6:7]
	s_delay_alu instid0(VALU_DEP_1) | instskip(NEXT) | instid1(VALU_DEP_1)
	v_mov_b32_e32 v6, v9
	v_mad_u64_u32 v[9:10], null, 0xdb629599, v0, v[6:7]
	v_add_nc_u32_e32 v2, 0xffffff88, v2
	s_delay_alu instid0(VALU_DEP_1) | instskip(NEXT) | instid1(VALU_DEP_3)
	v_cmp_lt_u32_e32 vcc_lo, 63, v2
	v_mov_b32_e32 v6, v10
	v_cndmask_b32_e64 v13, 0, 0xffffffc0, vcc_lo
	s_delay_alu instid0(VALU_DEP_2) | instskip(SKIP_1) | instid1(VALU_DEP_3)
	v_mad_u64_u32 v[10:11], null, 0xf534ddc0, v0, v[6:7]
	v_cndmask_b32_e32 v5, v9, v5, vcc_lo
	v_add_nc_u32_e32 v2, v13, v2
	s_delay_alu instid0(VALU_DEP_3) | instskip(NEXT) | instid1(VALU_DEP_2)
	v_mov_b32_e32 v6, v11
	v_cmp_lt_u32_e64 s0, 31, v2
	s_delay_alu instid0(VALU_DEP_2) | instskip(NEXT) | instid1(VALU_DEP_2)
	v_mad_u64_u32 v[11:12], null, 0xfc2757d1, v0, v[6:7]
	v_cndmask_b32_e64 v14, 0, 0xffffffe0, s0
	s_delay_alu instid0(VALU_DEP_1) | instskip(NEXT) | instid1(VALU_DEP_3)
	v_add_nc_u32_e32 v2, v14, v2
	v_mov_b32_e32 v6, v12
	s_delay_alu instid0(VALU_DEP_2) | instskip(NEXT) | instid1(VALU_DEP_2)
	v_cmp_lt_u32_e64 s1, 31, v2
	v_mad_u64_u32 v[12:13], null, 0x4e441529, v0, v[6:7]
	s_delay_alu instid0(VALU_DEP_1) | instskip(NEXT) | instid1(VALU_DEP_1)
	v_mov_b32_e32 v6, v13
	v_mad_u64_u32 v[13:14], null, 0xa2f9836e, v0, v[6:7]
	s_delay_alu instid0(VALU_DEP_4) | instskip(NEXT) | instid1(VALU_DEP_4)
	v_cndmask_b32_e64 v0, 0, 0xffffffe0, s1
	v_cndmask_b32_e32 v6, v12, v10, vcc_lo
	s_delay_alu instid0(VALU_DEP_2) | instskip(NEXT) | instid1(VALU_DEP_4)
	v_dual_cndmask_b32 v7, v13, v11 :: v_dual_add_nc_u32 v0, v0, v2
	v_dual_cndmask_b32 v12, v14, v12 :: v_dual_cndmask_b32 v11, v11, v9
	v_cndmask_b32_e32 v2, v10, v8, vcc_lo
	s_delay_alu instid0(VALU_DEP_3) | instskip(NEXT) | instid1(VALU_DEP_4)
	v_sub_nc_u32_e32 v10, 32, v0
	v_cndmask_b32_e64 v8, v7, v6, s0
	s_delay_alu instid0(VALU_DEP_4)
	v_cndmask_b32_e64 v7, v12, v7, s0
	v_cndmask_b32_e64 v6, v6, v11, s0
	v_cndmask_b32_e64 v11, v11, v2, s0
	v_cmp_eq_u32_e64 s2, 0, v0
	v_cndmask_b32_e64 v2, v2, v5, s0
	v_cndmask_b32_e64 v7, v7, v8, s1
	v_cndmask_b32_e64 v8, v8, v6, s1
	v_cndmask_b32_e64 v6, v6, v11, s1
	s_delay_alu instid0(VALU_DEP_4) | instskip(NEXT) | instid1(VALU_DEP_3)
	v_cndmask_b32_e64 v2, v11, v2, s1
	v_alignbit_b32 v12, v7, v8, v10
	s_delay_alu instid0(VALU_DEP_3) | instskip(NEXT) | instid1(VALU_DEP_3)
	v_alignbit_b32 v13, v8, v6, v10
	v_alignbit_b32 v10, v6, v2, v10
	s_delay_alu instid0(VALU_DEP_3) | instskip(NEXT) | instid1(VALU_DEP_3)
	v_cndmask_b32_e64 v0, v12, v7, s2
	v_cndmask_b32_e64 v7, v13, v8, s2
	s_delay_alu instid0(VALU_DEP_3) | instskip(NEXT) | instid1(VALU_DEP_3)
	v_cndmask_b32_e64 v6, v10, v6, s2
	v_bfe_u32 v8, v0, 29, 1
	s_delay_alu instid0(VALU_DEP_3) | instskip(NEXT) | instid1(VALU_DEP_3)
	v_alignbit_b32 v5, v0, v7, 30
	v_alignbit_b32 v7, v7, v6, 30
	;; [unrolled: 1-line block ×3, first 2 shown]
	s_delay_alu instid0(VALU_DEP_4) | instskip(NEXT) | instid1(VALU_DEP_1)
	v_sub_nc_u32_e32 v9, 0, v8
	v_xor_b32_e32 v11, v5, v9
	v_cmp_ne_u32_e32 vcc_lo, v5, v9
	v_xor_b32_e32 v6, v7, v9
	v_xor_b32_e32 v2, v2, v9
	s_delay_alu instid0(VALU_DEP_4) | instskip(NEXT) | instid1(VALU_DEP_1)
	v_clz_i32_u32_e32 v12, v11
	v_add_nc_u32_e32 v10, 1, v12
	s_delay_alu instid0(VALU_DEP_1) | instskip(NEXT) | instid1(VALU_DEP_1)
	v_cndmask_b32_e32 v5, 33, v10, vcc_lo
	v_sub_nc_u32_e32 v7, 32, v5
	s_delay_alu instid0(VALU_DEP_1) | instskip(SKIP_2) | instid1(VALU_DEP_2)
	v_alignbit_b32 v9, v11, v6, v7
	v_alignbit_b32 v2, v6, v2, v7
	v_lshrrev_b32_e32 v6, 29, v0
	v_alignbit_b32 v7, v9, v2, 9
	s_delay_alu instid0(VALU_DEP_2) | instskip(SKIP_1) | instid1(VALU_DEP_3)
	v_lshlrev_b32_e32 v6, 31, v6
	v_alignbit_b32 v9, v5, v9, 9
	v_clz_i32_u32_e32 v10, v7
	s_delay_alu instid0(VALU_DEP_2) | instskip(SKIP_1) | instid1(VALU_DEP_3)
	v_or_b32_e32 v9, v9, v6
	v_or_b32_e32 v6, 0x33800000, v6
	v_min_u32_e32 v10, 32, v10
	s_delay_alu instid0(VALU_DEP_3) | instskip(NEXT) | instid1(VALU_DEP_2)
	v_xor_b32_e32 v9, 1.0, v9
	v_sub_nc_u32_e32 v11, 31, v10
	v_add_lshl_u32 v5, v10, v5, 23
	s_delay_alu instid0(VALU_DEP_3) | instskip(NEXT) | instid1(VALU_DEP_3)
	v_mul_f32_e32 v10, 0x3fc90fda, v9
	v_alignbit_b32 v2, v7, v2, v11
	s_delay_alu instid0(VALU_DEP_3) | instskip(NEXT) | instid1(VALU_DEP_3)
	v_sub_nc_u32_e32 v5, v6, v5
	v_fma_f32 v6, 0x3fc90fda, v9, -v10
	s_delay_alu instid0(VALU_DEP_3) | instskip(NEXT) | instid1(VALU_DEP_2)
	v_lshrrev_b32_e32 v2, 9, v2
	v_fmamk_f32 v6, v9, 0x33a22168, v6
	s_delay_alu instid0(VALU_DEP_2) | instskip(NEXT) | instid1(VALU_DEP_1)
	v_or_b32_e32 v2, v5, v2
	v_fmac_f32_e32 v6, 0x3fc90fda, v2
	v_lshrrev_b32_e32 v2, 30, v0
	s_delay_alu instid0(VALU_DEP_2) | instskip(NEXT) | instid1(VALU_DEP_2)
	v_add_f32_e32 v0, v10, v6
	v_add_nc_u32_e32 v2, v8, v2
	s_and_not1_saveexec_b32 s0, s8
	s_branch .LBB81_43
.LBB81_40:
	s_and_not1_saveexec_b32 s0, s3
	s_cbranch_execz .LBB81_78
.LBB81_41:
	v_mul_f32_e32 v0, 0x3fb8aa3b, v4
	v_cmp_ngt_f32_e32 vcc_lo, 0xc2ce8ed0, v4
	s_delay_alu instid0(VALU_DEP_2) | instskip(SKIP_1) | instid1(VALU_DEP_2)
	v_rndne_f32_e32 v2, v0
	v_fma_f32 v3, 0x3fb8aa3b, v4, -v0
	v_sub_f32_e32 v0, v0, v2
	s_delay_alu instid0(VALU_DEP_2) | instskip(SKIP_1) | instid1(VALU_DEP_2)
	v_fmamk_f32 v3, v4, 0x32a5705f, v3
	v_cvt_i32_f32_e32 v2, v2
	v_add_f32_e32 v0, v0, v3
	s_delay_alu instid0(VALU_DEP_1) | instskip(SKIP_2) | instid1(VALU_DEP_1)
	v_exp_f32_e32 v0, v0
	s_waitcnt_depctr 0xfff
	v_ldexp_f32 v0, v0, v2
	v_cndmask_b32_e32 v0, 0, v0, vcc_lo
	v_cmp_nlt_f32_e32 vcc_lo, 0x42b17218, v4
	s_delay_alu instid0(VALU_DEP_2)
	v_cndmask_b32_e32 v0, 0x7f800000, v0, vcc_lo
	s_or_b32 exec_lo, exec_lo, s0
	s_setpc_b64 s[30:31]
.LBB81_42:
	s_and_not1_saveexec_b32 s0, s8
.LBB81_43:
	v_mul_f32_e64 v0, 0x3f22f983, |v1|
	s_delay_alu instid0(VALU_DEP_1) | instskip(NEXT) | instid1(VALU_DEP_1)
	v_rndne_f32_e32 v2, v0
	v_fma_f32 v0, 0xbfc90fda, v2, |v1|
	s_delay_alu instid0(VALU_DEP_1) | instskip(NEXT) | instid1(VALU_DEP_1)
	v_fmamk_f32 v0, v2, 0xb3a22168, v0
	v_fmamk_f32 v0, v2, 0xa7c234c4, v0
	v_cvt_i32_f32_e32 v2, v2
; %bb.44:
	s_or_b32 exec_lo, exec_lo, s0
                                        ; implicit-def: $vgpr6
                                        ; implicit-def: $vgpr5
	s_and_saveexec_b32 s0, s7
	s_delay_alu instid0(SALU_CYCLE_1)
	s_xor_b32 s7, exec_lo, s0
	s_cbranch_execz .LBB81_46
; %bb.45:
	s_mov_b32 s0, 0x7fffff
	v_mov_b32_e32 v7, 0
	v_and_or_b32 v15, v3, s0, 0x800000
	v_lshrrev_b32_e32 v12, 23, v3
	s_delay_alu instid0(VALU_DEP_2) | instskip(NEXT) | instid1(VALU_DEP_2)
	v_mad_u64_u32 v[5:6], null, 0xfe5163ab, v15, 0
	v_add_nc_u32_e32 v13, 0xffffff88, v12
	s_delay_alu instid0(VALU_DEP_1) | instskip(NEXT) | instid1(VALU_DEP_3)
	v_cmp_lt_u32_e32 vcc_lo, 63, v13
	v_mad_u64_u32 v[8:9], null, 0x3c439041, v15, v[6:7]
	v_cndmask_b32_e64 v14, 0, 0xffffffc0, vcc_lo
	s_delay_alu instid0(VALU_DEP_2) | instskip(NEXT) | instid1(VALU_DEP_2)
	v_mov_b32_e32 v6, v9
	v_add_nc_u32_e32 v14, v14, v13
	s_delay_alu instid0(VALU_DEP_2) | instskip(NEXT) | instid1(VALU_DEP_2)
	v_mad_u64_u32 v[9:10], null, 0xdb629599, v15, v[6:7]
	v_cmp_lt_u32_e64 s0, 31, v14
	s_delay_alu instid0(VALU_DEP_1) | instskip(NEXT) | instid1(VALU_DEP_3)
	v_cndmask_b32_e64 v16, 0, 0xffffffe0, s0
	v_dual_mov_b32 v6, v10 :: v_dual_cndmask_b32 v5, v9, v5
	s_delay_alu instid0(VALU_DEP_2) | instskip(NEXT) | instid1(VALU_DEP_2)
	v_add_nc_u32_e32 v16, v16, v14
	v_mad_u64_u32 v[10:11], null, 0xf534ddc0, v15, v[6:7]
	s_delay_alu instid0(VALU_DEP_2) | instskip(NEXT) | instid1(VALU_DEP_2)
	v_cmp_lt_u32_e64 s1, 31, v16
	v_mov_b32_e32 v6, v11
	s_delay_alu instid0(VALU_DEP_3) | instskip(NEXT) | instid1(VALU_DEP_2)
	v_cndmask_b32_e32 v8, v10, v8, vcc_lo
	v_mad_u64_u32 v[11:12], null, 0xfc2757d1, v15, v[6:7]
	s_delay_alu instid0(VALU_DEP_2) | instskip(NEXT) | instid1(VALU_DEP_2)
	v_cndmask_b32_e64 v5, v8, v5, s0
	v_mov_b32_e32 v6, v12
	s_delay_alu instid0(VALU_DEP_1) | instskip(NEXT) | instid1(VALU_DEP_1)
	v_mad_u64_u32 v[12:13], null, 0x4e441529, v15, v[6:7]
	v_mov_b32_e32 v6, v13
	s_delay_alu instid0(VALU_DEP_1) | instskip(SKIP_1) | instid1(VALU_DEP_1)
	v_mad_u64_u32 v[13:14], null, 0xa2f9836e, v15, v[6:7]
	v_cndmask_b32_e64 v6, 0, 0xffffffe0, s1
	v_dual_cndmask_b32 v7, v12, v10 :: v_dual_add_nc_u32 v6, v6, v16
	s_delay_alu instid0(VALU_DEP_3) | instskip(NEXT) | instid1(VALU_DEP_4)
	v_cndmask_b32_e32 v13, v13, v11, vcc_lo
	v_dual_cndmask_b32 v11, v11, v9 :: v_dual_cndmask_b32 v12, v14, v12
	s_delay_alu instid0(VALU_DEP_3) | instskip(NEXT) | instid1(VALU_DEP_3)
	v_cmp_eq_u32_e64 s2, 0, v6
	v_cndmask_b32_e64 v10, v13, v7, s0
	s_delay_alu instid0(VALU_DEP_3) | instskip(NEXT) | instid1(VALU_DEP_4)
	v_cndmask_b32_e64 v7, v7, v11, s0
	v_cndmask_b32_e64 v12, v12, v13, s0
	v_sub_nc_u32_e32 v13, 32, v6
	v_cndmask_b32_e64 v11, v11, v8, s0
	s_delay_alu instid0(VALU_DEP_3) | instskip(SKIP_1) | instid1(VALU_DEP_3)
	v_cndmask_b32_e64 v12, v12, v10, s1
	v_cndmask_b32_e64 v10, v10, v7, s1
	;; [unrolled: 1-line block ×4, first 2 shown]
	s_delay_alu instid0(VALU_DEP_3) | instskip(NEXT) | instid1(VALU_DEP_3)
	v_alignbit_b32 v14, v12, v10, v13
	v_alignbit_b32 v15, v10, v7, v13
	s_delay_alu instid0(VALU_DEP_3) | instskip(NEXT) | instid1(VALU_DEP_3)
	v_alignbit_b32 v13, v7, v5, v13
	v_cndmask_b32_e64 v6, v14, v12, s2
	s_delay_alu instid0(VALU_DEP_3) | instskip(NEXT) | instid1(VALU_DEP_3)
	v_cndmask_b32_e64 v9, v15, v10, s2
	v_cndmask_b32_e64 v7, v13, v7, s2
	s_delay_alu instid0(VALU_DEP_3) | instskip(NEXT) | instid1(VALU_DEP_3)
	v_bfe_u32 v10, v6, 29, 1
	v_alignbit_b32 v8, v6, v9, 30
	s_delay_alu instid0(VALU_DEP_3) | instskip(SKIP_1) | instid1(VALU_DEP_4)
	v_alignbit_b32 v9, v9, v7, 30
	v_alignbit_b32 v5, v7, v5, 30
	v_sub_nc_u32_e32 v12, 0, v10
	s_delay_alu instid0(VALU_DEP_1) | instskip(SKIP_3) | instid1(VALU_DEP_4)
	v_xor_b32_e32 v11, v8, v12
	v_cmp_ne_u32_e32 vcc_lo, v8, v12
	v_xor_b32_e32 v7, v9, v12
	v_xor_b32_e32 v5, v5, v12
	v_clz_i32_u32_e32 v14, v11
	s_delay_alu instid0(VALU_DEP_1) | instskip(NEXT) | instid1(VALU_DEP_1)
	v_add_nc_u32_e32 v13, 1, v14
	v_cndmask_b32_e32 v8, 33, v13, vcc_lo
	s_delay_alu instid0(VALU_DEP_1) | instskip(NEXT) | instid1(VALU_DEP_1)
	v_sub_nc_u32_e32 v9, 32, v8
	v_alignbit_b32 v11, v11, v7, v9
	v_alignbit_b32 v5, v7, v5, v9
	v_lshrrev_b32_e32 v7, 29, v6
	v_lshrrev_b32_e32 v6, 30, v6
	s_delay_alu instid0(VALU_DEP_3) | instskip(NEXT) | instid1(VALU_DEP_3)
	v_alignbit_b32 v9, v11, v5, 9
	v_lshlrev_b32_e32 v7, 31, v7
	v_alignbit_b32 v11, v8, v11, 9
	s_delay_alu instid0(VALU_DEP_4) | instskip(NEXT) | instid1(VALU_DEP_4)
	v_add_nc_u32_e32 v6, v10, v6
	v_clz_i32_u32_e32 v12, v9
	s_delay_alu instid0(VALU_DEP_3) | instskip(SKIP_1) | instid1(VALU_DEP_3)
	v_or_b32_e32 v11, v11, v7
	v_or_b32_e32 v7, 0x33800000, v7
	v_min_u32_e32 v12, 32, v12
	s_delay_alu instid0(VALU_DEP_3) | instskip(NEXT) | instid1(VALU_DEP_2)
	v_xor_b32_e32 v11, 1.0, v11
	v_sub_nc_u32_e32 v13, 31, v12
	v_add_lshl_u32 v8, v12, v8, 23
	s_delay_alu instid0(VALU_DEP_3) | instskip(NEXT) | instid1(VALU_DEP_3)
	v_mul_f32_e32 v12, 0x3fc90fda, v11
	v_alignbit_b32 v5, v9, v5, v13
	s_delay_alu instid0(VALU_DEP_3) | instskip(NEXT) | instid1(VALU_DEP_3)
	v_sub_nc_u32_e32 v7, v7, v8
	v_fma_f32 v8, 0x3fc90fda, v11, -v12
	s_delay_alu instid0(VALU_DEP_3) | instskip(NEXT) | instid1(VALU_DEP_2)
	v_lshrrev_b32_e32 v5, 9, v5
	v_fmamk_f32 v8, v11, 0x33a22168, v8
	s_delay_alu instid0(VALU_DEP_2) | instskip(NEXT) | instid1(VALU_DEP_1)
	v_or_b32_e32 v5, v7, v5
	v_fmac_f32_e32 v8, 0x3fc90fda, v5
	s_delay_alu instid0(VALU_DEP_1)
	v_add_f32_e32 v5, v12, v8
	s_and_not1_saveexec_b32 s0, s7
	s_cbranch_execnz .LBB81_47
	s_branch .LBB81_48
.LBB81_46:
	s_and_not1_saveexec_b32 s0, s7
.LBB81_47:
	v_mul_f32_e64 v5, 0x3f22f983, |v1|
	s_delay_alu instid0(VALU_DEP_1) | instskip(NEXT) | instid1(VALU_DEP_1)
	v_rndne_f32_e32 v6, v5
	v_fma_f32 v5, 0xbfc90fda, v6, |v1|
	s_delay_alu instid0(VALU_DEP_1) | instskip(NEXT) | instid1(VALU_DEP_1)
	v_fmamk_f32 v5, v6, 0xb3a22168, v5
	v_fmamk_f32 v5, v6, 0xa7c234c4, v5
	v_cvt_i32_f32_e32 v6, v6
.LBB81_48:
	s_or_b32 exec_lo, exec_lo, s0
	v_mul_f32_e32 v7, 0x3fb8aa3b, v4
	v_dual_mul_f32 v8, v0, v0 :: v_dual_and_b32 v11, 1, v2
	v_lshlrev_b32_e32 v2, 30, v2
	s_mov_b32 s1, 0x37d75334
	s_delay_alu instid0(VALU_DEP_3) | instskip(SKIP_2) | instid1(SALU_CYCLE_1)
	v_rndne_f32_e32 v9, v7
	v_fma_f32 v10, 0x3fb8aa3b, v4, -v7
	s_mov_b32 s0, 0xb94c1982
	v_dual_mul_f32 v12, v5, v5 :: v_dual_fmaak_f32 v13, s0, v8, 0x3c0881c4
	s_delay_alu instid0(VALU_DEP_2)
	v_dual_sub_f32 v7, v7, v9 :: v_dual_fmamk_f32 v10, v4, 0x32a5705f, v10
	v_fmaak_f32 v14, s1, v8, 0xbab64f3b
	v_cvt_i32_f32_e32 v9, v9
	v_cmp_eq_u32_e32 vcc_lo, 0, v11
	v_and_b32_e32 v2, 0x80000000, v2
	v_dual_add_f32 v7, v7, v10 :: v_dual_fmaak_f32 v10, v8, v13, 0xbe2aaa9d
	s_delay_alu instid0(VALU_DEP_1)
	v_exp_f32_e32 v7, v7
	s_waitcnt_depctr 0xfff
	v_ldexp_f32 v7, v7, v9
	v_and_b32_e32 v9, 1, v6
	v_fmaak_f32 v13, v8, v14, 0x3d2aabf7
	v_dual_fmaak_f32 v15, s0, v12, 0x3c0881c4 :: v_dual_mul_f32 v10, v8, v10
	v_cmp_nlt_f32_e64 s0, 0x42b17218, v4
	s_delay_alu instid0(VALU_DEP_3) | instskip(NEXT) | instid1(VALU_DEP_3)
	v_dual_fmaak_f32 v13, v8, v13, 0xbf000004 :: v_dual_lshlrev_b32 v6, 30, v6
	v_fmac_f32_e32 v0, v0, v10
	s_delay_alu instid0(VALU_DEP_2) | instskip(NEXT) | instid1(VALU_DEP_3)
	v_and_or_b32 v3, 0x80000000, v6, v3
	v_fma_f32 v8, v8, v13, 1.0
	s_delay_alu instid0(VALU_DEP_1) | instskip(SKIP_2) | instid1(VALU_DEP_3)
	v_cndmask_b32_e64 v0, -v0, v8, vcc_lo
	v_cmp_eq_u32_e32 vcc_lo, 0, v9
	v_fmaak_f32 v14, v12, v15, 0xbe2aaa9d
	v_xor_b32_e32 v0, v2, v0
	s_delay_alu instid0(VALU_DEP_2) | instskip(NEXT) | instid1(VALU_DEP_1)
	v_mul_f32_e32 v14, v12, v14
	v_dual_fmaak_f32 v16, s1, v12, 0xbab64f3b :: v_dual_fmac_f32 v5, v5, v14
	s_delay_alu instid0(VALU_DEP_1) | instskip(NEXT) | instid1(VALU_DEP_1)
	v_fmaak_f32 v15, v12, v16, 0x3d2aabf7
	v_fmaak_f32 v15, v12, v15, 0xbf000004
	s_delay_alu instid0(VALU_DEP_1) | instskip(NEXT) | instid1(VALU_DEP_1)
	v_fma_f32 v10, v12, v15, 1.0
	v_cndmask_b32_e32 v5, v10, v5, vcc_lo
	v_cmp_ngt_f32_e32 vcc_lo, 0xc2ce8ed0, v4
                                        ; implicit-def: $vgpr4
	v_cndmask_b32_e32 v6, 0, v7, vcc_lo
	v_cmp_class_f32_e64 vcc_lo, v1, 0x1f8
	s_delay_alu instid0(VALU_DEP_4) | instskip(NEXT) | instid1(VALU_DEP_3)
	v_xor3_b32 v1, v3, v5, v1
                                        ; implicit-def: $vgpr3
	v_cndmask_b32_e64 v2, 0x7f800000, v6, s0
	v_cndmask_b32_e32 v0, 0x7fc00000, v0, vcc_lo
	s_delay_alu instid0(VALU_DEP_1) | instskip(NEXT) | instid1(VALU_DEP_1)
	v_dual_cndmask_b32 v1, 0x7fc00000, v1 :: v_dual_mul_f32 v0, v2, v0
	v_mul_f32_e32 v1, v2, v1
.LBB81_49:
	s_and_not1_saveexec_b32 s6, s6
	s_cbranch_execz .LBB81_52
; %bb.50:
	s_delay_alu instid0(VALU_DEP_1) | instskip(NEXT) | instid1(VALU_DEP_1)
	v_cmp_ngt_f32_e64 s7, 0x48000000, |v1|
                                        ; implicit-def: $vgpr2
                                        ; implicit-def: $vgpr0
	s_and_saveexec_b32 s0, s7
	s_delay_alu instid0(SALU_CYCLE_1)
	s_xor_b32 s8, exec_lo, s0
	s_cbranch_execz .LBB81_53
; %bb.51:
	s_mov_b32 s0, 0x7fffff
	v_mov_b32_e32 v7, 0
	v_and_or_b32 v0, v3, s0, 0x800000
	v_lshrrev_b32_e32 v2, 23, v3
	s_delay_alu instid0(VALU_DEP_2) | instskip(NEXT) | instid1(VALU_DEP_1)
	v_mad_u64_u32 v[5:6], null, 0xfe5163ab, v0, 0
	v_mad_u64_u32 v[8:9], null, 0x3c439041, v0, v[6:7]
	s_delay_alu instid0(VALU_DEP_1) | instskip(NEXT) | instid1(VALU_DEP_1)
	v_mov_b32_e32 v6, v9
	v_mad_u64_u32 v[9:10], null, 0xdb629599, v0, v[6:7]
	v_add_nc_u32_e32 v2, 0xffffff88, v2
	s_delay_alu instid0(VALU_DEP_1) | instskip(NEXT) | instid1(VALU_DEP_3)
	v_cmp_lt_u32_e32 vcc_lo, 63, v2
	v_mov_b32_e32 v6, v10
	v_cndmask_b32_e64 v13, 0, 0xffffffc0, vcc_lo
	s_delay_alu instid0(VALU_DEP_2) | instskip(SKIP_1) | instid1(VALU_DEP_3)
	v_mad_u64_u32 v[10:11], null, 0xf534ddc0, v0, v[6:7]
	v_cndmask_b32_e32 v5, v9, v5, vcc_lo
	v_add_nc_u32_e32 v2, v13, v2
	s_delay_alu instid0(VALU_DEP_3) | instskip(NEXT) | instid1(VALU_DEP_2)
	v_mov_b32_e32 v6, v11
	v_cmp_lt_u32_e64 s0, 31, v2
	s_delay_alu instid0(VALU_DEP_2) | instskip(NEXT) | instid1(VALU_DEP_2)
	v_mad_u64_u32 v[11:12], null, 0xfc2757d1, v0, v[6:7]
	v_cndmask_b32_e64 v14, 0, 0xffffffe0, s0
	s_delay_alu instid0(VALU_DEP_1) | instskip(NEXT) | instid1(VALU_DEP_3)
	v_add_nc_u32_e32 v2, v14, v2
	v_mov_b32_e32 v6, v12
	s_delay_alu instid0(VALU_DEP_2) | instskip(NEXT) | instid1(VALU_DEP_2)
	v_cmp_lt_u32_e64 s1, 31, v2
	v_mad_u64_u32 v[12:13], null, 0x4e441529, v0, v[6:7]
	s_delay_alu instid0(VALU_DEP_1) | instskip(NEXT) | instid1(VALU_DEP_1)
	v_mov_b32_e32 v6, v13
	v_mad_u64_u32 v[13:14], null, 0xa2f9836e, v0, v[6:7]
	s_delay_alu instid0(VALU_DEP_4) | instskip(NEXT) | instid1(VALU_DEP_4)
	v_cndmask_b32_e64 v0, 0, 0xffffffe0, s1
	v_cndmask_b32_e32 v6, v12, v10, vcc_lo
	s_delay_alu instid0(VALU_DEP_2) | instskip(NEXT) | instid1(VALU_DEP_4)
	v_dual_cndmask_b32 v7, v13, v11 :: v_dual_add_nc_u32 v0, v0, v2
	v_dual_cndmask_b32 v12, v14, v12 :: v_dual_cndmask_b32 v11, v11, v9
	v_cndmask_b32_e32 v2, v10, v8, vcc_lo
	s_delay_alu instid0(VALU_DEP_3) | instskip(NEXT) | instid1(VALU_DEP_4)
	v_sub_nc_u32_e32 v10, 32, v0
	v_cndmask_b32_e64 v8, v7, v6, s0
	s_delay_alu instid0(VALU_DEP_4)
	v_cndmask_b32_e64 v7, v12, v7, s0
	v_cndmask_b32_e64 v6, v6, v11, s0
	;; [unrolled: 1-line block ×3, first 2 shown]
	v_cmp_eq_u32_e64 s2, 0, v0
	v_cndmask_b32_e64 v2, v2, v5, s0
	v_cndmask_b32_e64 v7, v7, v8, s1
	;; [unrolled: 1-line block ×4, first 2 shown]
	s_delay_alu instid0(VALU_DEP_4) | instskip(NEXT) | instid1(VALU_DEP_3)
	v_cndmask_b32_e64 v2, v11, v2, s1
	v_alignbit_b32 v12, v7, v8, v10
	s_delay_alu instid0(VALU_DEP_3) | instskip(NEXT) | instid1(VALU_DEP_3)
	v_alignbit_b32 v13, v8, v6, v10
	v_alignbit_b32 v10, v6, v2, v10
	s_delay_alu instid0(VALU_DEP_3) | instskip(NEXT) | instid1(VALU_DEP_3)
	v_cndmask_b32_e64 v0, v12, v7, s2
	v_cndmask_b32_e64 v7, v13, v8, s2
	s_delay_alu instid0(VALU_DEP_3) | instskip(NEXT) | instid1(VALU_DEP_3)
	v_cndmask_b32_e64 v6, v10, v6, s2
	v_bfe_u32 v8, v0, 29, 1
	s_delay_alu instid0(VALU_DEP_3) | instskip(NEXT) | instid1(VALU_DEP_3)
	v_alignbit_b32 v5, v0, v7, 30
	v_alignbit_b32 v7, v7, v6, 30
	;; [unrolled: 1-line block ×3, first 2 shown]
	s_delay_alu instid0(VALU_DEP_4) | instskip(NEXT) | instid1(VALU_DEP_1)
	v_sub_nc_u32_e32 v9, 0, v8
	v_xor_b32_e32 v11, v5, v9
	v_cmp_ne_u32_e32 vcc_lo, v5, v9
	v_xor_b32_e32 v6, v7, v9
	v_xor_b32_e32 v2, v2, v9
	s_delay_alu instid0(VALU_DEP_4) | instskip(NEXT) | instid1(VALU_DEP_1)
	v_clz_i32_u32_e32 v12, v11
	v_add_nc_u32_e32 v10, 1, v12
	s_delay_alu instid0(VALU_DEP_1) | instskip(NEXT) | instid1(VALU_DEP_1)
	v_cndmask_b32_e32 v5, 33, v10, vcc_lo
	v_sub_nc_u32_e32 v7, 32, v5
	s_delay_alu instid0(VALU_DEP_1) | instskip(SKIP_2) | instid1(VALU_DEP_2)
	v_alignbit_b32 v9, v11, v6, v7
	v_alignbit_b32 v2, v6, v2, v7
	v_lshrrev_b32_e32 v6, 29, v0
	v_alignbit_b32 v7, v9, v2, 9
	s_delay_alu instid0(VALU_DEP_2) | instskip(SKIP_1) | instid1(VALU_DEP_3)
	v_lshlrev_b32_e32 v6, 31, v6
	v_alignbit_b32 v9, v5, v9, 9
	v_clz_i32_u32_e32 v10, v7
	s_delay_alu instid0(VALU_DEP_2) | instskip(SKIP_1) | instid1(VALU_DEP_3)
	v_or_b32_e32 v9, v9, v6
	v_or_b32_e32 v6, 0x33800000, v6
	v_min_u32_e32 v10, 32, v10
	s_delay_alu instid0(VALU_DEP_3) | instskip(NEXT) | instid1(VALU_DEP_2)
	v_xor_b32_e32 v9, 1.0, v9
	v_sub_nc_u32_e32 v11, 31, v10
	v_add_lshl_u32 v5, v10, v5, 23
	s_delay_alu instid0(VALU_DEP_3) | instskip(NEXT) | instid1(VALU_DEP_3)
	v_mul_f32_e32 v10, 0x3fc90fda, v9
	v_alignbit_b32 v2, v7, v2, v11
	s_delay_alu instid0(VALU_DEP_3) | instskip(NEXT) | instid1(VALU_DEP_3)
	v_sub_nc_u32_e32 v5, v6, v5
	v_fma_f32 v6, 0x3fc90fda, v9, -v10
	s_delay_alu instid0(VALU_DEP_3) | instskip(NEXT) | instid1(VALU_DEP_2)
	v_lshrrev_b32_e32 v2, 9, v2
	v_fmamk_f32 v6, v9, 0x33a22168, v6
	s_delay_alu instid0(VALU_DEP_2) | instskip(NEXT) | instid1(VALU_DEP_1)
	v_or_b32_e32 v2, v5, v2
	v_fmac_f32_e32 v6, 0x3fc90fda, v2
	v_lshrrev_b32_e32 v2, 30, v0
	s_delay_alu instid0(VALU_DEP_2) | instskip(NEXT) | instid1(VALU_DEP_2)
	v_add_f32_e32 v0, v10, v6
	v_add_nc_u32_e32 v2, v8, v2
	s_and_not1_saveexec_b32 s0, s8
	s_branch .LBB81_54
.LBB81_52:
	s_or_b32 exec_lo, exec_lo, s6
                                        ; implicit-def: $vgpr4
                                        ; implicit-def: $vgpr2
	s_and_not1_saveexec_b32 s0, s5
	s_cbranch_execnz .LBB81_61
	s_branch .LBB81_66
.LBB81_53:
	s_and_not1_saveexec_b32 s0, s8
.LBB81_54:
	v_mul_f32_e64 v0, 0x3f22f983, |v1|
	s_delay_alu instid0(VALU_DEP_1) | instskip(NEXT) | instid1(VALU_DEP_1)
	v_rndne_f32_e32 v2, v0
	v_fma_f32 v0, 0xbfc90fda, v2, |v1|
	s_delay_alu instid0(VALU_DEP_1) | instskip(NEXT) | instid1(VALU_DEP_1)
	v_fmamk_f32 v0, v2, 0xb3a22168, v0
	v_fmamk_f32 v0, v2, 0xa7c234c4, v0
	v_cvt_i32_f32_e32 v2, v2
; %bb.55:
	s_or_b32 exec_lo, exec_lo, s0
                                        ; implicit-def: $vgpr6
                                        ; implicit-def: $vgpr5
	s_and_saveexec_b32 s0, s7
	s_delay_alu instid0(SALU_CYCLE_1)
	s_xor_b32 s7, exec_lo, s0
	s_cbranch_execz .LBB81_57
; %bb.56:
	s_mov_b32 s0, 0x7fffff
	v_mov_b32_e32 v7, 0
	v_and_or_b32 v15, v3, s0, 0x800000
	v_lshrrev_b32_e32 v12, 23, v3
	s_delay_alu instid0(VALU_DEP_2) | instskip(NEXT) | instid1(VALU_DEP_2)
	v_mad_u64_u32 v[5:6], null, 0xfe5163ab, v15, 0
	v_add_nc_u32_e32 v13, 0xffffff88, v12
	s_delay_alu instid0(VALU_DEP_1) | instskip(NEXT) | instid1(VALU_DEP_3)
	v_cmp_lt_u32_e32 vcc_lo, 63, v13
	v_mad_u64_u32 v[8:9], null, 0x3c439041, v15, v[6:7]
	v_cndmask_b32_e64 v14, 0, 0xffffffc0, vcc_lo
	s_delay_alu instid0(VALU_DEP_2) | instskip(NEXT) | instid1(VALU_DEP_2)
	v_mov_b32_e32 v6, v9
	v_add_nc_u32_e32 v14, v14, v13
	s_delay_alu instid0(VALU_DEP_2) | instskip(NEXT) | instid1(VALU_DEP_2)
	v_mad_u64_u32 v[9:10], null, 0xdb629599, v15, v[6:7]
	v_cmp_lt_u32_e64 s0, 31, v14
	s_delay_alu instid0(VALU_DEP_1) | instskip(NEXT) | instid1(VALU_DEP_3)
	v_cndmask_b32_e64 v16, 0, 0xffffffe0, s0
	v_dual_mov_b32 v6, v10 :: v_dual_cndmask_b32 v5, v9, v5
	s_delay_alu instid0(VALU_DEP_2) | instskip(NEXT) | instid1(VALU_DEP_2)
	v_add_nc_u32_e32 v16, v16, v14
	v_mad_u64_u32 v[10:11], null, 0xf534ddc0, v15, v[6:7]
	s_delay_alu instid0(VALU_DEP_2) | instskip(NEXT) | instid1(VALU_DEP_2)
	v_cmp_lt_u32_e64 s1, 31, v16
	v_mov_b32_e32 v6, v11
	s_delay_alu instid0(VALU_DEP_3) | instskip(NEXT) | instid1(VALU_DEP_2)
	v_cndmask_b32_e32 v8, v10, v8, vcc_lo
	v_mad_u64_u32 v[11:12], null, 0xfc2757d1, v15, v[6:7]
	s_delay_alu instid0(VALU_DEP_2) | instskip(NEXT) | instid1(VALU_DEP_2)
	v_cndmask_b32_e64 v5, v8, v5, s0
	v_mov_b32_e32 v6, v12
	s_delay_alu instid0(VALU_DEP_1) | instskip(NEXT) | instid1(VALU_DEP_1)
	v_mad_u64_u32 v[12:13], null, 0x4e441529, v15, v[6:7]
	v_mov_b32_e32 v6, v13
	s_delay_alu instid0(VALU_DEP_1) | instskip(SKIP_1) | instid1(VALU_DEP_1)
	v_mad_u64_u32 v[13:14], null, 0xa2f9836e, v15, v[6:7]
	v_cndmask_b32_e64 v6, 0, 0xffffffe0, s1
	v_dual_cndmask_b32 v7, v12, v10 :: v_dual_add_nc_u32 v6, v6, v16
	s_delay_alu instid0(VALU_DEP_3) | instskip(NEXT) | instid1(VALU_DEP_4)
	v_cndmask_b32_e32 v13, v13, v11, vcc_lo
	v_dual_cndmask_b32 v11, v11, v9 :: v_dual_cndmask_b32 v12, v14, v12
	s_delay_alu instid0(VALU_DEP_3) | instskip(NEXT) | instid1(VALU_DEP_3)
	v_cmp_eq_u32_e64 s2, 0, v6
	v_cndmask_b32_e64 v10, v13, v7, s0
	s_delay_alu instid0(VALU_DEP_3) | instskip(NEXT) | instid1(VALU_DEP_4)
	v_cndmask_b32_e64 v7, v7, v11, s0
	v_cndmask_b32_e64 v12, v12, v13, s0
	v_sub_nc_u32_e32 v13, 32, v6
	v_cndmask_b32_e64 v11, v11, v8, s0
	s_delay_alu instid0(VALU_DEP_3) | instskip(SKIP_1) | instid1(VALU_DEP_3)
	v_cndmask_b32_e64 v12, v12, v10, s1
	v_cndmask_b32_e64 v10, v10, v7, s1
	v_cndmask_b32_e64 v7, v7, v11, s1
	v_cndmask_b32_e64 v5, v11, v5, s1
	s_delay_alu instid0(VALU_DEP_3) | instskip(NEXT) | instid1(VALU_DEP_3)
	v_alignbit_b32 v14, v12, v10, v13
	v_alignbit_b32 v15, v10, v7, v13
	s_delay_alu instid0(VALU_DEP_3) | instskip(NEXT) | instid1(VALU_DEP_3)
	v_alignbit_b32 v13, v7, v5, v13
	v_cndmask_b32_e64 v6, v14, v12, s2
	s_delay_alu instid0(VALU_DEP_3) | instskip(NEXT) | instid1(VALU_DEP_3)
	v_cndmask_b32_e64 v9, v15, v10, s2
	v_cndmask_b32_e64 v7, v13, v7, s2
	s_delay_alu instid0(VALU_DEP_3) | instskip(NEXT) | instid1(VALU_DEP_3)
	v_bfe_u32 v10, v6, 29, 1
	v_alignbit_b32 v8, v6, v9, 30
	s_delay_alu instid0(VALU_DEP_3) | instskip(SKIP_1) | instid1(VALU_DEP_4)
	v_alignbit_b32 v9, v9, v7, 30
	v_alignbit_b32 v5, v7, v5, 30
	v_sub_nc_u32_e32 v12, 0, v10
	s_delay_alu instid0(VALU_DEP_1) | instskip(SKIP_3) | instid1(VALU_DEP_4)
	v_xor_b32_e32 v11, v8, v12
	v_cmp_ne_u32_e32 vcc_lo, v8, v12
	v_xor_b32_e32 v7, v9, v12
	v_xor_b32_e32 v5, v5, v12
	v_clz_i32_u32_e32 v14, v11
	s_delay_alu instid0(VALU_DEP_1) | instskip(NEXT) | instid1(VALU_DEP_1)
	v_add_nc_u32_e32 v13, 1, v14
	v_cndmask_b32_e32 v8, 33, v13, vcc_lo
	s_delay_alu instid0(VALU_DEP_1) | instskip(NEXT) | instid1(VALU_DEP_1)
	v_sub_nc_u32_e32 v9, 32, v8
	v_alignbit_b32 v11, v11, v7, v9
	v_alignbit_b32 v5, v7, v5, v9
	v_lshrrev_b32_e32 v7, 29, v6
	v_lshrrev_b32_e32 v6, 30, v6
	s_delay_alu instid0(VALU_DEP_3) | instskip(NEXT) | instid1(VALU_DEP_3)
	v_alignbit_b32 v9, v11, v5, 9
	v_lshlrev_b32_e32 v7, 31, v7
	v_alignbit_b32 v11, v8, v11, 9
	s_delay_alu instid0(VALU_DEP_4) | instskip(NEXT) | instid1(VALU_DEP_4)
	v_add_nc_u32_e32 v6, v10, v6
	v_clz_i32_u32_e32 v12, v9
	s_delay_alu instid0(VALU_DEP_3) | instskip(SKIP_1) | instid1(VALU_DEP_3)
	v_or_b32_e32 v11, v11, v7
	v_or_b32_e32 v7, 0x33800000, v7
	v_min_u32_e32 v12, 32, v12
	s_delay_alu instid0(VALU_DEP_3) | instskip(NEXT) | instid1(VALU_DEP_2)
	v_xor_b32_e32 v11, 1.0, v11
	v_sub_nc_u32_e32 v13, 31, v12
	v_add_lshl_u32 v8, v12, v8, 23
	s_delay_alu instid0(VALU_DEP_3) | instskip(NEXT) | instid1(VALU_DEP_3)
	v_mul_f32_e32 v12, 0x3fc90fda, v11
	v_alignbit_b32 v5, v9, v5, v13
	s_delay_alu instid0(VALU_DEP_3) | instskip(NEXT) | instid1(VALU_DEP_3)
	v_sub_nc_u32_e32 v7, v7, v8
	v_fma_f32 v8, 0x3fc90fda, v11, -v12
	s_delay_alu instid0(VALU_DEP_3) | instskip(NEXT) | instid1(VALU_DEP_2)
	v_lshrrev_b32_e32 v5, 9, v5
	v_fmamk_f32 v8, v11, 0x33a22168, v8
	s_delay_alu instid0(VALU_DEP_2) | instskip(NEXT) | instid1(VALU_DEP_1)
	v_or_b32_e32 v5, v7, v5
	v_fmac_f32_e32 v8, 0x3fc90fda, v5
	s_delay_alu instid0(VALU_DEP_1)
	v_add_f32_e32 v5, v12, v8
	s_and_not1_saveexec_b32 s0, s7
	s_cbranch_execnz .LBB81_58
	s_branch .LBB81_59
.LBB81_57:
	s_and_not1_saveexec_b32 s0, s7
.LBB81_58:
	v_mul_f32_e64 v5, 0x3f22f983, |v1|
	s_delay_alu instid0(VALU_DEP_1) | instskip(NEXT) | instid1(VALU_DEP_1)
	v_rndne_f32_e32 v6, v5
	v_fma_f32 v5, 0xbfc90fda, v6, |v1|
	s_delay_alu instid0(VALU_DEP_1) | instskip(NEXT) | instid1(VALU_DEP_1)
	v_fmamk_f32 v5, v6, 0xb3a22168, v5
	v_fmamk_f32 v5, v6, 0xa7c234c4, v5
	v_cvt_i32_f32_e32 v6, v6
.LBB81_59:
	s_or_b32 exec_lo, exec_lo, s0
	v_add_f32_e32 v4, 0xc322e3bc, v4
	v_mul_f32_e32 v10, v0, v0
	s_mov_b32 s0, 0x37d75334
	s_mov_b32 s1, 0xb94c1982
	v_mul_f32_e32 v11, v5, v5
	v_mul_f32_e32 v7, 0x3fb8aa3b, v4
	s_delay_alu instid0(VALU_DEP_2) | instskip(NEXT) | instid1(VALU_DEP_2)
	v_fmaak_f32 v14, s1, v11, 0x3c0881c4
	v_fma_f32 v8, 0x3fb8aa3b, v4, -v7
	v_rndne_f32_e32 v9, v7
	s_delay_alu instid0(VALU_DEP_3) | instskip(NEXT) | instid1(VALU_DEP_2)
	v_fmaak_f32 v14, v11, v14, 0xbe2aaa9d
	v_dual_sub_f32 v7, v7, v9 :: v_dual_fmamk_f32 v8, v4, 0x32a5705f, v8
	v_cvt_i32_f32_e32 v9, v9
	v_cmp_ngt_f32_e32 vcc_lo, 0xc2ce8ed0, v4
	s_delay_alu instid0(VALU_DEP_4) | instskip(NEXT) | instid1(VALU_DEP_4)
	v_mul_f32_e32 v14, v11, v14
	v_dual_add_f32 v7, v7, v8 :: v_dual_lshlrev_b32 v8, 30, v2
	v_and_b32_e32 v2, 1, v2
	s_delay_alu instid0(VALU_DEP_3) | instskip(NEXT) | instid1(VALU_DEP_3)
	v_fmac_f32_e32 v5, v5, v14
	v_exp_f32_e32 v7, v7
	s_delay_alu instid0(VALU_DEP_3)
	v_and_b32_e32 v8, 0x80000000, v8
	s_waitcnt_depctr 0xfff
	v_ldexp_f32 v7, v7, v9
	v_and_b32_e32 v9, 1, v6
	v_lshlrev_b32_e32 v6, 30, v6
	v_fmaak_f32 v12, s0, v10, 0xbab64f3b
	v_fmaak_f32 v13, s1, v10, 0x3c0881c4
	v_cndmask_b32_e32 v7, 0, v7, vcc_lo
	v_cmp_nlt_f32_e32 vcc_lo, 0x42b17218, v4
	v_and_or_b32 v3, 0x80000000, v6, v3
	s_delay_alu instid0(VALU_DEP_3)
	v_cndmask_b32_e32 v4, 0x7f800000, v7, vcc_lo
	v_fmaak_f32 v7, s0, v11, 0xbab64f3b
	v_fmaak_f32 v6, v10, v12, 0x3d2aabf7
	;; [unrolled: 1-line block ×3, first 2 shown]
	v_cmp_eq_u32_e32 vcc_lo, 0, v2
	s_mov_b32 s0, 0x7fffff
	v_fmaak_f32 v7, v11, v7, 0x3d2aabf7
	s_delay_alu instid0(VALU_DEP_1) | instskip(NEXT) | instid1(VALU_DEP_1)
	v_dual_fmaak_f32 v6, v10, v6, 0xbf000004 :: v_dual_fmaak_f32 v7, v11, v7, 0xbf000004
	v_fma_f32 v6, v10, v6, 1.0
	s_delay_alu instid0(VALU_DEP_2) | instskip(SKIP_1) | instid1(VALU_DEP_1)
	v_fma_f32 v7, v11, v7, 1.0
	v_mul_f32_e32 v12, v10, v12
	v_fmac_f32_e32 v0, v0, v12
	s_delay_alu instid0(VALU_DEP_1) | instskip(SKIP_1) | instid1(VALU_DEP_2)
	v_cndmask_b32_e64 v0, -v0, v6, vcc_lo
	v_cmp_eq_u32_e32 vcc_lo, 0, v9
	v_xor_b32_e32 v0, v8, v0
	v_cndmask_b32_e32 v5, v7, v5, vcc_lo
	v_cmp_class_f32_e64 vcc_lo, v1, 0x1f8
	s_delay_alu instid0(VALU_DEP_2) | instskip(NEXT) | instid1(VALU_DEP_4)
	v_xor3_b32 v3, v3, v5, v1
	v_cndmask_b32_e32 v0, 0x7fc00000, v0, vcc_lo
	v_and_or_b32 v1, v4, s0, 0x7f000000
	s_delay_alu instid0(VALU_DEP_1) | instskip(NEXT) | instid1(VALU_DEP_1)
	v_dual_cndmask_b32 v3, 0x7fc00000, v3 :: v_dual_mul_f32 v0, v0, v1
	v_mul_f32_e32 v1, v3, v1
	v_lshrrev_b32_e32 v13, 23, v4
	s_delay_alu instid0(VALU_DEP_1) | instskip(NEXT) | instid1(VALU_DEP_1)
	v_subrev_nc_u32_e32 v13, 19, v13
	v_lshrrev_b16 v10, 15, v13
	s_delay_alu instid0(VALU_DEP_1) | instskip(NEXT) | instid1(VALU_DEP_1)
	v_add_nc_u16 v2, v13, v10
	v_ashrrev_i16 v2, 1, v2
	s_delay_alu instid0(VALU_DEP_1) | instskip(NEXT) | instid1(VALU_DEP_1)
	v_bfe_i32 v2, v2, 0, 16
	v_lshl_add_u32 v4, v2, 23, 1.0
	v_sub_nc_u32_e32 v2, v13, v2
	s_delay_alu instid0(VALU_DEP_2) | instskip(NEXT) | instid1(VALU_DEP_2)
	v_mul_f32_e32 v0, v0, v4
	v_lshl_add_u32 v2, v2, 23, 1.0
	s_delay_alu instid0(VALU_DEP_1) | instskip(NEXT) | instid1(VALU_DEP_1)
	v_dual_mul_f32 v1, v1, v4 :: v_dual_mul_f32 v0, v0, v2
	v_mul_f32_e32 v1, v1, v2
	s_or_b32 exec_lo, exec_lo, s6
                                        ; implicit-def: $vgpr4
                                        ; implicit-def: $vgpr2
.LBB81_60:
	s_and_not1_saveexec_b32 s0, s5
	s_cbranch_execz .LBB81_66
.LBB81_61:
	s_delay_alu instid0(VALU_DEP_1)
	v_sub_f32_e32 v1, v1, v1
	s_mov_b32 s1, exec_lo
	v_cmpx_ne_u32_e32 0x7f800000, v2
	s_xor_b32 s1, exec_lo, s1
; %bb.62:
                                        ; implicit-def: $vgpr4
; %bb.63:
	s_delay_alu instid0(SALU_CYCLE_1)
	s_or_saveexec_b32 s1, s1
	v_mov_b32_e32 v0, v1
	s_xor_b32 exec_lo, exec_lo, s1
; %bb.64:
	v_cmp_lt_i32_e32 vcc_lo, -1, v4
	v_dual_cndmask_b32 v0, 0, v4 :: v_dual_cndmask_b32 v1, 0, v1
; %bb.65:
	s_or_b32 exec_lo, exec_lo, s1
.LBB81_66:
	s_delay_alu instid0(SALU_CYCLE_1)
	s_or_b32 exec_lo, exec_lo, s0
                                        ; implicit-def: $vgpr3
.LBB81_67:
	s_and_not1_saveexec_b32 s4, s4
	s_cbranch_execz .LBB81_77
; %bb.68:
	v_cmp_ngt_f32_e64 s5, 0x48000000, |v1|
	v_lshrrev_b32_e32 v4, 23, v3
                                        ; implicit-def: $vgpr2
                                        ; implicit-def: $vgpr0
	s_delay_alu instid0(VALU_DEP_2) | instskip(NEXT) | instid1(SALU_CYCLE_1)
	s_and_saveexec_b32 s0, s5
	s_xor_b32 s6, exec_lo, s0
	s_cbranch_execz .LBB81_70
; %bb.69:
	s_mov_b32 s0, 0x7fffff
	v_mov_b32_e32 v7, 0
	v_and_or_b32 v0, v3, s0, 0x800000
	s_delay_alu instid0(VALU_DEP_1) | instskip(NEXT) | instid1(VALU_DEP_1)
	v_mad_u64_u32 v[5:6], null, 0xfe5163ab, v0, 0
	v_mad_u64_u32 v[8:9], null, 0x3c439041, v0, v[6:7]
	s_delay_alu instid0(VALU_DEP_1) | instskip(NEXT) | instid1(VALU_DEP_1)
	v_mov_b32_e32 v6, v9
	v_mad_u64_u32 v[9:10], null, 0xdb629599, v0, v[6:7]
	v_add_nc_u32_e32 v2, 0xffffff88, v4
	s_delay_alu instid0(VALU_DEP_1) | instskip(NEXT) | instid1(VALU_DEP_3)
	v_cmp_lt_u32_e32 vcc_lo, 63, v2
	v_mov_b32_e32 v6, v10
	v_cndmask_b32_e64 v13, 0, 0xffffffc0, vcc_lo
	s_delay_alu instid0(VALU_DEP_2) | instskip(SKIP_1) | instid1(VALU_DEP_3)
	v_mad_u64_u32 v[10:11], null, 0xf534ddc0, v0, v[6:7]
	v_cndmask_b32_e32 v5, v9, v5, vcc_lo
	v_add_nc_u32_e32 v2, v13, v2
	s_delay_alu instid0(VALU_DEP_3) | instskip(NEXT) | instid1(VALU_DEP_2)
	v_mov_b32_e32 v6, v11
	v_cmp_lt_u32_e64 s0, 31, v2
	s_delay_alu instid0(VALU_DEP_2) | instskip(NEXT) | instid1(VALU_DEP_2)
	v_mad_u64_u32 v[11:12], null, 0xfc2757d1, v0, v[6:7]
	v_cndmask_b32_e64 v14, 0, 0xffffffe0, s0
	s_delay_alu instid0(VALU_DEP_1) | instskip(NEXT) | instid1(VALU_DEP_3)
	v_add_nc_u32_e32 v2, v14, v2
	v_mov_b32_e32 v6, v12
	s_delay_alu instid0(VALU_DEP_2) | instskip(NEXT) | instid1(VALU_DEP_2)
	v_cmp_lt_u32_e64 s1, 31, v2
	v_mad_u64_u32 v[12:13], null, 0x4e441529, v0, v[6:7]
	s_delay_alu instid0(VALU_DEP_1) | instskip(NEXT) | instid1(VALU_DEP_1)
	v_mov_b32_e32 v6, v13
	v_mad_u64_u32 v[13:14], null, 0xa2f9836e, v0, v[6:7]
	s_delay_alu instid0(VALU_DEP_4) | instskip(NEXT) | instid1(VALU_DEP_4)
	v_cndmask_b32_e64 v0, 0, 0xffffffe0, s1
	v_cndmask_b32_e32 v6, v12, v10, vcc_lo
	s_delay_alu instid0(VALU_DEP_2) | instskip(NEXT) | instid1(VALU_DEP_4)
	v_dual_cndmask_b32 v7, v13, v11 :: v_dual_add_nc_u32 v0, v0, v2
	v_dual_cndmask_b32 v12, v14, v12 :: v_dual_cndmask_b32 v11, v11, v9
	v_cndmask_b32_e32 v2, v10, v8, vcc_lo
	s_delay_alu instid0(VALU_DEP_3) | instskip(NEXT) | instid1(VALU_DEP_4)
	v_sub_nc_u32_e32 v10, 32, v0
	v_cndmask_b32_e64 v8, v7, v6, s0
	s_delay_alu instid0(VALU_DEP_4)
	v_cndmask_b32_e64 v7, v12, v7, s0
	v_cndmask_b32_e64 v6, v6, v11, s0
	;; [unrolled: 1-line block ×3, first 2 shown]
	v_cmp_eq_u32_e64 s2, 0, v0
	v_cndmask_b32_e64 v2, v2, v5, s0
	v_cndmask_b32_e64 v7, v7, v8, s1
	;; [unrolled: 1-line block ×4, first 2 shown]
	s_delay_alu instid0(VALU_DEP_4) | instskip(NEXT) | instid1(VALU_DEP_3)
	v_cndmask_b32_e64 v2, v11, v2, s1
	v_alignbit_b32 v12, v7, v8, v10
	s_delay_alu instid0(VALU_DEP_3) | instskip(NEXT) | instid1(VALU_DEP_3)
	v_alignbit_b32 v13, v8, v6, v10
	v_alignbit_b32 v10, v6, v2, v10
	s_delay_alu instid0(VALU_DEP_3) | instskip(NEXT) | instid1(VALU_DEP_3)
	v_cndmask_b32_e64 v0, v12, v7, s2
	v_cndmask_b32_e64 v7, v13, v8, s2
	s_delay_alu instid0(VALU_DEP_3) | instskip(NEXT) | instid1(VALU_DEP_3)
	v_cndmask_b32_e64 v6, v10, v6, s2
	v_bfe_u32 v8, v0, 29, 1
	s_delay_alu instid0(VALU_DEP_3) | instskip(NEXT) | instid1(VALU_DEP_3)
	v_alignbit_b32 v5, v0, v7, 30
	v_alignbit_b32 v7, v7, v6, 30
	;; [unrolled: 1-line block ×3, first 2 shown]
	s_delay_alu instid0(VALU_DEP_4) | instskip(NEXT) | instid1(VALU_DEP_1)
	v_sub_nc_u32_e32 v9, 0, v8
	v_xor_b32_e32 v11, v5, v9
	v_cmp_ne_u32_e32 vcc_lo, v5, v9
	v_xor_b32_e32 v6, v7, v9
	v_xor_b32_e32 v2, v2, v9
	s_delay_alu instid0(VALU_DEP_4) | instskip(NEXT) | instid1(VALU_DEP_1)
	v_clz_i32_u32_e32 v12, v11
	v_add_nc_u32_e32 v10, 1, v12
	s_delay_alu instid0(VALU_DEP_1) | instskip(NEXT) | instid1(VALU_DEP_1)
	v_cndmask_b32_e32 v5, 33, v10, vcc_lo
	v_sub_nc_u32_e32 v7, 32, v5
	s_delay_alu instid0(VALU_DEP_1) | instskip(SKIP_2) | instid1(VALU_DEP_2)
	v_alignbit_b32 v9, v11, v6, v7
	v_alignbit_b32 v2, v6, v2, v7
	v_lshrrev_b32_e32 v6, 29, v0
	v_alignbit_b32 v7, v9, v2, 9
	s_delay_alu instid0(VALU_DEP_2) | instskip(SKIP_1) | instid1(VALU_DEP_3)
	v_lshlrev_b32_e32 v6, 31, v6
	v_alignbit_b32 v9, v5, v9, 9
	v_clz_i32_u32_e32 v10, v7
	s_delay_alu instid0(VALU_DEP_2) | instskip(SKIP_1) | instid1(VALU_DEP_3)
	v_or_b32_e32 v9, v9, v6
	v_or_b32_e32 v6, 0x33800000, v6
	v_min_u32_e32 v10, 32, v10
	s_delay_alu instid0(VALU_DEP_3) | instskip(NEXT) | instid1(VALU_DEP_2)
	v_xor_b32_e32 v9, 1.0, v9
	v_sub_nc_u32_e32 v11, 31, v10
	v_add_lshl_u32 v5, v10, v5, 23
	s_delay_alu instid0(VALU_DEP_3) | instskip(NEXT) | instid1(VALU_DEP_3)
	v_mul_f32_e32 v10, 0x3fc90fda, v9
	v_alignbit_b32 v2, v7, v2, v11
	s_delay_alu instid0(VALU_DEP_3) | instskip(NEXT) | instid1(VALU_DEP_3)
	v_sub_nc_u32_e32 v5, v6, v5
	v_fma_f32 v6, 0x3fc90fda, v9, -v10
	s_delay_alu instid0(VALU_DEP_3) | instskip(NEXT) | instid1(VALU_DEP_2)
	v_lshrrev_b32_e32 v2, 9, v2
	v_fmamk_f32 v6, v9, 0x33a22168, v6
	s_delay_alu instid0(VALU_DEP_2) | instskip(NEXT) | instid1(VALU_DEP_1)
	v_or_b32_e32 v2, v5, v2
	v_fmac_f32_e32 v6, 0x3fc90fda, v2
	v_lshrrev_b32_e32 v2, 30, v0
	s_delay_alu instid0(VALU_DEP_2) | instskip(NEXT) | instid1(VALU_DEP_2)
	v_add_f32_e32 v0, v10, v6
	v_add_nc_u32_e32 v2, v8, v2
	s_or_saveexec_b32 s0, s6
	v_mul_f32_e64 v7, 0x3f22f983, |v1|
	s_xor_b32 exec_lo, exec_lo, s0
	s_branch .LBB81_71
.LBB81_70:
	s_or_saveexec_b32 s0, s6
	v_mul_f32_e64 v7, 0x3f22f983, |v1|
	s_xor_b32 exec_lo, exec_lo, s0
.LBB81_71:
	s_delay_alu instid0(VALU_DEP_1) | instskip(NEXT) | instid1(VALU_DEP_1)
	v_rndne_f32_e32 v2, v7
	v_fma_f32 v0, 0xbfc90fda, v2, |v1|
	s_delay_alu instid0(VALU_DEP_1) | instskip(NEXT) | instid1(VALU_DEP_1)
	v_fmamk_f32 v0, v2, 0xb3a22168, v0
	v_fmamk_f32 v0, v2, 0xa7c234c4, v0
	v_cvt_i32_f32_e32 v2, v2
; %bb.72:
	s_or_b32 exec_lo, exec_lo, s0
                                        ; implicit-def: $vgpr6
                                        ; implicit-def: $vgpr5
	s_and_saveexec_b32 s0, s5
	s_delay_alu instid0(SALU_CYCLE_1)
	s_xor_b32 s5, exec_lo, s0
	s_cbranch_execz .LBB81_74
; %bb.73:
	s_mov_b32 s0, 0x7fffff
	v_mov_b32_e32 v7, 0
	v_and_or_b32 v15, v3, s0, 0x800000
	s_delay_alu instid0(VALU_DEP_1) | instskip(NEXT) | instid1(VALU_DEP_1)
	v_mad_u64_u32 v[5:6], null, 0xfe5163ab, v15, 0
	v_mad_u64_u32 v[8:9], null, 0x3c439041, v15, v[6:7]
	s_delay_alu instid0(VALU_DEP_1) | instskip(NEXT) | instid1(VALU_DEP_1)
	v_mov_b32_e32 v6, v9
	v_mad_u64_u32 v[9:10], null, 0xdb629599, v15, v[6:7]
	v_add_nc_u32_e32 v4, 0xffffff88, v4
	s_delay_alu instid0(VALU_DEP_1) | instskip(NEXT) | instid1(VALU_DEP_3)
	v_cmp_lt_u32_e32 vcc_lo, 63, v4
	v_mov_b32_e32 v6, v10
	v_cndmask_b32_e64 v13, 0, 0xffffffc0, vcc_lo
	s_delay_alu instid0(VALU_DEP_2) | instskip(SKIP_1) | instid1(VALU_DEP_3)
	v_mad_u64_u32 v[10:11], null, 0xf534ddc0, v15, v[6:7]
	v_cndmask_b32_e32 v5, v9, v5, vcc_lo
	v_add_nc_u32_e32 v4, v13, v4
	s_delay_alu instid0(VALU_DEP_3) | instskip(NEXT) | instid1(VALU_DEP_2)
	v_mov_b32_e32 v6, v11
	v_cmp_lt_u32_e64 s0, 31, v4
	s_delay_alu instid0(VALU_DEP_2) | instskip(NEXT) | instid1(VALU_DEP_2)
	v_mad_u64_u32 v[11:12], null, 0xfc2757d1, v15, v[6:7]
	v_cndmask_b32_e64 v14, 0, 0xffffffe0, s0
	s_delay_alu instid0(VALU_DEP_1) | instskip(NEXT) | instid1(VALU_DEP_3)
	v_add_nc_u32_e32 v4, v14, v4
	v_mov_b32_e32 v6, v12
	s_delay_alu instid0(VALU_DEP_2) | instskip(NEXT) | instid1(VALU_DEP_2)
	v_cmp_lt_u32_e64 s1, 31, v4
	v_mad_u64_u32 v[12:13], null, 0x4e441529, v15, v[6:7]
	s_delay_alu instid0(VALU_DEP_1) | instskip(NEXT) | instid1(VALU_DEP_1)
	v_mov_b32_e32 v6, v13
	v_mad_u64_u32 v[13:14], null, 0xa2f9836e, v15, v[6:7]
	s_delay_alu instid0(VALU_DEP_4) | instskip(NEXT) | instid1(VALU_DEP_1)
	v_cndmask_b32_e64 v6, 0, 0xffffffe0, s1
	v_dual_cndmask_b32 v7, v12, v10 :: v_dual_add_nc_u32 v4, v6, v4
	s_delay_alu instid0(VALU_DEP_3) | instskip(SKIP_1) | instid1(VALU_DEP_3)
	v_dual_cndmask_b32 v13, v13, v11 :: v_dual_cndmask_b32 v12, v14, v12
	v_dual_cndmask_b32 v11, v11, v9 :: v_dual_cndmask_b32 v6, v10, v8
	v_cmp_eq_u32_e64 s2, 0, v4
	s_delay_alu instid0(VALU_DEP_3) | instskip(NEXT) | instid1(VALU_DEP_4)
	v_cndmask_b32_e64 v8, v13, v7, s0
	v_cndmask_b32_e64 v10, v12, v13, s0
	s_delay_alu instid0(VALU_DEP_4)
	v_cndmask_b32_e64 v7, v7, v11, s0
	v_sub_nc_u32_e32 v12, 32, v4
	v_cndmask_b32_e64 v11, v11, v6, s0
	v_cndmask_b32_e64 v5, v6, v5, s0
	;; [unrolled: 1-line block ×4, first 2 shown]
	s_delay_alu instid0(VALU_DEP_4) | instskip(NEXT) | instid1(VALU_DEP_4)
	v_cndmask_b32_e64 v7, v7, v11, s1
	v_cndmask_b32_e64 v5, v11, v5, s1
	s_delay_alu instid0(VALU_DEP_3) | instskip(NEXT) | instid1(VALU_DEP_3)
	v_alignbit_b32 v13, v10, v8, v12
	v_alignbit_b32 v14, v8, v7, v12
	s_delay_alu instid0(VALU_DEP_3) | instskip(NEXT) | instid1(VALU_DEP_3)
	v_alignbit_b32 v12, v7, v5, v12
	v_cndmask_b32_e64 v4, v13, v10, s2
	s_delay_alu instid0(VALU_DEP_3) | instskip(NEXT) | instid1(VALU_DEP_3)
	v_cndmask_b32_e64 v8, v14, v8, s2
	v_cndmask_b32_e64 v7, v12, v7, s2
	s_delay_alu instid0(VALU_DEP_3) | instskip(NEXT) | instid1(VALU_DEP_3)
	v_bfe_u32 v9, v4, 29, 1
	v_alignbit_b32 v6, v4, v8, 30
	s_delay_alu instid0(VALU_DEP_3) | instskip(SKIP_1) | instid1(VALU_DEP_4)
	v_alignbit_b32 v8, v8, v7, 30
	v_alignbit_b32 v5, v7, v5, 30
	v_sub_nc_u32_e32 v10, 0, v9
	s_delay_alu instid0(VALU_DEP_1) | instskip(SKIP_3) | instid1(VALU_DEP_4)
	v_xor_b32_e32 v11, v6, v10
	v_cmp_ne_u32_e32 vcc_lo, v6, v10
	v_xor_b32_e32 v7, v8, v10
	v_xor_b32_e32 v5, v5, v10
	v_clz_i32_u32_e32 v13, v11
	s_delay_alu instid0(VALU_DEP_1) | instskip(NEXT) | instid1(VALU_DEP_1)
	v_add_nc_u32_e32 v12, 1, v13
	v_cndmask_b32_e32 v6, 33, v12, vcc_lo
	s_delay_alu instid0(VALU_DEP_1) | instskip(NEXT) | instid1(VALU_DEP_1)
	v_sub_nc_u32_e32 v8, 32, v6
	v_alignbit_b32 v10, v11, v7, v8
	v_alignbit_b32 v5, v7, v5, v8
	v_lshrrev_b32_e32 v7, 29, v4
	v_lshrrev_b32_e32 v4, 30, v4
	s_delay_alu instid0(VALU_DEP_3) | instskip(NEXT) | instid1(VALU_DEP_3)
	v_alignbit_b32 v8, v10, v5, 9
	v_lshlrev_b32_e32 v7, 31, v7
	v_alignbit_b32 v10, v6, v10, 9
	s_delay_alu instid0(VALU_DEP_3) | instskip(NEXT) | instid1(VALU_DEP_2)
	v_clz_i32_u32_e32 v11, v8
	v_or_b32_e32 v10, v10, v7
	v_or_b32_e32 v7, 0x33800000, v7
	s_delay_alu instid0(VALU_DEP_3) | instskip(NEXT) | instid1(VALU_DEP_3)
	v_min_u32_e32 v11, 32, v11
	v_xor_b32_e32 v10, 1.0, v10
	s_delay_alu instid0(VALU_DEP_2) | instskip(SKIP_1) | instid1(VALU_DEP_3)
	v_sub_nc_u32_e32 v12, 31, v11
	v_add_lshl_u32 v6, v11, v6, 23
	v_mul_f32_e32 v11, 0x3fc90fda, v10
	s_delay_alu instid0(VALU_DEP_3) | instskip(NEXT) | instid1(VALU_DEP_3)
	v_alignbit_b32 v5, v8, v5, v12
	v_sub_nc_u32_e32 v6, v7, v6
	s_delay_alu instid0(VALU_DEP_3) | instskip(NEXT) | instid1(VALU_DEP_3)
	v_fma_f32 v7, 0x3fc90fda, v10, -v11
	v_lshrrev_b32_e32 v5, 9, v5
	s_delay_alu instid0(VALU_DEP_2) | instskip(NEXT) | instid1(VALU_DEP_2)
	v_fmamk_f32 v7, v10, 0x33a22168, v7
	v_or_b32_e32 v5, v6, v5
	s_delay_alu instid0(VALU_DEP_1) | instskip(NEXT) | instid1(VALU_DEP_1)
	v_dual_fmac_f32 v7, 0x3fc90fda, v5 :: v_dual_add_nc_u32 v6, v9, v4
	v_add_f32_e32 v5, v11, v7
                                        ; implicit-def: $vgpr7
	s_and_not1_saveexec_b32 s0, s5
	s_cbranch_execnz .LBB81_75
	s_branch .LBB81_76
.LBB81_74:
	s_and_not1_saveexec_b32 s0, s5
.LBB81_75:
	v_rndne_f32_e32 v4, v7
	s_delay_alu instid0(VALU_DEP_1) | instskip(SKIP_1) | instid1(VALU_DEP_2)
	v_fma_f32 v5, 0xbfc90fda, v4, |v1|
	v_cvt_i32_f32_e32 v6, v4
	v_fmamk_f32 v5, v4, 0xb3a22168, v5
	s_delay_alu instid0(VALU_DEP_1)
	v_fmamk_f32 v5, v4, 0xa7c234c4, v5
.LBB81_76:
	s_or_b32 exec_lo, exec_lo, s0
	s_delay_alu instid0(VALU_DEP_1) | instskip(SKIP_3) | instid1(VALU_DEP_2)
	v_dual_mul_f32 v4, v0, v0 :: v_dual_mul_f32 v7, v5, v5
	s_mov_b32 s0, 0xb94c1982
	s_mov_b32 s1, 0x37d75334
	v_and_b32_e32 v10, 1, v2
	v_dual_fmaak_f32 v8, s0, v4, 0x3c0881c4 :: v_dual_fmaak_f32 v11, s0, v7, 0x3c0881c4
	v_dual_fmaak_f32 v9, s1, v4, 0xbab64f3b :: v_dual_fmaak_f32 v12, s1, v7, 0xbab64f3b
	s_delay_alu instid0(VALU_DEP_2) | instskip(NEXT) | instid1(VALU_DEP_3)
	v_dual_fmaak_f32 v8, v4, v8, 0xbe2aaa9d :: v_dual_and_b32 v13, 1, v6
	v_fmaak_f32 v11, v7, v11, 0xbe2aaa9d
	s_delay_alu instid0(VALU_DEP_3) | instskip(SKIP_1) | instid1(VALU_DEP_3)
	v_dual_fmaak_f32 v9, v4, v9, 0x3d2aabf7 :: v_dual_lshlrev_b32 v2, 30, v2
	v_cmp_eq_u32_e32 vcc_lo, 0, v10
	v_dual_mul_f32 v8, v4, v8 :: v_dual_mul_f32 v11, v7, v11
	v_fmaak_f32 v12, v7, v12, 0x3d2aabf7
	v_lshlrev_b32_e32 v6, 30, v6
	v_and_b32_e32 v2, 0x80000000, v2
	s_delay_alu instid0(VALU_DEP_4) | instskip(NEXT) | instid1(VALU_DEP_4)
	v_dual_fmac_f32 v0, v0, v8 :: v_dual_fmac_f32 v5, v5, v11
	v_dual_fmaak_f32 v9, v4, v9, 0xbf000004 :: v_dual_fmaak_f32 v12, v7, v12, 0xbf000004
	s_delay_alu instid0(VALU_DEP_4) | instskip(NEXT) | instid1(VALU_DEP_2)
	v_and_or_b32 v3, 0x80000000, v6, v3
	v_fma_f32 v4, v4, v9, 1.0
	s_delay_alu instid0(VALU_DEP_3) | instskip(NEXT) | instid1(VALU_DEP_2)
	v_fma_f32 v7, v7, v12, 1.0
	v_cndmask_b32_e64 v0, -v0, v4, vcc_lo
	v_cmp_eq_u32_e32 vcc_lo, 0, v13
	s_delay_alu instid0(VALU_DEP_2) | instskip(NEXT) | instid1(VALU_DEP_4)
	v_xor_b32_e32 v0, v2, v0
	v_cndmask_b32_e32 v4, v7, v5, vcc_lo
	v_cmp_class_f32_e64 vcc_lo, v1, 0x1f8
	s_delay_alu instid0(VALU_DEP_2) | instskip(NEXT) | instid1(VALU_DEP_4)
	v_xor3_b32 v2, v3, v4, v1
	v_cndmask_b32_e32 v0, 0x7fc00000, v0, vcc_lo
	s_delay_alu instid0(VALU_DEP_2)
	v_cndmask_b32_e32 v1, 0x7fc00000, v2, vcc_lo
.LBB81_77:
	s_or_b32 exec_lo, exec_lo, s4
                                        ; implicit-def: $vgpr4
	s_and_not1_saveexec_b32 s0, s3
	s_cbranch_execnz .LBB81_41
.LBB81_78:
	s_or_b32 exec_lo, exec_lo, s0
	s_setpc_b64 s[30:31]
.Lfunc_end81:
	.size	_ZNK2at6native12_GLOBAL__N_113power_functorIN3c107complexIfEEEclERKS5_S8_, .Lfunc_end81-_ZNK2at6native12_GLOBAL__N_113power_functorIN3c107complexIfEEEclERKS5_S8_
                                        ; -- End function
	.section	.AMDGPU.csdata,"",@progbits
; Function info:
; codeLenInByte = 12200
; NumSgprs: 34
; NumVgprs: 23
; ScratchSize: 0
; MemoryBound: 0
	.section	.text._ZN2at6native12_GLOBAL__N_125multi_tensor_apply_kernelINS1_28TensorListScalarListMetadataIN3c107complexIfEELi1EEENS1_25BinaryOpScalarListFunctorIS6_Li1ELi1ELi0EEEJNS1_13power_functorIS6_EEEEEvT_T0_DpT1_,"axG",@progbits,_ZN2at6native12_GLOBAL__N_125multi_tensor_apply_kernelINS1_28TensorListScalarListMetadataIN3c107complexIfEELi1EEENS1_25BinaryOpScalarListFunctorIS6_Li1ELi1ELi0EEEJNS1_13power_functorIS6_EEEEEvT_T0_DpT1_,comdat
	.globl	_ZN2at6native12_GLOBAL__N_125multi_tensor_apply_kernelINS1_28TensorListScalarListMetadataIN3c107complexIfEELi1EEENS1_25BinaryOpScalarListFunctorIS6_Li1ELi1ELi0EEEJNS1_13power_functorIS6_EEEEEvT_T0_DpT1_ ; -- Begin function _ZN2at6native12_GLOBAL__N_125multi_tensor_apply_kernelINS1_28TensorListScalarListMetadataIN3c107complexIfEELi1EEENS1_25BinaryOpScalarListFunctorIS6_Li1ELi1ELi0EEEJNS1_13power_functorIS6_EEEEEvT_T0_DpT1_
	.p2align	8
	.type	_ZN2at6native12_GLOBAL__N_125multi_tensor_apply_kernelINS1_28TensorListScalarListMetadataIN3c107complexIfEELi1EEENS1_25BinaryOpScalarListFunctorIS6_Li1ELi1ELi0EEEJNS1_13power_functorIS6_EEEEEvT_T0_DpT1_,@function
_ZN2at6native12_GLOBAL__N_125multi_tensor_apply_kernelINS1_28TensorListScalarListMetadataIN3c107complexIfEELi1EEENS1_25BinaryOpScalarListFunctorIS6_Li1ELi1ELi0EEEJNS1_13power_functorIS6_EEEEEvT_T0_DpT1_: ; @_ZN2at6native12_GLOBAL__N_125multi_tensor_apply_kernelINS1_28TensorListScalarListMetadataIN3c107complexIfEELi1EEENS1_25BinaryOpScalarListFunctorIS6_Li1ELi1ELi0EEEJNS1_13power_functorIS6_EEEEEvT_T0_DpT1_
; %bb.0:
	v_dual_mov_b32 v1, s15 :: v_dual_and_b32 v38, 0x3ff, v0
	s_load_b64 s[0:1], s[0:1], 0x4
	s_mov_b64 s[16:17], s[2:3]
	v_bfe_u32 v2, v0, 10, 10
	global_load_u8 v1, v1, s[2:3] offset:2304
	s_mul_i32 s2, s15, 3
	s_mul_hi_u32 s3, s15, 3
	v_bfe_u32 v0, v0, 20, 10
	s_mov_b32 s7, 0
	s_mov_b32 s32, 0
	s_waitcnt lgkmcnt(0)
	s_lshr_b32 s0, s0, 16
	s_add_u32 s4, s16, s15
	s_addc_u32 s5, s17, 0
	s_add_u32 s2, s4, s2
	s_addc_u32 s3, s5, s3
	s_mul_i32 s0, s0, s1
	s_waitcnt vmcnt(0)
	v_lshlrev_b32_e32 v1, 3, v1
	s_delay_alu instid0(VALU_DEP_1)
	v_readfirstlane_b32 s4, v1
	v_mul_lo_u32 v1, s0, v38
	s_clause 0x3
	s_load_b32 s2, s[2:3], 0xa40
	s_load_b64 s[22:23], s[16:17], s4 offset:0x600
	s_load_b64 s[26:27], s[16:17], s4 offset:0x0
	;; [unrolled: 1-line block ×3, first 2 shown]
	s_delay_alu instid0(VALU_DEP_1) | instskip(NEXT) | instid1(VALU_DEP_1)
	v_mad_u32_u24 v1, v2, s1, v1
	v_add_lshl_u32 v37, v1, v0, 3
	s_waitcnt lgkmcnt(0)
	s_ashr_i32 s3, s2, 31
	s_delay_alu instid0(SALU_CYCLE_1) | instskip(NEXT) | instid1(SALU_CYCLE_1)
	s_lshl_b64 s[28:29], s[2:3], 19
	s_add_u32 s33, s26, s28
	s_addc_u32 s40, s27, s29
	s_lshl_b64 s[0:1], s[2:3], 16
	s_and_b32 s6, s33, 31
	s_sub_u32 s24, s4, s0
	s_subb_u32 s25, s5, s1
	s_and_b32 s0, s4, 3
	s_mov_b32 s1, s7
	s_delay_alu instid0(SALU_CYCLE_1) | instskip(NEXT) | instid1(SALU_CYCLE_1)
	s_or_b64 s[0:1], s[6:7], s[0:1]
	s_cmp_eq_u64 s[0:1], 0
	s_cbranch_scc1 .LBB82_19
; %bb.1:
	v_cmp_lt_i64_e64 s0, s[24:25], 1
	s_delay_alu instid0(VALU_DEP_1)
	s_and_b32 vcc_lo, exec_lo, s0
	s_cbranch_vccnz .LBB82_18
; %bb.2:
	s_load_b32 s2, s[16:17], 0xf54
	v_cmp_gt_u64_e64 s3, 0x10000, s[24:25]
	s_mov_b64 s[0:1], src_shared_base
	v_dual_mov_b32 v30, 0 :: v_dual_lshlrev_b32 v29, 3, v38
	v_mov_b32_e32 v39, s1
	s_mov_b64 s[36:37], 0
	s_delay_alu instid0(VALU_DEP_2)
	v_mov_b32_e32 v34, v30
	v_mov_b32_e32 v33, v30
	s_waitcnt lgkmcnt(0)
	s_and_b32 s0, s2, 0xffff
	s_and_b32 s1, s3, exec_lo
	v_add_co_u32 v40, s3, v38, s0
	s_cselect_b32 s35, s25, 0
	s_cselect_b32 s34, s24, 0x10000
	v_add_co_ci_u32_e64 v41, null, 0, 0, s3
	s_lshl_b32 s3, s0, 4
	s_lshl_b32 s1, s0, 1
	v_add_co_u32 v0, s3, s3, v29
	s_mul_i32 s2, s0, 3
	v_mad_u64_u32 v[31:32], null, s0, 24, v[29:30]
	v_add_co_u32 v42, s2, s2, v38
	v_add_co_u32 v46, s1, s1, v38
	v_add_co_ci_u32_e64 v43, null, 0, 0, s2
	v_add_co_ci_u32_e64 v44, null, 0, 0, s3
	v_or_b32_e32 v45, 4, v0
	v_add_co_ci_u32_e64 v47, null, 0, 0, s1
	v_lshl_or_b32 v48, v40, 3, 4
	s_lshl_b32 s41, s0, 2
	s_lshl_b32 s42, s0, 5
	s_branch .LBB82_4
.LBB82_3:                               ;   in Loop: Header=BB82_4 Depth=1
	s_or_b32 exec_lo, exec_lo, s0
	s_add_u32 s36, s36, s41
	s_addc_u32 s37, s37, 0
	s_delay_alu instid0(SALU_CYCLE_1) | instskip(SKIP_1) | instid1(VALU_DEP_1)
	v_cmp_lt_i64_e64 s0, s[36:37], s[24:25]
	v_cmp_gt_u64_e64 s1, 0x10000, s[36:37]
	s_and_b32 s0, s0, s1
	s_add_u32 s33, s33, s42
	s_addc_u32 s40, s40, 0
	s_and_b32 vcc_lo, exec_lo, s0
	s_cbranch_vccz .LBB82_18
.LBB82_4:                               ; =>This Inner Loop Header: Depth=1
	v_add_co_u32 v0, s0, v38, s36
	s_delay_alu instid0(VALU_DEP_1) | instskip(SKIP_1) | instid1(VALU_DEP_2)
	v_add_co_ci_u32_e64 v1, null, 0, s37, s0
	v_dual_mov_b32 v26, 0 :: v_dual_mov_b32 v25, 0
	v_cmp_gt_u64_e64 s19, s[34:35], v[0:1]
	s_delay_alu instid0(VALU_DEP_1)
	s_and_saveexec_b32 s0, s19
	s_cbranch_execz .LBB82_6
; %bb.5:                                ;   in Loop: Header=BB82_4 Depth=1
	v_add_co_u32 v0, s1, s33, v29
	s_delay_alu instid0(VALU_DEP_1)
	v_add_co_ci_u32_e64 v1, null, s40, 0, s1
	global_load_b64 v[25:26], v[0:1], off
.LBB82_6:                               ;   in Loop: Header=BB82_4 Depth=1
	s_or_b32 exec_lo, exec_lo, s0
	v_add_co_u32 v0, vcc_lo, v40, s36
	v_add_co_ci_u32_e32 v1, vcc_lo, s37, v41, vcc_lo
	v_dual_mov_b32 v24, 0 :: v_dual_mov_b32 v27, 0
	v_mov_b32_e32 v28, 0
	s_delay_alu instid0(VALU_DEP_3) | instskip(NEXT) | instid1(VALU_DEP_1)
	v_cmp_gt_u64_e64 s20, s[34:35], v[0:1]
	s_and_saveexec_b32 s0, s20
	s_cbranch_execz .LBB82_8
; %bb.7:                                ;   in Loop: Header=BB82_4 Depth=1
	v_add_co_u32 v0, s1, s33, v48
	s_delay_alu instid0(VALU_DEP_1)
	v_add_co_ci_u32_e64 v1, null, s40, 0, s1
	global_load_b64 v[27:28], v[0:1], off offset:-4
.LBB82_8:                               ;   in Loop: Header=BB82_4 Depth=1
	s_or_b32 exec_lo, exec_lo, s0
	v_add_co_u32 v0, vcc_lo, v46, s36
	v_add_co_ci_u32_e32 v1, vcc_lo, s37, v47, vcc_lo
	v_mov_b32_e32 v23, 0
	s_delay_alu instid0(VALU_DEP_2) | instskip(NEXT) | instid1(VALU_DEP_1)
	v_cmp_gt_u64_e64 s18, s[34:35], v[0:1]
	s_and_saveexec_b32 s0, s18
	s_cbranch_execz .LBB82_10
; %bb.9:                                ;   in Loop: Header=BB82_4 Depth=1
	v_add_co_u32 v0, vcc_lo, s33, v45
	v_add_co_ci_u32_e32 v1, vcc_lo, s40, v44, vcc_lo
	global_load_b64 v[23:24], v[0:1], off offset:-4
.LBB82_10:                              ;   in Loop: Header=BB82_4 Depth=1
	s_or_b32 exec_lo, exec_lo, s0
	v_add_co_u32 v0, vcc_lo, v42, s36
	v_add_co_ci_u32_e32 v1, vcc_lo, s37, v43, vcc_lo
	v_add_co_u32 v35, vcc_lo, s33, v31
	v_add_co_ci_u32_e32 v36, vcc_lo, s40, v32, vcc_lo
	s_delay_alu instid0(VALU_DEP_3)
	v_cmp_gt_u64_e64 s21, s[34:35], v[0:1]
	ds_store_b64 v37, v[33:34]
	v_dual_mov_b32 v2, s22 :: v_dual_mov_b32 v3, s23
	s_getpc_b64 s[38:39]
	s_add_u32 s38, s38, _ZNK2at6native12_GLOBAL__N_113power_functorIN3c107complexIfEEEclERKS5_S8_@rel32@lo+4
	s_addc_u32 s39, s39, _ZNK2at6native12_GLOBAL__N_113power_functorIN3c107complexIfEEEclERKS5_S8_@rel32@hi+12
	v_cndmask_b32_e64 v1, v39, v36, s21
	v_cndmask_b32_e64 v0, v37, v35, s21
	flat_load_b64 v[0:1], v[0:1]
	s_swappc_b64 s[30:31], s[38:39]
	ds_store_b64 v37, v[0:1]
	s_and_saveexec_b32 s43, s19
	s_cbranch_execnz .LBB82_14
; %bb.11:                               ;   in Loop: Header=BB82_4 Depth=1
	s_or_b32 exec_lo, exec_lo, s43
	s_and_saveexec_b32 s19, s20
	s_cbranch_execnz .LBB82_15
.LBB82_12:                              ;   in Loop: Header=BB82_4 Depth=1
	s_or_b32 exec_lo, exec_lo, s19
	s_and_saveexec_b32 s19, s18
	s_cbranch_execnz .LBB82_16
.LBB82_13:                              ;   in Loop: Header=BB82_4 Depth=1
	s_or_b32 exec_lo, exec_lo, s19
	s_and_saveexec_b32 s0, s21
	s_cbranch_execz .LBB82_3
	s_branch .LBB82_17
.LBB82_14:                              ;   in Loop: Header=BB82_4 Depth=1
	v_dual_mov_b32 v0, v25 :: v_dual_mov_b32 v1, v26
	v_dual_mov_b32 v2, s22 :: v_dual_mov_b32 v3, s23
	s_swappc_b64 s[30:31], s[38:39]
	v_add_co_u32 v2, s0, s33, v29
	s_delay_alu instid0(VALU_DEP_1)
	v_add_co_ci_u32_e64 v3, null, s40, 0, s0
	global_store_b64 v[2:3], v[0:1], off
	s_or_b32 exec_lo, exec_lo, s43
	s_and_saveexec_b32 s19, s20
	s_cbranch_execz .LBB82_12
.LBB82_15:                              ;   in Loop: Header=BB82_4 Depth=1
	v_dual_mov_b32 v0, v27 :: v_dual_mov_b32 v1, v28
	v_dual_mov_b32 v2, s22 :: v_dual_mov_b32 v3, s23
	s_getpc_b64 s[0:1]
	s_add_u32 s0, s0, _ZNK2at6native12_GLOBAL__N_113power_functorIN3c107complexIfEEEclERKS5_S8_@rel32@lo+4
	s_addc_u32 s1, s1, _ZNK2at6native12_GLOBAL__N_113power_functorIN3c107complexIfEEEclERKS5_S8_@rel32@hi+12
	s_delay_alu instid0(SALU_CYCLE_1) | instskip(SKIP_1) | instid1(VALU_DEP_1)
	s_swappc_b64 s[30:31], s[0:1]
	v_add_co_u32 v2, s0, s33, v48
	v_add_co_ci_u32_e64 v3, null, s40, 0, s0
	global_store_b64 v[2:3], v[0:1], off offset:-4
	s_or_b32 exec_lo, exec_lo, s19
	s_and_saveexec_b32 s19, s18
	s_cbranch_execz .LBB82_13
.LBB82_16:                              ;   in Loop: Header=BB82_4 Depth=1
	v_dual_mov_b32 v0, v23 :: v_dual_mov_b32 v1, v24
	v_dual_mov_b32 v2, s22 :: v_dual_mov_b32 v3, s23
	s_getpc_b64 s[0:1]
	s_add_u32 s0, s0, _ZNK2at6native12_GLOBAL__N_113power_functorIN3c107complexIfEEEclERKS5_S8_@rel32@lo+4
	s_addc_u32 s1, s1, _ZNK2at6native12_GLOBAL__N_113power_functorIN3c107complexIfEEEclERKS5_S8_@rel32@hi+12
	s_delay_alu instid0(SALU_CYCLE_1)
	s_swappc_b64 s[30:31], s[0:1]
	v_add_co_u32 v2, vcc_lo, s33, v45
	v_add_co_ci_u32_e32 v3, vcc_lo, s40, v44, vcc_lo
	global_store_b64 v[2:3], v[0:1], off offset:-4
	s_or_b32 exec_lo, exec_lo, s19
	s_and_saveexec_b32 s0, s21
	s_cbranch_execz .LBB82_3
.LBB82_17:                              ;   in Loop: Header=BB82_4 Depth=1
	ds_load_b64 v[0:1], v37
	s_waitcnt lgkmcnt(0)
	global_store_b64 v[35:36], v[0:1], off
	s_branch .LBB82_3
.LBB82_18:
	s_cbranch_execz .LBB82_20
	s_branch .LBB82_23
.LBB82_19:
.LBB82_20:
	v_dual_mov_b32 v32, 0 :: v_dual_lshlrev_b32 v31, 2, v38
	s_mov_b32 s18, 0
	s_mov_b32 s0, exec_lo
	s_delay_alu instid0(VALU_DEP_1)
	v_cmpx_gt_i64_e64 s[24:25], v[31:32]
	s_cbranch_execz .LBB82_23
; %bb.21:
	s_load_b32 s0, s[16:17], 0xf54
	v_lshlrev_b32_e32 v0, 5, v38
	s_waitcnt lgkmcnt(0)
	s_and_b32 s0, s0, 0xffff
	s_delay_alu instid0(SALU_CYCLE_1)
	s_lshl_b32 s16, s0, 2
	s_add_u32 s1, s26, s28
	s_addc_u32 s2, s27, s29
	v_add_co_u32 v33, s1, s1, v0
	v_add_lshl_u32 v31, v38, s0, 2
	v_add_co_ci_u32_e64 v34, null, s2, 0, s1
	s_lshl_b32 s17, s0, 5
.LBB82_22:                              ; =>This Inner Loop Header: Depth=1
	s_clause 0x1
	global_load_b128 v[23:26], v[33:34], off
	global_load_b128 v[27:30], v[33:34], off offset:16
	v_mov_b32_e32 v2, s22
	s_getpc_b64 s[20:21]
	s_add_u32 s20, s20, _ZNK2at6native12_GLOBAL__N_113power_functorIN3c107complexIfEEEclERKS5_S8_@rel32@lo+4
	s_addc_u32 s21, s21, _ZNK2at6native12_GLOBAL__N_113power_functorIN3c107complexIfEEEclERKS5_S8_@rel32@hi+12
	v_mov_b32_e32 v3, s23
	s_waitcnt vmcnt(1)
	v_dual_mov_b32 v1, v24 :: v_dual_mov_b32 v0, v23
	s_swappc_b64 s[30:31], s[20:21]
	s_delay_alu instid0(VALU_DEP_1) | instskip(SKIP_3) | instid1(VALU_DEP_2)
	v_dual_mov_b32 v23, v0 :: v_dual_mov_b32 v24, v1
	v_dual_mov_b32 v0, v25 :: v_dual_mov_b32 v1, v26
	;; [unrolled: 1-line block ×3, first 2 shown]
	s_swappc_b64 s[30:31], s[20:21]
	v_dual_mov_b32 v25, v0 :: v_dual_mov_b32 v26, v1
	v_dual_mov_b32 v0, v27 :: v_dual_mov_b32 v1, v28
	;; [unrolled: 1-line block ×3, first 2 shown]
	s_swappc_b64 s[30:31], s[20:21]
	s_delay_alu instid0(VALU_DEP_2)
	v_dual_mov_b32 v27, v0 :: v_dual_mov_b32 v28, v1
	v_dual_mov_b32 v0, v29 :: v_dual_mov_b32 v1, v30
	;; [unrolled: 1-line block ×3, first 2 shown]
	s_swappc_b64 s[30:31], s[20:21]
	v_cmp_le_i64_e32 vcc_lo, s[24:25], v[31:32]
	v_cmp_lt_u64_e64 s0, 0xffff, v[31:32]
	v_dual_mov_b32 v29, v0 :: v_dual_mov_b32 v30, v1
	v_add_co_u32 v31, s1, v31, s16
	s_delay_alu instid0(VALU_DEP_1)
	v_add_co_ci_u32_e64 v32, s1, 0, v32, s1
	s_clause 0x1
	global_store_b128 v[33:34], v[23:26], off
	global_store_b128 v[33:34], v[27:30], off offset:16
	v_add_co_u32 v33, s1, v33, s17
	s_or_b32 s0, vcc_lo, s0
	v_add_co_ci_u32_e64 v34, vcc_lo, 0, v34, s1
	s_and_b32 s0, exec_lo, s0
	ds_store_b64 v37, v[29:30]
	s_or_b32 s18, s0, s18
	s_delay_alu instid0(SALU_CYCLE_1)
	s_and_not1_b32 exec_lo, exec_lo, s18
	s_cbranch_execnz .LBB82_22
.LBB82_23:
	s_endpgm
	.section	.rodata,"a",@progbits
	.p2align	6, 0x0
	.amdhsa_kernel _ZN2at6native12_GLOBAL__N_125multi_tensor_apply_kernelINS1_28TensorListScalarListMetadataIN3c107complexIfEELi1EEENS1_25BinaryOpScalarListFunctorIS6_Li1ELi1ELi0EEEJNS1_13power_functorIS6_EEEEEvT_T0_DpT1_
		.amdhsa_group_segment_fixed_size 4096
		.amdhsa_private_segment_fixed_size 0
		.amdhsa_kernarg_size 4168
		.amdhsa_user_sgpr_count 15
		.amdhsa_user_sgpr_dispatch_ptr 1
		.amdhsa_user_sgpr_queue_ptr 0
		.amdhsa_user_sgpr_kernarg_segment_ptr 1
		.amdhsa_user_sgpr_dispatch_id 0
		.amdhsa_user_sgpr_private_segment_size 0
		.amdhsa_wavefront_size32 1
		.amdhsa_uses_dynamic_stack 0
		.amdhsa_enable_private_segment 0
		.amdhsa_system_sgpr_workgroup_id_x 1
		.amdhsa_system_sgpr_workgroup_id_y 0
		.amdhsa_system_sgpr_workgroup_id_z 0
		.amdhsa_system_sgpr_workgroup_info 0
		.amdhsa_system_vgpr_workitem_id 2
		.amdhsa_next_free_vgpr 49
		.amdhsa_next_free_sgpr 44
		.amdhsa_reserve_vcc 1
		.amdhsa_float_round_mode_32 0
		.amdhsa_float_round_mode_16_64 0
		.amdhsa_float_denorm_mode_32 3
		.amdhsa_float_denorm_mode_16_64 3
		.amdhsa_dx10_clamp 1
		.amdhsa_ieee_mode 1
		.amdhsa_fp16_overflow 0
		.amdhsa_workgroup_processor_mode 1
		.amdhsa_memory_ordered 1
		.amdhsa_forward_progress 0
		.amdhsa_shared_vgpr_count 0
		.amdhsa_exception_fp_ieee_invalid_op 0
		.amdhsa_exception_fp_denorm_src 0
		.amdhsa_exception_fp_ieee_div_zero 0
		.amdhsa_exception_fp_ieee_overflow 0
		.amdhsa_exception_fp_ieee_underflow 0
		.amdhsa_exception_fp_ieee_inexact 0
		.amdhsa_exception_int_div_zero 0
	.end_amdhsa_kernel
	.section	.text._ZN2at6native12_GLOBAL__N_125multi_tensor_apply_kernelINS1_28TensorListScalarListMetadataIN3c107complexIfEELi1EEENS1_25BinaryOpScalarListFunctorIS6_Li1ELi1ELi0EEEJNS1_13power_functorIS6_EEEEEvT_T0_DpT1_,"axG",@progbits,_ZN2at6native12_GLOBAL__N_125multi_tensor_apply_kernelINS1_28TensorListScalarListMetadataIN3c107complexIfEELi1EEENS1_25BinaryOpScalarListFunctorIS6_Li1ELi1ELi0EEEJNS1_13power_functorIS6_EEEEEvT_T0_DpT1_,comdat
.Lfunc_end82:
	.size	_ZN2at6native12_GLOBAL__N_125multi_tensor_apply_kernelINS1_28TensorListScalarListMetadataIN3c107complexIfEELi1EEENS1_25BinaryOpScalarListFunctorIS6_Li1ELi1ELi0EEEJNS1_13power_functorIS6_EEEEEvT_T0_DpT1_, .Lfunc_end82-_ZN2at6native12_GLOBAL__N_125multi_tensor_apply_kernelINS1_28TensorListScalarListMetadataIN3c107complexIfEELi1EEENS1_25BinaryOpScalarListFunctorIS6_Li1ELi1ELi0EEEJNS1_13power_functorIS6_EEEEEvT_T0_DpT1_
                                        ; -- End function
	.section	.AMDGPU.csdata,"",@progbits
; Kernel info:
; codeLenInByte = 1492
; NumSgprs: 46
; NumVgprs: 49
; ScratchSize: 0
; MemoryBound: 0
; FloatMode: 240
; IeeeMode: 1
; LDSByteSize: 4096 bytes/workgroup (compile time only)
; SGPRBlocks: 5
; VGPRBlocks: 6
; NumSGPRsForWavesPerEU: 46
; NumVGPRsForWavesPerEU: 49
; Occupancy: 16
; WaveLimiterHint : 0
; COMPUTE_PGM_RSRC2:SCRATCH_EN: 0
; COMPUTE_PGM_RSRC2:USER_SGPR: 15
; COMPUTE_PGM_RSRC2:TRAP_HANDLER: 0
; COMPUTE_PGM_RSRC2:TGID_X_EN: 1
; COMPUTE_PGM_RSRC2:TGID_Y_EN: 0
; COMPUTE_PGM_RSRC2:TGID_Z_EN: 0
; COMPUTE_PGM_RSRC2:TIDIG_COMP_CNT: 2
	.section	.text._ZN2at6native12_GLOBAL__N_125multi_tensor_apply_kernelINS1_28TensorListScalarListMetadataIfLi1EEENS1_25BinaryOpScalarListFunctorIN3c104HalfELi1ELi1ELi0EEEJNS1_13power_functorIfEEEEEvT_T0_DpT1_,"axG",@progbits,_ZN2at6native12_GLOBAL__N_125multi_tensor_apply_kernelINS1_28TensorListScalarListMetadataIfLi1EEENS1_25BinaryOpScalarListFunctorIN3c104HalfELi1ELi1ELi0EEEJNS1_13power_functorIfEEEEEvT_T0_DpT1_,comdat
	.globl	_ZN2at6native12_GLOBAL__N_125multi_tensor_apply_kernelINS1_28TensorListScalarListMetadataIfLi1EEENS1_25BinaryOpScalarListFunctorIN3c104HalfELi1ELi1ELi0EEEJNS1_13power_functorIfEEEEEvT_T0_DpT1_ ; -- Begin function _ZN2at6native12_GLOBAL__N_125multi_tensor_apply_kernelINS1_28TensorListScalarListMetadataIfLi1EEENS1_25BinaryOpScalarListFunctorIN3c104HalfELi1ELi1ELi0EEEJNS1_13power_functorIfEEEEEvT_T0_DpT1_
	.p2align	8
	.type	_ZN2at6native12_GLOBAL__N_125multi_tensor_apply_kernelINS1_28TensorListScalarListMetadataIfLi1EEENS1_25BinaryOpScalarListFunctorIN3c104HalfELi1ELi1ELi0EEEJNS1_13power_functorIfEEEEEvT_T0_DpT1_,@function
_ZN2at6native12_GLOBAL__N_125multi_tensor_apply_kernelINS1_28TensorListScalarListMetadataIfLi1EEENS1_25BinaryOpScalarListFunctorIN3c104HalfELi1ELi1ELi0EEEJNS1_13power_functorIfEEEEEvT_T0_DpT1_: ; @_ZN2at6native12_GLOBAL__N_125multi_tensor_apply_kernelINS1_28TensorListScalarListMetadataIfLi1EEENS1_25BinaryOpScalarListFunctorIN3c104HalfELi1ELi1ELi0EEEJNS1_13power_functorIfEEEEEvT_T0_DpT1_
; %bb.0:
	v_mov_b32_e32 v1, s15
	s_add_u32 s2, s0, s15
	s_mul_i32 s3, s15, 3
	s_mul_hi_u32 s4, s15, 3
	s_addc_u32 s5, s1, 0
	global_load_u8 v1, v1, s[0:1] offset:1920
	s_add_u32 s2, s2, s3
	s_addc_u32 s3, s5, s4
	s_load_b32 s2, s[2:3], 0x8c0
	s_waitcnt vmcnt(0)
	v_readfirstlane_b32 s3, v1
	v_lshlrev_b32_e32 v1, 2, v1
	s_delay_alu instid0(VALU_DEP_2)
	s_lshl_b32 s6, s3, 3
	s_waitcnt lgkmcnt(0)
	s_ashr_i32 s3, s2, 31
	s_clause 0x1
	s_load_b64 s[4:5], s[0:1], s6 offset:0x300
	s_load_b64 s[10:11], s[0:1], s6 offset:0x0
	s_add_u32 s6, s0, s6
	s_addc_u32 s7, s1, 0
	v_sub_co_u32 v1, s6, s6, v1
	s_delay_alu instid0(VALU_DEP_1) | instskip(SKIP_1) | instid1(VALU_DEP_2)
	v_sub_co_ci_u32_e64 v2, null, s7, 0, s6
	s_lshl_b64 s[12:13], s[2:3], 17
	v_readfirstlane_b32 s6, v1
	s_lshl_b64 s[2:3], s[2:3], 16
	s_delay_alu instid0(VALU_DEP_2)
	v_readfirstlane_b32 s7, v2
	s_load_b32 s26, s[6:7], 0x600
	s_waitcnt lgkmcnt(0)
	s_and_b32 s6, s10, 7
	s_sub_u32 s24, s4, s2
	s_subb_u32 s25, s5, s3
	s_and_b32 s2, s4, 3
	s_mov_b32 s3, 0
	s_or_b32 s2, s6, s2
	s_delay_alu instid0(SALU_CYCLE_1)
	s_cmp_eq_u64 s[2:3], 0
	s_cbranch_scc1 .LBB83_21
; %bb.1:
	v_cmp_lt_i64_e64 s2, s[24:25], 1
	s_delay_alu instid0(VALU_DEP_1)
	s_and_b32 vcc_lo, exec_lo, s2
	s_cbranch_vccnz .LBB83_20
; %bb.2:
	s_load_b32 s2, s[0:1], 0xdd4
	v_cmp_gt_u64_e64 s3, 0x10000, s[24:25]
	v_lshlrev_b32_e32 v1, 1, v0
	s_mov_b64 s[16:17], 0
	s_mov_b32 s20, 0x3e76c4e1
	s_waitcnt lgkmcnt(0)
	s_and_b32 s2, s2, 0xffff
	s_and_b32 s3, s3, exec_lo
	v_add_co_u32 v5, s5, v0, s2
	s_cselect_b32 s15, s25, 0
	s_cselect_b32 s14, s24, 0x10000
	s_lshl_b32 s3, s2, 1
	s_lshl_b32 s9, s2, 2
	v_lshlrev_b32_e32 v3, 1, v5
	v_add_co_ci_u32_e64 v6, null, 0, 0, s5
	s_add_u32 s5, s10, s12
	v_add_co_u32 v9, s3, s3, v0
	s_mul_i32 s4, s2, 3
	s_addc_u32 s6, s11, s13
	v_add_co_ci_u32_e64 v10, null, 0, 0, s3
	v_add_co_u32 v1, s3, s5, v1
	v_add_co_u32 v7, s4, s4, v0
	v_add_co_ci_u32_e64 v2, null, s6, 0, s3
	v_add_co_u32 v3, s3, s5, v3
	v_add_co_ci_u32_e64 v8, null, 0, 0, s4
	v_add_co_ci_u32_e64 v4, null, s6, 0, s3
	s_lshl_b32 s18, s2, 3
	s_mul_i32 s19, s2, 6
	s_branch .LBB83_4
.LBB83_3:                               ;   in Loop: Header=BB83_4 Depth=1
	s_or_b32 exec_lo, exec_lo, s6
	s_add_u32 s16, s16, s9
	s_addc_u32 s17, s17, 0
	v_add_co_u32 v1, vcc_lo, v1, s18
	v_cmp_lt_i64_e64 s2, s[16:17], s[24:25]
	v_cmp_gt_u64_e64 s3, 0x10000, s[16:17]
	v_add_co_ci_u32_e32 v2, vcc_lo, 0, v2, vcc_lo
	v_add_co_u32 v3, vcc_lo, v3, s18
	v_add_co_ci_u32_e32 v4, vcc_lo, 0, v4, vcc_lo
	s_delay_alu instid0(VALU_DEP_4) | instskip(NEXT) | instid1(SALU_CYCLE_1)
	s_and_b32 s2, s2, s3
	s_and_b32 vcc_lo, exec_lo, s2
	s_cbranch_vccz .LBB83_20
.LBB83_4:                               ; =>This Inner Loop Header: Depth=1
	s_waitcnt vmcnt(0)
	v_add_co_u32 v11, s2, v0, s16
	s_delay_alu instid0(VALU_DEP_1) | instskip(SKIP_1) | instid1(VALU_DEP_2)
	v_add_co_ci_u32_e64 v12, null, 0, s17, s2
	v_mov_b32_e32 v14, 0
	v_cmp_gt_u64_e64 s4, s[14:15], v[11:12]
	s_delay_alu instid0(VALU_DEP_1)
	s_and_saveexec_b32 s2, s4
	s_cbranch_execz .LBB83_6
; %bb.5:                                ;   in Loop: Header=BB83_4 Depth=1
	global_load_u16 v14, v[1:2], off
.LBB83_6:                               ;   in Loop: Header=BB83_4 Depth=1
	s_or_b32 exec_lo, exec_lo, s2
	v_add_co_u32 v11, vcc_lo, v5, s16
	v_add_co_ci_u32_e32 v12, vcc_lo, s17, v6, vcc_lo
	v_mov_b32_e32 v13, 0
	s_delay_alu instid0(VALU_DEP_2) | instskip(NEXT) | instid1(VALU_DEP_1)
	v_cmp_gt_u64_e64 s3, s[14:15], v[11:12]
	s_and_saveexec_b32 s2, s3
	s_cbranch_execz .LBB83_8
; %bb.7:                                ;   in Loop: Header=BB83_4 Depth=1
	global_load_u16 v13, v[3:4], off
.LBB83_8:                               ;   in Loop: Header=BB83_4 Depth=1
	s_or_b32 exec_lo, exec_lo, s2
	v_add_co_u32 v11, vcc_lo, v9, s16
	v_add_co_ci_u32_e32 v12, vcc_lo, s17, v10, vcc_lo
	s_delay_alu instid0(VALU_DEP_1) | instskip(SKIP_1) | instid1(VALU_DEP_2)
	v_cmp_gt_u64_e64 s2, s[14:15], v[11:12]
	v_dual_mov_b32 v11, 0 :: v_dual_mov_b32 v12, 0
	s_and_saveexec_b32 s5, s2
	s_cbranch_execz .LBB83_10
; %bb.9:                                ;   in Loop: Header=BB83_4 Depth=1
	v_add_co_u32 v15, vcc_lo, v1, s9
	v_add_co_ci_u32_e32 v16, vcc_lo, 0, v2, vcc_lo
	global_load_u16 v12, v[15:16], off
.LBB83_10:                              ;   in Loop: Header=BB83_4 Depth=1
	s_or_b32 exec_lo, exec_lo, s5
	v_add_co_u32 v15, vcc_lo, v7, s16
	v_add_co_ci_u32_e32 v16, vcc_lo, s17, v8, vcc_lo
	s_delay_alu instid0(VALU_DEP_1)
	v_cmp_gt_u64_e32 vcc_lo, s[14:15], v[15:16]
	s_and_saveexec_b32 s6, vcc_lo
	s_cbranch_execnz .LBB83_15
; %bb.11:                               ;   in Loop: Header=BB83_4 Depth=1
	s_or_b32 exec_lo, exec_lo, s6
	s_and_saveexec_b32 s21, s4
	s_cbranch_execnz .LBB83_16
.LBB83_12:                              ;   in Loop: Header=BB83_4 Depth=1
	s_or_b32 exec_lo, exec_lo, s21
	s_and_saveexec_b32 s8, s3
	s_cbranch_execnz .LBB83_17
.LBB83_13:                              ;   in Loop: Header=BB83_4 Depth=1
	s_or_b32 exec_lo, exec_lo, s8
	s_and_saveexec_b32 s7, s2
	s_cbranch_execnz .LBB83_18
.LBB83_14:                              ;   in Loop: Header=BB83_4 Depth=1
	s_or_b32 exec_lo, exec_lo, s7
	s_and_saveexec_b32 s6, vcc_lo
	s_cbranch_execz .LBB83_3
	s_branch .LBB83_19
.LBB83_15:                              ;   in Loop: Header=BB83_4 Depth=1
	v_add_co_u32 v15, s5, v1, s19
	s_delay_alu instid0(VALU_DEP_1)
	v_add_co_ci_u32_e64 v16, s5, 0, v2, s5
	global_load_u16 v11, v[15:16], off
	s_or_b32 exec_lo, exec_lo, s6
	s_and_saveexec_b32 s21, s4
	s_cbranch_execz .LBB83_12
.LBB83_16:                              ;   in Loop: Header=BB83_4 Depth=1
	s_waitcnt vmcnt(0)
	v_cmp_eq_f16_e64 s4, 1.0, v14
	v_cvt_f32_f16_e32 v14, v14
	s_delay_alu instid0(VALU_DEP_2) | instskip(NEXT) | instid1(VALU_DEP_1)
	v_cndmask_b32_e64 v16, s26, 1.0, s4
	v_cmp_eq_f32_e64 s5, 0, v16
	v_cmp_gt_f32_e64 s7, 0, v16
	s_delay_alu instid0(VALU_DEP_2) | instskip(SKIP_1) | instid1(VALU_DEP_2)
	v_cndmask_b32_e64 v18, |v14|, 1.0, s5
	v_cndmask_b32_e64 v17, v14, 1.0, s5
	v_cvt_f64_f32_e32 v[14:15], v18
	s_delay_alu instid0(VALU_DEP_2) | instskip(NEXT) | instid1(VALU_DEP_2)
	v_cmp_eq_f32_e64 s8, 0, v17
	v_frexp_exp_i32_f64_e32 v14, v[14:15]
	v_frexp_mant_f32_e32 v15, v18
	s_delay_alu instid0(VALU_DEP_1) | instskip(NEXT) | instid1(VALU_DEP_1)
	v_cmp_gt_f32_e64 s5, 0x3f2aaaab, v15
	v_cndmask_b32_e64 v19, 1.0, 2.0, s5
	s_delay_alu instid0(VALU_DEP_1) | instskip(NEXT) | instid1(VALU_DEP_1)
	v_mul_f32_e32 v15, v15, v19
	v_add_f32_e32 v19, 1.0, v15
	v_add_f32_e32 v21, -1.0, v15
	s_delay_alu instid0(VALU_DEP_2) | instskip(SKIP_3) | instid1(VALU_DEP_2)
	v_rcp_f32_e32 v20, v19
	s_waitcnt_depctr 0xfff
	v_dual_mul_f32 v22, v21, v20 :: v_dual_add_f32 v23, -1.0, v19
	v_subrev_co_ci_u32_e64 v14, s6, 0, v14, s5
	v_mul_f32_e32 v24, v19, v22
	s_delay_alu instid0(VALU_DEP_3) | instskip(NEXT) | instid1(VALU_DEP_3)
	v_sub_f32_e32 v15, v15, v23
	v_cvt_f32_i32_e32 v14, v14
	s_delay_alu instid0(VALU_DEP_3) | instskip(NEXT) | instid1(VALU_DEP_1)
	v_fma_f32 v19, v22, v19, -v24
	v_fmac_f32_e32 v19, v22, v15
	s_delay_alu instid0(VALU_DEP_1) | instskip(NEXT) | instid1(VALU_DEP_1)
	v_add_f32_e32 v15, v24, v19
	v_dual_sub_f32 v23, v21, v15 :: v_dual_sub_f32 v24, v15, v24
	s_delay_alu instid0(VALU_DEP_1) | instskip(NEXT) | instid1(VALU_DEP_2)
	v_sub_f32_e32 v21, v21, v23
	v_sub_f32_e32 v19, v24, v19
	s_delay_alu instid0(VALU_DEP_2) | instskip(NEXT) | instid1(VALU_DEP_1)
	v_sub_f32_e32 v15, v21, v15
	v_add_f32_e32 v15, v19, v15
	s_delay_alu instid0(VALU_DEP_1) | instskip(NEXT) | instid1(VALU_DEP_1)
	v_add_f32_e32 v15, v23, v15
	v_mul_f32_e32 v15, v20, v15
	s_delay_alu instid0(VALU_DEP_1) | instskip(NEXT) | instid1(VALU_DEP_1)
	v_add_f32_e32 v19, v22, v15
	v_sub_f32_e32 v20, v19, v22
	v_mul_f32_e32 v21, v19, v19
	s_delay_alu instid0(VALU_DEP_2) | instskip(NEXT) | instid1(VALU_DEP_2)
	v_sub_f32_e32 v15, v15, v20
	v_fma_f32 v20, v19, v19, -v21
	s_delay_alu instid0(VALU_DEP_2) | instskip(NEXT) | instid1(VALU_DEP_1)
	v_add_f32_e32 v22, v15, v15
	v_fmac_f32_e32 v20, v19, v22
	s_delay_alu instid0(VALU_DEP_1) | instskip(NEXT) | instid1(VALU_DEP_1)
	v_add_f32_e32 v22, v21, v20
	v_mul_f32_e32 v26, v19, v22
	v_fmaak_f32 v23, s20, v22, 0x3e91f4c4
	v_sub_f32_e32 v21, v22, v21
	s_delay_alu instid0(VALU_DEP_3) | instskip(NEXT) | instid1(VALU_DEP_2)
	v_fma_f32 v27, v22, v19, -v26
	v_dual_fmaak_f32 v23, v22, v23, 0x3ecccdef :: v_dual_sub_f32 v20, v20, v21
	s_delay_alu instid0(VALU_DEP_1) | instskip(NEXT) | instid1(VALU_DEP_3)
	v_mul_f32_e32 v24, v22, v23
	v_fmac_f32_e32 v27, v22, v15
	v_ldexp_f32 v15, v15, 1
	s_delay_alu instid0(VALU_DEP_3) | instskip(NEXT) | instid1(VALU_DEP_3)
	v_fma_f32 v21, v22, v23, -v24
	v_fmac_f32_e32 v27, v20, v19
	v_ldexp_f32 v19, v19, 1
	s_delay_alu instid0(VALU_DEP_3) | instskip(NEXT) | instid1(VALU_DEP_1)
	v_fmac_f32_e32 v21, v20, v23
	v_dual_add_f32 v22, v26, v27 :: v_dual_add_f32 v23, v24, v21
	s_delay_alu instid0(VALU_DEP_1) | instskip(NEXT) | instid1(VALU_DEP_1)
	v_dual_sub_f32 v24, v23, v24 :: v_dual_add_f32 v25, 0x3f2aaaaa, v23
	v_dual_sub_f32 v21, v21, v24 :: v_dual_add_f32 v24, 0xbf2aaaaa, v25
	s_delay_alu instid0(VALU_DEP_1) | instskip(NEXT) | instid1(VALU_DEP_2)
	v_add_f32_e32 v21, 0x31739010, v21
	v_sub_f32_e32 v23, v23, v24
	s_delay_alu instid0(VALU_DEP_1) | instskip(NEXT) | instid1(VALU_DEP_1)
	v_add_f32_e32 v21, v21, v23
	v_add_f32_e32 v20, v25, v21
	s_delay_alu instid0(VALU_DEP_1) | instskip(SKIP_2) | instid1(VALU_DEP_3)
	v_sub_f32_e32 v23, v25, v20
	v_mul_f32_e32 v24, v22, v20
	v_sub_f32_e32 v25, v22, v26
	v_add_f32_e32 v21, v21, v23
	s_delay_alu instid0(VALU_DEP_3) | instskip(NEXT) | instid1(VALU_DEP_3)
	v_fma_f32 v23, v22, v20, -v24
	v_sub_f32_e32 v25, v27, v25
	s_delay_alu instid0(VALU_DEP_2) | instskip(NEXT) | instid1(VALU_DEP_1)
	v_fmac_f32_e32 v23, v22, v21
	v_fmac_f32_e32 v23, v25, v20
	s_delay_alu instid0(VALU_DEP_1) | instskip(NEXT) | instid1(VALU_DEP_1)
	v_add_f32_e32 v20, v24, v23
	v_sub_f32_e32 v21, v20, v24
	v_add_f32_e32 v22, v19, v20
	s_delay_alu instid0(VALU_DEP_2) | instskip(NEXT) | instid1(VALU_DEP_2)
	v_dual_mul_f32 v24, 0x3f317218, v14 :: v_dual_sub_f32 v21, v23, v21
	v_sub_f32_e32 v19, v22, v19
	s_delay_alu instid0(VALU_DEP_2) | instskip(NEXT) | instid1(VALU_DEP_3)
	v_fma_f32 v23, 0x3f317218, v14, -v24
	v_add_f32_e32 v15, v15, v21
	s_delay_alu instid0(VALU_DEP_3) | instskip(NEXT) | instid1(VALU_DEP_1)
	v_sub_f32_e32 v19, v20, v19
	v_dual_fmac_f32 v23, 0xb102e308, v14 :: v_dual_add_f32 v14, v15, v19
	s_delay_alu instid0(VALU_DEP_1) | instskip(NEXT) | instid1(VALU_DEP_1)
	v_add_f32_e32 v15, v24, v23
	v_dual_add_f32 v19, v22, v14 :: v_dual_sub_f32 v24, v15, v24
	s_delay_alu instid0(VALU_DEP_1) | instskip(SKIP_1) | instid1(VALU_DEP_3)
	v_add_f32_e32 v20, v15, v19
	v_sub_f32_e32 v22, v19, v22
	v_sub_f32_e32 v23, v23, v24
	s_delay_alu instid0(VALU_DEP_2) | instskip(NEXT) | instid1(VALU_DEP_1)
	v_dual_sub_f32 v21, v20, v15 :: v_dual_sub_f32 v14, v14, v22
	v_sub_f32_e32 v25, v20, v21
	v_sub_f32_e32 v19, v19, v21
	s_delay_alu instid0(VALU_DEP_3) | instskip(NEXT) | instid1(VALU_DEP_3)
	v_add_f32_e32 v21, v23, v14
	v_sub_f32_e32 v15, v15, v25
	s_delay_alu instid0(VALU_DEP_1) | instskip(NEXT) | instid1(VALU_DEP_3)
	v_add_f32_e32 v15, v19, v15
	v_sub_f32_e32 v19, v21, v23
	s_delay_alu instid0(VALU_DEP_2) | instskip(NEXT) | instid1(VALU_DEP_2)
	v_add_f32_e32 v15, v21, v15
	v_sub_f32_e32 v21, v21, v19
	v_sub_f32_e32 v14, v14, v19
	s_delay_alu instid0(VALU_DEP_2) | instskip(NEXT) | instid1(VALU_DEP_1)
	v_dual_add_f32 v22, v20, v15 :: v_dual_sub_f32 v19, v23, v21
	v_sub_f32_e32 v20, v22, v20
	s_delay_alu instid0(VALU_DEP_1) | instskip(NEXT) | instid1(VALU_DEP_1)
	v_dual_add_f32 v14, v14, v19 :: v_dual_sub_f32 v15, v15, v20
	v_add_f32_e32 v14, v14, v15
	s_delay_alu instid0(VALU_DEP_1) | instskip(NEXT) | instid1(VALU_DEP_1)
	v_add_f32_e32 v15, v22, v14
	v_dual_sub_f32 v19, v15, v22 :: v_dual_mul_f32 v20, v16, v15
	s_delay_alu instid0(VALU_DEP_1) | instskip(NEXT) | instid1(VALU_DEP_2)
	v_sub_f32_e32 v14, v14, v19
	v_fma_f32 v15, v16, v15, -v20
	v_cmp_class_f32_e64 s5, v20, 0x204
	s_delay_alu instid0(VALU_DEP_2) | instskip(NEXT) | instid1(VALU_DEP_1)
	v_fmac_f32_e32 v15, v16, v14
	v_add_f32_e32 v14, v20, v15
	s_delay_alu instid0(VALU_DEP_1) | instskip(SKIP_1) | instid1(VALU_DEP_2)
	v_cndmask_b32_e64 v19, v14, v20, s5
	v_sub_f32_e32 v14, v14, v20
	v_cmp_eq_f32_e64 s5, 0x42b17218, v19
	s_delay_alu instid0(VALU_DEP_2) | instskip(SKIP_1) | instid1(VALU_DEP_3)
	v_sub_f32_e32 v14, v15, v14
	v_trunc_f32_e32 v15, v16
	v_cndmask_b32_e64 v21, 0, 0x37000000, s5
	v_cmp_neq_f32_e64 s5, 0x7f800000, |v19|
	s_delay_alu instid0(VALU_DEP_2) | instskip(NEXT) | instid1(VALU_DEP_2)
	v_sub_f32_e32 v22, v19, v21
	v_cndmask_b32_e64 v14, 0, v14, s5
	s_delay_alu instid0(VALU_DEP_2) | instskip(NEXT) | instid1(VALU_DEP_2)
	v_mul_f32_e32 v23, 0x3fb8aa3b, v22
	v_add_f32_e32 v14, v21, v14
	v_cmp_ngt_f32_e64 s5, 0xc2ce8ed0, v22
	v_cmp_nlt_f32_e64 s6, 0x42b17218, v22
	s_delay_alu instid0(VALU_DEP_4) | instskip(SKIP_1) | instid1(VALU_DEP_1)
	v_fma_f32 v24, 0x3fb8aa3b, v22, -v23
	v_rndne_f32_e32 v25, v23
	v_dual_fmac_f32 v24, 0x32a5705f, v22 :: v_dual_sub_f32 v23, v23, v25
	v_cvt_i32_f32_e32 v20, v25
	s_delay_alu instid0(VALU_DEP_2) | instskip(NEXT) | instid1(VALU_DEP_1)
	v_add_f32_e32 v23, v23, v24
	v_exp_f32_e32 v23, v23
	s_waitcnt_depctr 0xfff
	v_ldexp_f32 v20, v23, v20
	v_mul_f32_e32 v23, 0.5, v16
	s_delay_alu instid0(VALU_DEP_2) | instskip(NEXT) | instid1(VALU_DEP_2)
	v_cndmask_b32_e64 v19, 0, v20, s5
	v_trunc_f32_e32 v20, v23
	v_cmp_eq_f32_e64 s5, v15, v16
	s_delay_alu instid0(VALU_DEP_3) | instskip(NEXT) | instid1(VALU_DEP_3)
	v_cndmask_b32_e64 v15, 0x7f800000, v19, s6
	v_cmp_neq_f32_e64 s6, v20, v23
	v_cndmask_b32_e64 v19, |s26|, 1.0, s4
	s_delay_alu instid0(VALU_DEP_3) | instskip(NEXT) | instid1(VALU_DEP_3)
	v_fma_f32 v14, v15, v14, v15
	s_and_b32 s4, s5, s6
	v_cmp_gt_f32_e64 s6, 1.0, v18
	v_cndmask_b32_e64 v20, 0, v17, s4
	v_cndmask_b32_e64 v21, 1.0, v17, s4
	v_cmp_class_f32_e64 s4, v15, 0x204
	s_delay_alu instid0(VALU_DEP_1) | instskip(SKIP_1) | instid1(VALU_DEP_2)
	v_cndmask_b32_e64 v14, v14, v15, s4
	v_cmp_neq_f32_e64 s4, v16, v19
	v_bfi_b32 v14, 0x7fffffff, v14, v21
	s_delay_alu instid0(VALU_DEP_2) | instskip(NEXT) | instid1(SALU_CYCLE_1)
	s_xor_b32 s4, s4, s6
	v_cndmask_b32_e64 v15, v19, 0, s4
	s_xor_b32 s4, s7, s8
	s_delay_alu instid0(VALU_DEP_2) | instskip(SKIP_3) | instid1(VALU_DEP_2)
	v_cndmask_b32_e64 v21, 0x7fc00000, v14, s5
	v_cndmask_b32_e64 v22, 0x7f800000, 0, s4
	v_cmp_eq_f32_e64 s4, 1.0, v18
	v_cmp_eq_f32_e64 s5, 0x7f800000, v19
	v_cndmask_b32_e64 v15, v15, v18, s4
	v_cmp_gt_f32_e64 s4, 0, v17
	s_delay_alu instid0(VALU_DEP_1) | instskip(SKIP_2) | instid1(VALU_DEP_3)
	v_cndmask_b32_e64 v14, v14, v21, s4
	v_cmp_eq_f32_e64 s4, 0x7f800000, v18
	v_bfi_b32 v18, 0x7fffffff, v22, v20
	v_cndmask_b32_e64 v14, v14, v15, s5
	s_delay_alu instid0(VALU_DEP_3)
	s_or_b32 s4, s4, s8
	s_delay_alu instid0(VALU_DEP_1) | instid1(SALU_CYCLE_1)
	v_cndmask_b32_e64 v14, v14, v18, s4
	v_cmp_o_f32_e64 s4, v17, v16
	s_delay_alu instid0(VALU_DEP_1) | instskip(NEXT) | instid1(VALU_DEP_1)
	v_cndmask_b32_e64 v14, 0x7fc00000, v14, s4
	v_cvt_f16_f32_e32 v14, v14
	global_store_b16 v[1:2], v14, off
	s_or_b32 exec_lo, exec_lo, s21
	s_and_saveexec_b32 s8, s3
	s_cbranch_execz .LBB83_13
.LBB83_17:                              ;   in Loop: Header=BB83_4 Depth=1
	s_waitcnt vmcnt(0)
	v_cmp_eq_f16_e64 s4, 1.0, v13
	v_cvt_f32_f16_e32 v16, v13
	s_delay_alu instid0(VALU_DEP_2) | instskip(NEXT) | instid1(VALU_DEP_1)
	v_cndmask_b32_e64 v15, s26, 1.0, s4
	v_cmp_eq_f32_e64 s3, 0, v15
	v_cmp_gt_f32_e64 s7, 0, v15
	s_delay_alu instid0(VALU_DEP_2) | instskip(NEXT) | instid1(VALU_DEP_1)
	v_cndmask_b32_e64 v17, |v16|, 1.0, s3
	v_frexp_mant_f32_e32 v13, v17
	s_delay_alu instid0(VALU_DEP_1) | instskip(NEXT) | instid1(VALU_DEP_1)
	v_cmp_gt_f32_e64 s5, 0x3f2aaaab, v13
	v_cndmask_b32_e64 v14, 1.0, 2.0, s5
	s_delay_alu instid0(VALU_DEP_1) | instskip(NEXT) | instid1(VALU_DEP_1)
	v_mul_f32_e32 v13, v13, v14
	v_add_f32_e32 v14, 1.0, v13
	v_add_f32_e32 v19, -1.0, v13
	s_delay_alu instid0(VALU_DEP_2) | instskip(SKIP_3) | instid1(VALU_DEP_1)
	v_rcp_f32_e32 v18, v14
	v_add_f32_e32 v21, -1.0, v14
	s_waitcnt_depctr 0xfff
	v_mul_f32_e32 v20, v19, v18
	v_dual_mul_f32 v22, v14, v20 :: v_dual_sub_f32 v13, v13, v21
	s_delay_alu instid0(VALU_DEP_1) | instskip(NEXT) | instid1(VALU_DEP_1)
	v_fma_f32 v14, v20, v14, -v22
	v_fmac_f32_e32 v14, v20, v13
	s_delay_alu instid0(VALU_DEP_1) | instskip(NEXT) | instid1(VALU_DEP_1)
	v_add_f32_e32 v13, v22, v14
	v_dual_sub_f32 v22, v13, v22 :: v_dual_sub_f32 v21, v19, v13
	s_delay_alu instid0(VALU_DEP_1) | instskip(NEXT) | instid1(VALU_DEP_1)
	v_dual_sub_f32 v14, v22, v14 :: v_dual_sub_f32 v19, v19, v21
	v_sub_f32_e32 v13, v19, v13
	s_delay_alu instid0(VALU_DEP_1) | instskip(NEXT) | instid1(VALU_DEP_1)
	v_add_f32_e32 v13, v14, v13
	v_add_f32_e32 v13, v21, v13
	s_delay_alu instid0(VALU_DEP_1) | instskip(NEXT) | instid1(VALU_DEP_1)
	v_mul_f32_e32 v13, v18, v13
	v_add_f32_e32 v18, v20, v13
	s_delay_alu instid0(VALU_DEP_1) | instskip(SKIP_1) | instid1(VALU_DEP_1)
	v_sub_f32_e32 v14, v18, v20
	v_mul_f32_e32 v19, v18, v18
	v_fma_f32 v21, v18, v18, -v19
	s_delay_alu instid0(VALU_DEP_3) | instskip(NEXT) | instid1(VALU_DEP_1)
	v_sub_f32_e32 v20, v13, v14
	v_add_f32_e32 v13, v20, v20
	s_delay_alu instid0(VALU_DEP_1) | instskip(SKIP_1) | instid1(VALU_DEP_2)
	v_fmac_f32_e32 v21, v18, v13
	v_cvt_f64_f32_e32 v[13:14], v17
	v_add_f32_e32 v22, v19, v21
	s_delay_alu instid0(VALU_DEP_1) | instskip(SKIP_1) | instid1(VALU_DEP_1)
	v_fmaak_f32 v23, s20, v22, 0x3e91f4c4
	v_sub_f32_e32 v19, v22, v19
	v_dual_mul_f32 v26, v18, v22 :: v_dual_sub_f32 v19, v21, v19
	s_delay_alu instid0(VALU_DEP_3) | instskip(NEXT) | instid1(VALU_DEP_1)
	v_fmaak_f32 v23, v22, v23, 0x3ecccdef
	v_mul_f32_e32 v24, v22, v23
	s_delay_alu instid0(VALU_DEP_1) | instskip(NEXT) | instid1(VALU_DEP_1)
	v_fma_f32 v21, v22, v23, -v24
	v_fmac_f32_e32 v21, v19, v23
	s_delay_alu instid0(VALU_DEP_1) | instskip(SKIP_1) | instid1(VALU_DEP_2)
	v_add_f32_e32 v23, v24, v21
	v_frexp_exp_i32_f64_e32 v13, v[13:14]
	v_sub_f32_e32 v24, v23, v24
	s_delay_alu instid0(VALU_DEP_1) | instskip(SKIP_1) | instid1(VALU_DEP_2)
	v_sub_f32_e32 v14, v21, v24
	v_fma_f32 v24, v22, v18, -v26
	v_add_f32_e32 v14, 0x31739010, v14
	s_delay_alu instid0(VALU_DEP_2) | instskip(SKIP_1) | instid1(VALU_DEP_2)
	v_dual_add_f32 v25, 0x3f2aaaaa, v23 :: v_dual_fmac_f32 v24, v22, v20
	v_ldexp_f32 v20, v20, 1
	v_dual_add_f32 v21, 0xbf2aaaaa, v25 :: v_dual_fmac_f32 v24, v19, v18
	s_delay_alu instid0(VALU_DEP_1) | instskip(NEXT) | instid1(VALU_DEP_1)
	v_sub_f32_e32 v21, v23, v21
	v_add_f32_e32 v14, v14, v21
	s_delay_alu instid0(VALU_DEP_3) | instskip(NEXT) | instid1(VALU_DEP_2)
	v_add_f32_e32 v21, v26, v24
	v_add_f32_e32 v19, v25, v14
	v_subrev_co_ci_u32_e64 v13, s5, 0, v13, s5
	s_delay_alu instid0(VALU_DEP_2) | instskip(NEXT) | instid1(VALU_DEP_4)
	v_sub_f32_e32 v22, v25, v19
	v_mul_f32_e32 v23, v21, v19
	s_delay_alu instid0(VALU_DEP_3) | instskip(SKIP_1) | instid1(VALU_DEP_4)
	v_cvt_f32_i32_e32 v13, v13
	v_sub_f32_e32 v25, v21, v26
	v_add_f32_e32 v14, v14, v22
	s_delay_alu instid0(VALU_DEP_4) | instskip(NEXT) | instid1(VALU_DEP_3)
	v_fma_f32 v22, v21, v19, -v23
	v_sub_f32_e32 v24, v24, v25
	s_delay_alu instid0(VALU_DEP_2) | instskip(SKIP_1) | instid1(VALU_DEP_2)
	v_fmac_f32_e32 v22, v21, v14
	v_ldexp_f32 v14, v18, 1
	v_fmac_f32_e32 v22, v24, v19
	s_delay_alu instid0(VALU_DEP_1) | instskip(NEXT) | instid1(VALU_DEP_1)
	v_add_f32_e32 v18, v23, v22
	v_add_f32_e32 v19, v14, v18
	s_delay_alu instid0(VALU_DEP_1) | instskip(NEXT) | instid1(VALU_DEP_1)
	v_dual_sub_f32 v14, v19, v14 :: v_dual_sub_f32 v21, v18, v23
	v_dual_mul_f32 v23, 0x3f317218, v13 :: v_dual_sub_f32 v14, v18, v14
	s_delay_alu instid0(VALU_DEP_2) | instskip(NEXT) | instid1(VALU_DEP_2)
	v_sub_f32_e32 v21, v22, v21
	v_fma_f32 v22, 0x3f317218, v13, -v23
	s_delay_alu instid0(VALU_DEP_2) | instskip(NEXT) | instid1(VALU_DEP_1)
	v_add_f32_e32 v18, v20, v21
	v_dual_fmac_f32 v22, 0xb102e308, v13 :: v_dual_add_f32 v13, v18, v14
	s_delay_alu instid0(VALU_DEP_1) | instskip(NEXT) | instid1(VALU_DEP_2)
	v_add_f32_e32 v14, v23, v22
	v_add_f32_e32 v18, v19, v13
	s_delay_alu instid0(VALU_DEP_1) | instskip(SKIP_1) | instid1(VALU_DEP_1)
	v_add_f32_e32 v20, v14, v18
	v_sub_f32_e32 v23, v14, v23
	v_dual_sub_f32 v21, v20, v14 :: v_dual_sub_f32 v22, v22, v23
	s_delay_alu instid0(VALU_DEP_1) | instskip(NEXT) | instid1(VALU_DEP_1)
	v_dual_sub_f32 v24, v20, v21 :: v_dual_sub_f32 v19, v18, v19
	v_dual_sub_f32 v18, v18, v21 :: v_dual_sub_f32 v13, v13, v19
	s_delay_alu instid0(VALU_DEP_2) | instskip(NEXT) | instid1(VALU_DEP_2)
	v_sub_f32_e32 v14, v14, v24
	v_add_f32_e32 v19, v22, v13
	s_delay_alu instid0(VALU_DEP_2) | instskip(NEXT) | instid1(VALU_DEP_2)
	v_add_f32_e32 v14, v18, v14
	v_sub_f32_e32 v18, v19, v22
	s_delay_alu instid0(VALU_DEP_2) | instskip(NEXT) | instid1(VALU_DEP_2)
	v_add_f32_e32 v14, v19, v14
	v_sub_f32_e32 v19, v19, v18
	s_delay_alu instid0(VALU_DEP_2) | instskip(NEXT) | instid1(VALU_DEP_2)
	v_add_f32_e32 v21, v20, v14
	v_dual_sub_f32 v13, v13, v18 :: v_dual_sub_f32 v18, v22, v19
	s_delay_alu instid0(VALU_DEP_2) | instskip(NEXT) | instid1(VALU_DEP_1)
	v_sub_f32_e32 v19, v21, v20
	v_dual_add_f32 v13, v13, v18 :: v_dual_sub_f32 v14, v14, v19
	s_delay_alu instid0(VALU_DEP_1) | instskip(NEXT) | instid1(VALU_DEP_1)
	v_add_f32_e32 v13, v13, v14
	v_add_f32_e32 v14, v21, v13
	s_delay_alu instid0(VALU_DEP_1) | instskip(NEXT) | instid1(VALU_DEP_1)
	v_dual_sub_f32 v18, v14, v21 :: v_dual_mul_f32 v19, v15, v14
	v_sub_f32_e32 v13, v13, v18
	s_delay_alu instid0(VALU_DEP_2) | instskip(SKIP_1) | instid1(VALU_DEP_2)
	v_fma_f32 v14, v15, v14, -v19
	v_cmp_class_f32_e64 s5, v19, 0x204
	v_fmac_f32_e32 v14, v15, v13
	s_delay_alu instid0(VALU_DEP_1) | instskip(NEXT) | instid1(VALU_DEP_1)
	v_add_f32_e32 v13, v19, v14
	v_cndmask_b32_e64 v18, v13, v19, s5
	s_delay_alu instid0(VALU_DEP_1) | instskip(NEXT) | instid1(VALU_DEP_1)
	v_cmp_eq_f32_e64 s5, 0x42b17218, v18
	v_cndmask_b32_e64 v20, 0, 0x37000000, s5
	v_cmp_neq_f32_e64 s5, 0x7f800000, |v18|
	s_delay_alu instid0(VALU_DEP_2) | instskip(NEXT) | instid1(VALU_DEP_1)
	v_sub_f32_e32 v21, v18, v20
	v_mul_f32_e32 v22, 0x3fb8aa3b, v21
	s_delay_alu instid0(VALU_DEP_1) | instskip(SKIP_1) | instid1(VALU_DEP_1)
	v_fma_f32 v23, 0x3fb8aa3b, v21, -v22
	v_rndne_f32_e32 v24, v22
	v_dual_fmac_f32 v23, 0x32a5705f, v21 :: v_dual_sub_f32 v22, v22, v24
	v_sub_f32_e32 v13, v13, v19
	v_cvt_i32_f32_e32 v19, v24
	s_delay_alu instid0(VALU_DEP_3) | instskip(NEXT) | instid1(VALU_DEP_3)
	v_add_f32_e32 v22, v22, v23
	v_sub_f32_e32 v13, v14, v13
	v_trunc_f32_e32 v14, v15
	s_delay_alu instid0(VALU_DEP_3) | instskip(NEXT) | instid1(VALU_DEP_2)
	v_exp_f32_e32 v22, v22
	v_cndmask_b32_e64 v13, 0, v13, s5
	v_cmp_ngt_f32_e64 s5, 0xc2ce8ed0, v21
	s_delay_alu instid0(VALU_DEP_2) | instskip(SKIP_3) | instid1(VALU_DEP_2)
	v_add_f32_e32 v13, v20, v13
	s_waitcnt_depctr 0xfff
	v_ldexp_f32 v19, v22, v19
	v_mul_f32_e32 v22, 0.5, v15
	v_cndmask_b32_e64 v18, 0, v19, s5
	v_cndmask_b32_e64 v19, |s26|, 1.0, s4
	v_cmp_nlt_f32_e64 s4, 0x42b17218, v21
	s_delay_alu instid0(VALU_DEP_4) | instskip(NEXT) | instid1(VALU_DEP_2)
	v_trunc_f32_e32 v23, v22
	v_cndmask_b32_e64 v18, 0x7f800000, v18, s4
	v_cmp_eq_f32_e64 s4, v14, v15
	s_delay_alu instid0(VALU_DEP_3)
	v_cmp_neq_f32_e64 s5, v23, v22
	v_cndmask_b32_e64 v14, v16, 1.0, s3
	v_cmp_neq_f32_e64 s3, v15, v19
	v_fma_f32 v13, v18, v13, v18
	v_cmp_class_f32_e64 s6, v18, 0x204
	s_and_b32 s5, s4, s5
	s_delay_alu instid0(SALU_CYCLE_1) | instskip(NEXT) | instid1(VALU_DEP_2)
	v_cndmask_b32_e64 v16, 1.0, v14, s5
	v_cndmask_b32_e64 v13, v13, v18, s6
	v_cmp_gt_f32_e64 s6, 1.0, v17
	s_delay_alu instid0(VALU_DEP_2) | instskip(NEXT) | instid1(VALU_DEP_2)
	v_bfi_b32 v13, 0x7fffffff, v13, v16
	s_xor_b32 s3, s3, s6
	s_delay_alu instid0(SALU_CYCLE_1) | instskip(SKIP_1) | instid1(VALU_DEP_3)
	v_cndmask_b32_e64 v16, v19, 0, s3
	v_cmp_eq_f32_e64 s3, 0, v14
	v_cndmask_b32_e64 v18, 0x7fc00000, v13, s4
	v_cmp_eq_f32_e64 s4, 1.0, v17
	s_delay_alu instid0(VALU_DEP_1) | instskip(NEXT) | instid1(VALU_DEP_4)
	v_cndmask_b32_e64 v16, v16, v17, s4
	s_xor_b32 s4, s7, s3
	s_delay_alu instid0(SALU_CYCLE_1) | instskip(SKIP_1) | instid1(VALU_DEP_1)
	v_cndmask_b32_e64 v20, 0x7f800000, 0, s4
	v_cmp_gt_f32_e64 s4, 0, v14
	v_cndmask_b32_e64 v13, v13, v18, s4
	v_cndmask_b32_e64 v18, 0, v14, s5
	v_cmp_eq_f32_e64 s5, 0x7f800000, v19
	v_cmp_eq_f32_e64 s4, 0x7f800000, v17
	s_delay_alu instid0(VALU_DEP_2) | instskip(NEXT) | instid1(VALU_DEP_4)
	v_cndmask_b32_e64 v13, v13, v16, s5
	v_bfi_b32 v16, 0x7fffffff, v20, v18
	s_delay_alu instid0(VALU_DEP_3)
	s_or_b32 s3, s4, s3
	s_delay_alu instid0(VALU_DEP_1) | instid1(SALU_CYCLE_1)
	v_cndmask_b32_e64 v13, v13, v16, s3
	v_cmp_o_f32_e64 s3, v14, v15
	s_delay_alu instid0(VALU_DEP_1) | instskip(NEXT) | instid1(VALU_DEP_1)
	v_cndmask_b32_e64 v13, 0x7fc00000, v13, s3
	v_cvt_f16_f32_e32 v13, v13
	global_store_b16 v[3:4], v13, off
	s_or_b32 exec_lo, exec_lo, s8
	s_and_saveexec_b32 s7, s2
	s_cbranch_execz .LBB83_14
.LBB83_18:                              ;   in Loop: Header=BB83_4 Depth=1
	s_waitcnt vmcnt(0)
	v_cmp_eq_f16_e64 s3, 1.0, v12
	v_cvt_f32_f16_e32 v15, v12
	s_delay_alu instid0(VALU_DEP_2) | instskip(NEXT) | instid1(VALU_DEP_1)
	v_cndmask_b32_e64 v14, s26, 1.0, s3
	v_cmp_eq_f32_e64 s2, 0, v14
	s_delay_alu instid0(VALU_DEP_1) | instskip(NEXT) | instid1(VALU_DEP_1)
	v_cndmask_b32_e64 v16, |v15|, 1.0, s2
	v_frexp_mant_f32_e32 v12, v16
	v_cmp_gt_f32_e64 s5, 1.0, v16
	s_delay_alu instid0(VALU_DEP_2) | instskip(NEXT) | instid1(VALU_DEP_1)
	v_cmp_gt_f32_e64 s4, 0x3f2aaaab, v12
	v_cndmask_b32_e64 v13, 1.0, 2.0, s4
	s_delay_alu instid0(VALU_DEP_1) | instskip(NEXT) | instid1(VALU_DEP_1)
	v_mul_f32_e32 v12, v12, v13
	v_add_f32_e32 v13, 1.0, v12
	v_add_f32_e32 v18, -1.0, v12
	s_delay_alu instid0(VALU_DEP_2) | instskip(SKIP_3) | instid1(VALU_DEP_1)
	v_rcp_f32_e32 v17, v13
	v_add_f32_e32 v20, -1.0, v13
	s_waitcnt_depctr 0xfff
	v_mul_f32_e32 v19, v18, v17
	v_dual_mul_f32 v21, v13, v19 :: v_dual_sub_f32 v12, v12, v20
	s_delay_alu instid0(VALU_DEP_1) | instskip(NEXT) | instid1(VALU_DEP_1)
	v_fma_f32 v13, v19, v13, -v21
	v_fmac_f32_e32 v13, v19, v12
	s_delay_alu instid0(VALU_DEP_1) | instskip(NEXT) | instid1(VALU_DEP_1)
	v_add_f32_e32 v12, v21, v13
	v_dual_sub_f32 v21, v12, v21 :: v_dual_sub_f32 v20, v18, v12
	s_delay_alu instid0(VALU_DEP_1) | instskip(NEXT) | instid1(VALU_DEP_1)
	v_dual_sub_f32 v13, v21, v13 :: v_dual_sub_f32 v18, v18, v20
	v_sub_f32_e32 v12, v18, v12
	s_delay_alu instid0(VALU_DEP_1) | instskip(NEXT) | instid1(VALU_DEP_1)
	v_add_f32_e32 v12, v13, v12
	v_add_f32_e32 v12, v20, v12
	s_delay_alu instid0(VALU_DEP_1) | instskip(NEXT) | instid1(VALU_DEP_1)
	v_mul_f32_e32 v12, v17, v12
	v_add_f32_e32 v17, v19, v12
	s_delay_alu instid0(VALU_DEP_1) | instskip(SKIP_1) | instid1(VALU_DEP_1)
	v_sub_f32_e32 v13, v17, v19
	v_mul_f32_e32 v18, v17, v17
	v_fma_f32 v20, v17, v17, -v18
	s_delay_alu instid0(VALU_DEP_3) | instskip(NEXT) | instid1(VALU_DEP_1)
	v_sub_f32_e32 v19, v12, v13
	v_add_f32_e32 v12, v19, v19
	s_delay_alu instid0(VALU_DEP_1) | instskip(SKIP_1) | instid1(VALU_DEP_2)
	v_fmac_f32_e32 v20, v17, v12
	v_cvt_f64_f32_e32 v[12:13], v16
	v_add_f32_e32 v21, v18, v20
	s_delay_alu instid0(VALU_DEP_1) | instskip(SKIP_1) | instid1(VALU_DEP_1)
	v_fmaak_f32 v22, s20, v21, 0x3e91f4c4
	v_sub_f32_e32 v18, v21, v18
	v_dual_mul_f32 v25, v17, v21 :: v_dual_sub_f32 v18, v20, v18
	s_delay_alu instid0(VALU_DEP_3) | instskip(NEXT) | instid1(VALU_DEP_1)
	v_fmaak_f32 v22, v21, v22, 0x3ecccdef
	v_mul_f32_e32 v23, v21, v22
	s_delay_alu instid0(VALU_DEP_1) | instskip(NEXT) | instid1(VALU_DEP_1)
	v_fma_f32 v20, v21, v22, -v23
	v_fmac_f32_e32 v20, v18, v22
	s_delay_alu instid0(VALU_DEP_1) | instskip(SKIP_1) | instid1(VALU_DEP_2)
	v_add_f32_e32 v22, v23, v20
	v_frexp_exp_i32_f64_e32 v12, v[12:13]
	v_sub_f32_e32 v23, v22, v23
	s_delay_alu instid0(VALU_DEP_1) | instskip(SKIP_1) | instid1(VALU_DEP_2)
	v_sub_f32_e32 v13, v20, v23
	v_fma_f32 v23, v21, v17, -v25
	v_add_f32_e32 v13, 0x31739010, v13
	s_delay_alu instid0(VALU_DEP_2) | instskip(SKIP_1) | instid1(VALU_DEP_2)
	v_dual_add_f32 v24, 0x3f2aaaaa, v22 :: v_dual_fmac_f32 v23, v21, v19
	v_ldexp_f32 v19, v19, 1
	v_dual_add_f32 v20, 0xbf2aaaaa, v24 :: v_dual_fmac_f32 v23, v18, v17
	s_delay_alu instid0(VALU_DEP_1) | instskip(NEXT) | instid1(VALU_DEP_1)
	v_sub_f32_e32 v20, v22, v20
	v_add_f32_e32 v13, v13, v20
	s_delay_alu instid0(VALU_DEP_3) | instskip(NEXT) | instid1(VALU_DEP_2)
	v_add_f32_e32 v20, v25, v23
	v_add_f32_e32 v18, v24, v13
	v_subrev_co_ci_u32_e64 v12, s4, 0, v12, s4
	s_delay_alu instid0(VALU_DEP_2) | instskip(NEXT) | instid1(VALU_DEP_4)
	v_sub_f32_e32 v21, v24, v18
	v_mul_f32_e32 v22, v20, v18
	s_delay_alu instid0(VALU_DEP_3) | instskip(SKIP_1) | instid1(VALU_DEP_4)
	v_cvt_f32_i32_e32 v12, v12
	v_sub_f32_e32 v24, v20, v25
	v_add_f32_e32 v13, v13, v21
	s_delay_alu instid0(VALU_DEP_4) | instskip(NEXT) | instid1(VALU_DEP_3)
	v_fma_f32 v21, v20, v18, -v22
	v_sub_f32_e32 v23, v23, v24
	s_delay_alu instid0(VALU_DEP_2) | instskip(SKIP_1) | instid1(VALU_DEP_2)
	v_fmac_f32_e32 v21, v20, v13
	v_ldexp_f32 v13, v17, 1
	v_fmac_f32_e32 v21, v23, v18
	s_delay_alu instid0(VALU_DEP_1) | instskip(NEXT) | instid1(VALU_DEP_1)
	v_add_f32_e32 v17, v22, v21
	v_add_f32_e32 v18, v13, v17
	s_delay_alu instid0(VALU_DEP_1) | instskip(NEXT) | instid1(VALU_DEP_1)
	v_dual_sub_f32 v13, v18, v13 :: v_dual_sub_f32 v20, v17, v22
	v_dual_mul_f32 v22, 0x3f317218, v12 :: v_dual_sub_f32 v13, v17, v13
	s_delay_alu instid0(VALU_DEP_2) | instskip(NEXT) | instid1(VALU_DEP_2)
	v_sub_f32_e32 v20, v21, v20
	v_fma_f32 v21, 0x3f317218, v12, -v22
	s_delay_alu instid0(VALU_DEP_2) | instskip(NEXT) | instid1(VALU_DEP_1)
	v_add_f32_e32 v17, v19, v20
	v_dual_fmac_f32 v21, 0xb102e308, v12 :: v_dual_add_f32 v12, v17, v13
	s_delay_alu instid0(VALU_DEP_1) | instskip(NEXT) | instid1(VALU_DEP_2)
	v_add_f32_e32 v13, v22, v21
	v_add_f32_e32 v17, v18, v12
	s_delay_alu instid0(VALU_DEP_1) | instskip(SKIP_1) | instid1(VALU_DEP_1)
	v_add_f32_e32 v19, v13, v17
	v_sub_f32_e32 v22, v13, v22
	v_dual_sub_f32 v20, v19, v13 :: v_dual_sub_f32 v21, v21, v22
	s_delay_alu instid0(VALU_DEP_1) | instskip(NEXT) | instid1(VALU_DEP_1)
	v_dual_sub_f32 v23, v19, v20 :: v_dual_sub_f32 v18, v17, v18
	v_dual_sub_f32 v17, v17, v20 :: v_dual_sub_f32 v12, v12, v18
	s_delay_alu instid0(VALU_DEP_2) | instskip(NEXT) | instid1(VALU_DEP_2)
	v_sub_f32_e32 v13, v13, v23
	v_add_f32_e32 v18, v21, v12
	s_delay_alu instid0(VALU_DEP_2) | instskip(NEXT) | instid1(VALU_DEP_2)
	v_add_f32_e32 v13, v17, v13
	v_sub_f32_e32 v17, v18, v21
	s_delay_alu instid0(VALU_DEP_2) | instskip(NEXT) | instid1(VALU_DEP_2)
	v_add_f32_e32 v13, v18, v13
	v_sub_f32_e32 v18, v18, v17
	s_delay_alu instid0(VALU_DEP_2) | instskip(NEXT) | instid1(VALU_DEP_2)
	v_add_f32_e32 v20, v19, v13
	v_dual_sub_f32 v12, v12, v17 :: v_dual_sub_f32 v17, v21, v18
	s_delay_alu instid0(VALU_DEP_2) | instskip(NEXT) | instid1(VALU_DEP_1)
	v_sub_f32_e32 v18, v20, v19
	v_dual_add_f32 v12, v12, v17 :: v_dual_sub_f32 v13, v13, v18
	s_delay_alu instid0(VALU_DEP_1) | instskip(NEXT) | instid1(VALU_DEP_1)
	v_add_f32_e32 v12, v12, v13
	v_add_f32_e32 v13, v20, v12
	s_delay_alu instid0(VALU_DEP_1) | instskip(NEXT) | instid1(VALU_DEP_1)
	v_dual_sub_f32 v17, v13, v20 :: v_dual_mul_f32 v18, v14, v13
	v_sub_f32_e32 v12, v12, v17
	s_delay_alu instid0(VALU_DEP_2) | instskip(SKIP_1) | instid1(VALU_DEP_2)
	v_fma_f32 v13, v14, v13, -v18
	v_cmp_class_f32_e64 s4, v18, 0x204
	v_fmac_f32_e32 v13, v14, v12
	s_delay_alu instid0(VALU_DEP_1) | instskip(NEXT) | instid1(VALU_DEP_1)
	v_add_f32_e32 v12, v18, v13
	v_cndmask_b32_e64 v17, v12, v18, s4
	s_delay_alu instid0(VALU_DEP_1) | instskip(NEXT) | instid1(VALU_DEP_1)
	v_cmp_eq_f32_e64 s4, 0x42b17218, v17
	v_cndmask_b32_e64 v19, 0, 0x37000000, s4
	v_cmp_neq_f32_e64 s4, 0x7f800000, |v17|
	s_delay_alu instid0(VALU_DEP_2) | instskip(NEXT) | instid1(VALU_DEP_1)
	v_sub_f32_e32 v20, v17, v19
	v_mul_f32_e32 v21, 0x3fb8aa3b, v20
	s_delay_alu instid0(VALU_DEP_1) | instskip(SKIP_1) | instid1(VALU_DEP_1)
	v_fma_f32 v22, 0x3fb8aa3b, v20, -v21
	v_rndne_f32_e32 v23, v21
	v_dual_fmac_f32 v22, 0x32a5705f, v20 :: v_dual_sub_f32 v21, v21, v23
	v_sub_f32_e32 v12, v12, v18
	v_cvt_i32_f32_e32 v18, v23
	s_delay_alu instid0(VALU_DEP_3) | instskip(NEXT) | instid1(VALU_DEP_3)
	v_add_f32_e32 v21, v21, v22
	v_sub_f32_e32 v12, v13, v12
	v_trunc_f32_e32 v13, v14
	s_delay_alu instid0(VALU_DEP_3) | instskip(NEXT) | instid1(VALU_DEP_2)
	v_exp_f32_e32 v21, v21
	v_cndmask_b32_e64 v12, 0, v12, s4
	v_cmp_ngt_f32_e64 s4, 0xc2ce8ed0, v20
	s_delay_alu instid0(VALU_DEP_2) | instskip(SKIP_3) | instid1(VALU_DEP_2)
	v_add_f32_e32 v12, v19, v12
	s_waitcnt_depctr 0xfff
	v_ldexp_f32 v18, v21, v18
	v_mul_f32_e32 v21, 0.5, v14
	v_cndmask_b32_e64 v17, 0, v18, s4
	v_cndmask_b32_e64 v18, |s26|, 1.0, s3
	v_cmp_nlt_f32_e64 s3, 0x42b17218, v20
	s_delay_alu instid0(VALU_DEP_4) | instskip(NEXT) | instid1(VALU_DEP_2)
	v_trunc_f32_e32 v22, v21
	v_cndmask_b32_e64 v17, 0x7f800000, v17, s3
	v_cmp_eq_f32_e64 s3, v13, v14
	s_delay_alu instid0(VALU_DEP_3)
	v_cmp_neq_f32_e64 s4, v22, v21
	v_cndmask_b32_e64 v13, v15, 1.0, s2
	v_cmp_neq_f32_e64 s2, v14, v18
	v_fma_f32 v12, v17, v12, v17
	v_cmp_class_f32_e64 s6, v17, 0x204
	s_and_b32 s4, s3, s4
	s_delay_alu instid0(SALU_CYCLE_1) | instskip(SKIP_1) | instid1(VALU_DEP_2)
	v_cndmask_b32_e64 v15, 1.0, v13, s4
	s_xor_b32 s2, s2, s5
	v_cndmask_b32_e64 v12, v12, v17, s6
	v_cmp_gt_f32_e64 s6, 0, v14
	v_cndmask_b32_e64 v17, v18, 0, s2
	v_cmp_eq_f32_e64 s2, 0, v13
	v_cmp_eq_f32_e64 s5, 1.0, v16
	v_bfi_b32 v12, 0x7fffffff, v12, v15
	v_cndmask_b32_e64 v20, 0, v13, s4
	v_cmp_eq_f32_e64 s4, 0x7f800000, v18
	s_delay_alu instid0(VALU_DEP_4) | instskip(NEXT) | instid1(VALU_DEP_4)
	v_cndmask_b32_e64 v15, v17, v16, s5
	v_cndmask_b32_e64 v17, 0x7fc00000, v12, s3
	s_xor_b32 s3, s6, s2
	s_delay_alu instid0(SALU_CYCLE_1) | instskip(SKIP_1) | instid1(VALU_DEP_1)
	v_cndmask_b32_e64 v19, 0x7f800000, 0, s3
	v_cmp_gt_f32_e64 s3, 0, v13
	v_cndmask_b32_e64 v12, v12, v17, s3
	v_cmp_eq_f32_e64 s3, 0x7f800000, v16
	s_delay_alu instid0(VALU_DEP_4) | instskip(NEXT) | instid1(VALU_DEP_3)
	v_bfi_b32 v16, 0x7fffffff, v19, v20
	v_cndmask_b32_e64 v12, v12, v15, s4
	s_delay_alu instid0(VALU_DEP_3)
	s_or_b32 s2, s3, s2
	s_delay_alu instid0(VALU_DEP_1) | instid1(SALU_CYCLE_1)
	v_cndmask_b32_e64 v12, v12, v16, s2
	v_cmp_o_f32_e64 s2, v13, v14
	s_delay_alu instid0(VALU_DEP_1) | instskip(NEXT) | instid1(VALU_DEP_1)
	v_cndmask_b32_e64 v12, 0x7fc00000, v12, s2
	v_cvt_f16_f32_e32 v14, v12
	v_add_co_u32 v12, s2, v1, s9
	s_delay_alu instid0(VALU_DEP_1)
	v_add_co_ci_u32_e64 v13, s2, 0, v2, s2
	global_store_b16 v[12:13], v14, off
	s_or_b32 exec_lo, exec_lo, s7
	s_and_saveexec_b32 s6, vcc_lo
	s_cbranch_execz .LBB83_3
.LBB83_19:                              ;   in Loop: Header=BB83_4 Depth=1
	s_waitcnt vmcnt(0)
	v_cmp_eq_f16_e64 s2, 1.0, v11
	v_cvt_f32_f16_e32 v14, v11
	s_delay_alu instid0(VALU_DEP_2) | instskip(NEXT) | instid1(VALU_DEP_1)
	v_cndmask_b32_e64 v13, s26, 1.0, s2
	v_cmp_eq_f32_e32 vcc_lo, 0, v13
	s_delay_alu instid0(VALU_DEP_3) | instskip(NEXT) | instid1(VALU_DEP_1)
	v_cndmask_b32_e64 v15, |v14|, 1.0, vcc_lo
	v_frexp_mant_f32_e32 v11, v15
	v_cmp_gt_f32_e64 s4, 1.0, v15
	s_delay_alu instid0(VALU_DEP_2) | instskip(NEXT) | instid1(VALU_DEP_1)
	v_cmp_gt_f32_e64 s3, 0x3f2aaaab, v11
	v_cndmask_b32_e64 v12, 1.0, 2.0, s3
	s_delay_alu instid0(VALU_DEP_1) | instskip(NEXT) | instid1(VALU_DEP_1)
	v_mul_f32_e32 v11, v11, v12
	v_add_f32_e32 v12, 1.0, v11
	v_add_f32_e32 v17, -1.0, v11
	s_delay_alu instid0(VALU_DEP_2) | instskip(SKIP_3) | instid1(VALU_DEP_1)
	v_rcp_f32_e32 v16, v12
	v_add_f32_e32 v19, -1.0, v12
	s_waitcnt_depctr 0xfff
	v_mul_f32_e32 v18, v17, v16
	v_dual_mul_f32 v20, v12, v18 :: v_dual_sub_f32 v11, v11, v19
	s_delay_alu instid0(VALU_DEP_1) | instskip(NEXT) | instid1(VALU_DEP_1)
	v_fma_f32 v12, v18, v12, -v20
	v_fmac_f32_e32 v12, v18, v11
	s_delay_alu instid0(VALU_DEP_1) | instskip(NEXT) | instid1(VALU_DEP_1)
	v_add_f32_e32 v11, v20, v12
	v_dual_sub_f32 v20, v11, v20 :: v_dual_sub_f32 v19, v17, v11
	s_delay_alu instid0(VALU_DEP_1) | instskip(NEXT) | instid1(VALU_DEP_1)
	v_dual_sub_f32 v12, v20, v12 :: v_dual_sub_f32 v17, v17, v19
	v_sub_f32_e32 v11, v17, v11
	s_delay_alu instid0(VALU_DEP_1) | instskip(NEXT) | instid1(VALU_DEP_1)
	v_add_f32_e32 v11, v12, v11
	v_add_f32_e32 v11, v19, v11
	s_delay_alu instid0(VALU_DEP_1) | instskip(NEXT) | instid1(VALU_DEP_1)
	v_mul_f32_e32 v11, v16, v11
	v_add_f32_e32 v16, v18, v11
	s_delay_alu instid0(VALU_DEP_1) | instskip(SKIP_1) | instid1(VALU_DEP_1)
	v_sub_f32_e32 v12, v16, v18
	v_mul_f32_e32 v17, v16, v16
	v_fma_f32 v19, v16, v16, -v17
	s_delay_alu instid0(VALU_DEP_3) | instskip(NEXT) | instid1(VALU_DEP_1)
	v_sub_f32_e32 v18, v11, v12
	v_add_f32_e32 v11, v18, v18
	s_delay_alu instid0(VALU_DEP_1) | instskip(SKIP_1) | instid1(VALU_DEP_2)
	v_fmac_f32_e32 v19, v16, v11
	v_cvt_f64_f32_e32 v[11:12], v15
	v_add_f32_e32 v20, v17, v19
	s_delay_alu instid0(VALU_DEP_1) | instskip(SKIP_1) | instid1(VALU_DEP_1)
	v_fmaak_f32 v21, s20, v20, 0x3e91f4c4
	v_sub_f32_e32 v17, v20, v17
	v_dual_mul_f32 v24, v16, v20 :: v_dual_sub_f32 v17, v19, v17
	s_delay_alu instid0(VALU_DEP_3) | instskip(NEXT) | instid1(VALU_DEP_1)
	v_fmaak_f32 v21, v20, v21, 0x3ecccdef
	v_mul_f32_e32 v22, v20, v21
	s_delay_alu instid0(VALU_DEP_1) | instskip(NEXT) | instid1(VALU_DEP_1)
	v_fma_f32 v19, v20, v21, -v22
	v_fmac_f32_e32 v19, v17, v21
	s_delay_alu instid0(VALU_DEP_1) | instskip(SKIP_1) | instid1(VALU_DEP_2)
	v_add_f32_e32 v21, v22, v19
	v_frexp_exp_i32_f64_e32 v11, v[11:12]
	v_sub_f32_e32 v22, v21, v22
	s_delay_alu instid0(VALU_DEP_1) | instskip(SKIP_1) | instid1(VALU_DEP_2)
	v_sub_f32_e32 v12, v19, v22
	v_fma_f32 v22, v20, v16, -v24
	v_add_f32_e32 v12, 0x31739010, v12
	s_delay_alu instid0(VALU_DEP_2) | instskip(SKIP_1) | instid1(VALU_DEP_2)
	v_dual_add_f32 v23, 0x3f2aaaaa, v21 :: v_dual_fmac_f32 v22, v20, v18
	v_ldexp_f32 v18, v18, 1
	v_dual_add_f32 v19, 0xbf2aaaaa, v23 :: v_dual_fmac_f32 v22, v17, v16
	s_delay_alu instid0(VALU_DEP_1) | instskip(NEXT) | instid1(VALU_DEP_1)
	v_sub_f32_e32 v19, v21, v19
	v_add_f32_e32 v12, v12, v19
	s_delay_alu instid0(VALU_DEP_3) | instskip(NEXT) | instid1(VALU_DEP_2)
	v_add_f32_e32 v19, v24, v22
	v_add_f32_e32 v17, v23, v12
	v_subrev_co_ci_u32_e64 v11, s3, 0, v11, s3
	s_delay_alu instid0(VALU_DEP_2) | instskip(NEXT) | instid1(VALU_DEP_4)
	v_sub_f32_e32 v20, v23, v17
	v_mul_f32_e32 v21, v19, v17
	s_delay_alu instid0(VALU_DEP_3) | instskip(SKIP_1) | instid1(VALU_DEP_4)
	v_cvt_f32_i32_e32 v11, v11
	v_sub_f32_e32 v23, v19, v24
	v_add_f32_e32 v12, v12, v20
	s_delay_alu instid0(VALU_DEP_4) | instskip(NEXT) | instid1(VALU_DEP_3)
	v_fma_f32 v20, v19, v17, -v21
	v_sub_f32_e32 v22, v22, v23
	s_delay_alu instid0(VALU_DEP_2) | instskip(SKIP_1) | instid1(VALU_DEP_2)
	v_fmac_f32_e32 v20, v19, v12
	v_ldexp_f32 v12, v16, 1
	v_fmac_f32_e32 v20, v22, v17
	s_delay_alu instid0(VALU_DEP_1) | instskip(NEXT) | instid1(VALU_DEP_1)
	v_add_f32_e32 v16, v21, v20
	v_add_f32_e32 v17, v12, v16
	s_delay_alu instid0(VALU_DEP_1) | instskip(NEXT) | instid1(VALU_DEP_1)
	v_dual_sub_f32 v12, v17, v12 :: v_dual_sub_f32 v19, v16, v21
	v_dual_mul_f32 v21, 0x3f317218, v11 :: v_dual_sub_f32 v12, v16, v12
	s_delay_alu instid0(VALU_DEP_2) | instskip(NEXT) | instid1(VALU_DEP_2)
	v_sub_f32_e32 v19, v20, v19
	v_fma_f32 v20, 0x3f317218, v11, -v21
	s_delay_alu instid0(VALU_DEP_2) | instskip(NEXT) | instid1(VALU_DEP_1)
	v_add_f32_e32 v16, v18, v19
	v_dual_fmac_f32 v20, 0xb102e308, v11 :: v_dual_add_f32 v11, v16, v12
	s_delay_alu instid0(VALU_DEP_1) | instskip(NEXT) | instid1(VALU_DEP_2)
	v_add_f32_e32 v12, v21, v20
	v_add_f32_e32 v16, v17, v11
	s_delay_alu instid0(VALU_DEP_1) | instskip(SKIP_1) | instid1(VALU_DEP_1)
	v_add_f32_e32 v18, v12, v16
	v_sub_f32_e32 v21, v12, v21
	v_dual_sub_f32 v19, v18, v12 :: v_dual_sub_f32 v20, v20, v21
	s_delay_alu instid0(VALU_DEP_1) | instskip(NEXT) | instid1(VALU_DEP_1)
	v_dual_sub_f32 v22, v18, v19 :: v_dual_sub_f32 v17, v16, v17
	v_dual_sub_f32 v16, v16, v19 :: v_dual_sub_f32 v11, v11, v17
	s_delay_alu instid0(VALU_DEP_2) | instskip(NEXT) | instid1(VALU_DEP_2)
	v_sub_f32_e32 v12, v12, v22
	v_add_f32_e32 v17, v20, v11
	s_delay_alu instid0(VALU_DEP_2) | instskip(NEXT) | instid1(VALU_DEP_2)
	v_add_f32_e32 v12, v16, v12
	v_sub_f32_e32 v16, v17, v20
	s_delay_alu instid0(VALU_DEP_2) | instskip(NEXT) | instid1(VALU_DEP_2)
	v_add_f32_e32 v12, v17, v12
	v_sub_f32_e32 v17, v17, v16
	s_delay_alu instid0(VALU_DEP_2) | instskip(NEXT) | instid1(VALU_DEP_2)
	v_add_f32_e32 v19, v18, v12
	v_dual_sub_f32 v11, v11, v16 :: v_dual_sub_f32 v16, v20, v17
	s_delay_alu instid0(VALU_DEP_2) | instskip(NEXT) | instid1(VALU_DEP_1)
	v_sub_f32_e32 v17, v19, v18
	v_dual_add_f32 v11, v11, v16 :: v_dual_sub_f32 v12, v12, v17
	s_delay_alu instid0(VALU_DEP_1) | instskip(NEXT) | instid1(VALU_DEP_1)
	v_add_f32_e32 v11, v11, v12
	v_add_f32_e32 v12, v19, v11
	s_delay_alu instid0(VALU_DEP_1) | instskip(NEXT) | instid1(VALU_DEP_1)
	v_dual_sub_f32 v16, v12, v19 :: v_dual_mul_f32 v17, v13, v12
	v_sub_f32_e32 v11, v11, v16
	s_delay_alu instid0(VALU_DEP_2) | instskip(SKIP_1) | instid1(VALU_DEP_2)
	v_fma_f32 v12, v13, v12, -v17
	v_cmp_class_f32_e64 s3, v17, 0x204
	v_fmac_f32_e32 v12, v13, v11
	s_delay_alu instid0(VALU_DEP_1) | instskip(NEXT) | instid1(VALU_DEP_1)
	v_add_f32_e32 v11, v17, v12
	v_cndmask_b32_e64 v16, v11, v17, s3
	s_delay_alu instid0(VALU_DEP_1) | instskip(NEXT) | instid1(VALU_DEP_1)
	v_cmp_eq_f32_e64 s3, 0x42b17218, v16
	v_cndmask_b32_e64 v18, 0, 0x37000000, s3
	v_cmp_neq_f32_e64 s3, 0x7f800000, |v16|
	s_delay_alu instid0(VALU_DEP_2) | instskip(NEXT) | instid1(VALU_DEP_1)
	v_sub_f32_e32 v19, v16, v18
	v_mul_f32_e32 v20, 0x3fb8aa3b, v19
	s_delay_alu instid0(VALU_DEP_1) | instskip(SKIP_1) | instid1(VALU_DEP_1)
	v_fma_f32 v21, 0x3fb8aa3b, v19, -v20
	v_rndne_f32_e32 v22, v20
	v_dual_fmac_f32 v21, 0x32a5705f, v19 :: v_dual_sub_f32 v20, v20, v22
	v_sub_f32_e32 v11, v11, v17
	v_cvt_i32_f32_e32 v17, v22
	s_delay_alu instid0(VALU_DEP_3) | instskip(NEXT) | instid1(VALU_DEP_3)
	v_add_f32_e32 v20, v20, v21
	v_sub_f32_e32 v11, v12, v11
	v_trunc_f32_e32 v12, v13
	s_delay_alu instid0(VALU_DEP_3) | instskip(NEXT) | instid1(VALU_DEP_2)
	v_exp_f32_e32 v20, v20
	v_cndmask_b32_e64 v11, 0, v11, s3
	v_cmp_ngt_f32_e64 s3, 0xc2ce8ed0, v19
	s_delay_alu instid0(VALU_DEP_2) | instskip(SKIP_3) | instid1(VALU_DEP_2)
	v_add_f32_e32 v11, v18, v11
	s_waitcnt_depctr 0xfff
	v_ldexp_f32 v17, v20, v17
	v_mul_f32_e32 v20, 0.5, v13
	v_cndmask_b32_e64 v16, 0, v17, s3
	v_cndmask_b32_e64 v17, |s26|, 1.0, s2
	v_cmp_nlt_f32_e64 s2, 0x42b17218, v19
	s_delay_alu instid0(VALU_DEP_4) | instskip(NEXT) | instid1(VALU_DEP_2)
	v_trunc_f32_e32 v21, v20
	v_cndmask_b32_e64 v16, 0x7f800000, v16, s2
	v_cmp_eq_f32_e64 s2, v12, v13
	s_delay_alu instid0(VALU_DEP_3)
	v_cmp_neq_f32_e64 s3, v21, v20
	v_cndmask_b32_e64 v12, v14, 1.0, vcc_lo
	v_cmp_neq_f32_e32 vcc_lo, v13, v17
	v_fma_f32 v11, v16, v11, v16
	v_cmp_class_f32_e64 s5, v16, 0x204
	s_and_b32 s3, s2, s3
	s_delay_alu instid0(SALU_CYCLE_1) | instskip(SKIP_1) | instid1(VALU_DEP_2)
	v_cndmask_b32_e64 v14, 1.0, v12, s3
	s_xor_b32 s4, vcc_lo, s4
	v_cndmask_b32_e64 v11, v11, v16, s5
	v_cmp_gt_f32_e64 s5, 0, v13
	v_cndmask_b32_e64 v16, v17, 0, s4
	v_cmp_eq_f32_e32 vcc_lo, 0, v12
	v_cmp_eq_f32_e64 s4, 1.0, v15
	v_bfi_b32 v11, 0x7fffffff, v11, v14
	v_cndmask_b32_e64 v19, 0, v12, s3
	v_cmp_eq_f32_e64 s3, 0x7f800000, v17
	s_delay_alu instid0(VALU_DEP_4) | instskip(NEXT) | instid1(VALU_DEP_4)
	v_cndmask_b32_e64 v14, v16, v15, s4
	v_cndmask_b32_e64 v16, 0x7fc00000, v11, s2
	s_xor_b32 s2, s5, vcc_lo
	s_delay_alu instid0(SALU_CYCLE_1) | instskip(SKIP_1) | instid1(VALU_DEP_1)
	v_cndmask_b32_e64 v18, 0x7f800000, 0, s2
	v_cmp_gt_f32_e64 s2, 0, v12
	v_cndmask_b32_e64 v11, v11, v16, s2
	v_cmp_eq_f32_e64 s2, 0x7f800000, v15
	s_delay_alu instid0(VALU_DEP_4) | instskip(NEXT) | instid1(VALU_DEP_3)
	v_bfi_b32 v15, 0x7fffffff, v18, v19
	v_cndmask_b32_e64 v11, v11, v14, s3
	s_delay_alu instid0(VALU_DEP_3) | instskip(NEXT) | instid1(VALU_DEP_1)
	s_or_b32 vcc_lo, s2, vcc_lo
	v_cndmask_b32_e32 v11, v11, v15, vcc_lo
	v_cmp_o_f32_e32 vcc_lo, v12, v13
	s_delay_alu instid0(VALU_DEP_2) | instskip(NEXT) | instid1(VALU_DEP_1)
	v_cndmask_b32_e32 v11, 0x7fc00000, v11, vcc_lo
	v_cvt_f16_f32_e32 v13, v11
	v_add_co_u32 v11, vcc_lo, v1, s19
	v_add_co_ci_u32_e32 v12, vcc_lo, 0, v2, vcc_lo
	global_store_b16 v[11:12], v13, off
	s_branch .LBB83_3
.LBB83_20:
	s_cbranch_execz .LBB83_22
	s_branch .LBB83_25
.LBB83_21:
.LBB83_22:
	v_dual_mov_b32 v2, 0 :: v_dual_lshlrev_b32 v1, 2, v0
	s_mov_b32 s27, 0
	s_mov_b32 s2, exec_lo
	s_delay_alu instid0(VALU_DEP_1)
	v_cmpx_gt_i64_e64 s[24:25], v[1:2]
	s_cbranch_execz .LBB83_25
; %bb.23:
	s_load_b32 s0, s[0:1], 0xdd4
	v_lshlrev_b32_e32 v1, 3, v0
	s_mov_b32 s30, 0x3e76c4e1
	s_waitcnt lgkmcnt(0)
	s_and_b32 s0, s0, 0xffff
	s_add_u32 s1, s10, s12
	s_addc_u32 s2, s11, s13
	v_add_co_u32 v1, s1, s1, v1
	s_delay_alu instid0(VALU_DEP_1) | instskip(SKIP_1) | instid1(VALU_DEP_2)
	v_add_co_ci_u32_e64 v4, null, s2, 0, s1
	s_lshl_b32 s28, s0, 3
	v_add_co_u32 v3, vcc_lo, v1, 4
	s_delay_alu instid0(VALU_DEP_2)
	v_add_co_ci_u32_e32 v4, vcc_lo, 0, v4, vcc_lo
	v_add_lshl_u32 v1, v0, s0, 2
	s_lshl_b32 s29, s0, 2
.LBB83_24:                              ; =>This Inner Loop Header: Depth=1
	s_clause 0x2
	global_load_b32 v8, v[3:4], off offset:-2
	global_load_b64 v[5:6], v[3:4], off offset:-4
	global_load_u16 v6, v[3:4], off offset:2
	s_waitcnt vmcnt(2)
	v_cmp_eq_f16_e64 s0, 1.0, v8
	s_waitcnt vmcnt(1)
	v_cmp_eq_f16_e32 vcc_lo, 1.0, v5
	v_cvt_f32_f16_e32 v10, v5
	v_lshrrev_b32_e32 v7, 16, v8
	s_waitcnt vmcnt(0)
	v_cmp_eq_f16_e64 s1, 1.0, v6
	v_cndmask_b32_e64 v5, s26, 1.0, s0
	v_cndmask_b32_e64 v0, s26, 1.0, vcc_lo
	v_cvt_f32_f16_e32 v12, v8
	v_cmp_eq_f16_e64 s4, 1.0, v7
	v_cvt_f32_f16_e32 v13, v6
	v_cmp_eq_f32_e64 s3, 0, v5
	v_cmp_eq_f32_e64 s2, 0, v0
	v_cndmask_b32_e64 v6, s26, 1.0, s1
	v_cvt_f32_f16_e32 v20, v7
	v_cndmask_b32_e64 v7, s26, 1.0, s4
	v_cndmask_b32_e64 v17, |v12|, 1.0, s3
	v_cndmask_b32_e64 v16, |v10|, 1.0, s2
	v_mul_f32_e32 v15, 0.5, v0
	v_cmp_eq_f32_e64 s5, 0, v6
	v_mul_f32_e32 v36, 0.5, v7
	v_cmp_eq_f32_e64 s14, 0, v7
	v_cvt_f64_f32_e32 v[25:26], v16
	v_frexp_mant_f32_e32 v24, v16
	v_cndmask_b32_e64 v8, |s26|, 1.0, vcc_lo
	v_frexp_mant_f32_e32 v33, v17
	v_cndmask_b32_e64 v21, |v13|, 1.0, s5
	v_trunc_f32_e32 v31, v15
	v_cmp_gt_f32_e64 s18, 0x3f2aaaab, v24
	v_cndmask_b32_e64 v34, |v20|, 1.0, s14
	v_cndmask_b32_e64 v11, |s26|, 1.0, s1
	v_trunc_f32_e32 v14, v0
	v_cndmask_b32_e64 v9, |s26|, 1.0, s0
	v_cmp_neq_f32_e64 s6, v0, v8
	v_cmp_gt_f32_e64 s8, 1.0, v16
	v_cndmask_b32_e64 v38, 1.0, 2.0, s18
	v_cmp_gt_f32_e64 s20, 0x3f2aaaab, v33
	v_cvt_f64_f32_e32 v[29:30], v21
	v_cmp_neq_f32_e64 s19, v31, v15
	v_cvt_f64_f32_e32 v[31:32], v34
	v_trunc_f32_e32 v18, v5
	v_dual_mul_f32 v19, 0.5, v5 :: v_dual_mul_f32 v38, v24, v38
	v_frexp_mant_f32_e32 v37, v21
	v_cmp_neq_f32_e64 s16, v6, v11
	v_cmp_gt_f32_e64 s17, 1.0, v21
	v_cmp_eq_f32_e64 s1, v14, v0
	v_cmp_neq_f32_e64 s9, v5, v9
	v_cmp_gt_f32_e64 s13, 1.0, v17
	v_cndmask_b32_e64 v14, |s26|, 1.0, s4
	s_xor_b32 s4, s6, s8
	v_cndmask_b32_e64 v40, 1.0, 2.0, s20
	v_cndmask_b32_e64 v12, v12, 1.0, s3
	v_cmp_eq_f32_e64 s3, v18, v5
	v_trunc_f32_e32 v18, v19
	v_trunc_f32_e32 v35, v7
	v_cndmask_b32_e64 v39, v8, 0, s4
	v_cmp_gt_f32_e64 s22, 0x3f2aaaab, v37
	s_xor_b32 s8, s16, s17
	v_cmp_eq_f32_e64 s17, 1.0, v16
	v_cvt_f64_f32_e32 v[27:28], v17
	v_trunc_f32_e32 v22, v6
	v_cndmask_b32_e64 v13, v13, 1.0, s5
	s_xor_b32 s5, s9, s13
	v_dual_mul_f32 v33, v33, v40 :: v_dual_add_f32 v44, -1.0, v38
	v_mul_f32_e32 v23, 0.5, v6
	v_cmp_eq_f32_e32 vcc_lo, 0x7f800000, v16
	v_cmp_neq_f32_e64 s21, v18, v19
	s_delay_alu instid0(VALU_DEP_4)
	v_add_f32_e32 v46, -1.0, v33
	v_cndmask_b32_e64 v18, v9, 0, s5
	v_frexp_mant_f32_e32 v41, v34
	v_cmp_eq_f32_e64 s9, v35, v7
	v_trunc_f32_e32 v35, v36
	v_cndmask_b32_e64 v42, 1.0, 2.0, s22
	v_cndmask_b32_e64 v16, v39, v16, s17
	v_cmp_eq_f32_e64 s17, 1.0, v17
	v_frexp_exp_i32_f64_e32 v25, v[25:26]
	v_cmp_gt_f32_e64 s10, 0, v5
	v_cndmask_b32_e64 v10, v10, 1.0, s2
	v_cmp_eq_f32_e64 s7, v22, v6
	v_trunc_f32_e32 v22, v23
	v_cmp_eq_f32_e64 s5, 0, v12
	v_cmp_eq_f32_e64 s0, 0x7f800000, v17
	v_cndmask_b32_e64 v15, v20, 1.0, s14
	v_cmp_neq_f32_e64 s13, v7, v14
	v_cmp_gt_f32_e64 s14, 1.0, v34
	s_and_b32 s16, s1, s19
	v_cndmask_b32_e64 v17, v18, v17, s17
	v_cmp_gt_f32_e64 s17, 0x3f2aaaab, v41
	v_cmp_neq_f32_e64 s19, v35, v36
	v_dual_mul_f32 v36, v37, v42 :: v_dual_add_f32 v47, 1.0, v33
	v_cmp_gt_f32_e64 s11, 0, v0
	v_cmp_gt_f32_e64 s12, 0, v6
	v_cmp_eq_f32_e64 s4, 0, v10
	v_cmp_neq_f32_e64 s23, v22, v23
	v_cndmask_b32_e64 v22, v11, 0, s8
	v_cmp_eq_f32_e64 s8, 0, v13
	s_xor_b32 s10, s10, s5
	v_cndmask_b32_e64 v24, 1.0, 2.0, s17
	v_cndmask_b32_e64 v40, 0x7f800000, 0, s10
	s_xor_b32 s10, s13, s14
	v_cmp_eq_f32_e64 s14, 1.0, v21
	v_dual_add_f32 v45, 1.0, v38 :: v_dual_add_f32 v48, 1.0, v36
	s_xor_b32 s11, s11, s4
	s_xor_b32 s12, s12, s8
	v_cndmask_b32_e64 v39, 0x7f800000, 0, s11
	v_cndmask_b32_e64 v35, v14, 0, s10
	;; [unrolled: 1-line block ×5, first 2 shown]
	v_dual_mul_f32 v41, v41, v24 :: v_dual_add_f32 v50, -1.0, v47
	v_cmp_eq_f32_e64 s12, 1.0, v34
	v_rcp_f32_e32 v49, v45
	v_rcp_f32_e32 v51, v47
	;; [unrolled: 1-line block ×3, first 2 shown]
	v_cmp_eq_f32_e64 s2, 0x7f800000, v21
	v_cndmask_b32_e64 v21, v35, v34, s12
	v_dual_add_f32 v35, -1.0, v36 :: v_dual_add_f32 v52, 1.0, v41
	v_bfi_b32 v22, 0x7fffffff, v39, v22
	v_add_f32_e32 v39, -1.0, v45
	v_dual_add_f32 v54, -1.0, v41 :: v_dual_add_f32 v55, -1.0, v48
	s_delay_alu instid0(TRANS32_DEP_3) | instskip(SKIP_1) | instid1(VALU_DEP_4)
	v_dual_sub_f32 v33, v33, v50 :: v_dual_mul_f32 v56, v44, v49
	v_add_f32_e32 v50, -1.0, v52
	v_sub_f32_e32 v38, v38, v39
	v_rcp_f32_e32 v39, v52
	v_mul_f32_e32 v57, v46, v51
	s_delay_alu instid0(VALU_DEP_3)
	v_dual_sub_f32 v36, v36, v55 :: v_dual_sub_f32 v41, v41, v50
	v_mul_f32_e32 v55, v35, v53
	v_frexp_exp_i32_f64_e32 v29, v[29:30]
	v_frexp_exp_i32_f64_e32 v31, v[31:32]
	v_mul_f32_e32 v50, v45, v56
	v_mul_f32_e32 v58, v47, v57
	;; [unrolled: 1-line block ×3, first 2 shown]
	v_cmp_gt_f32_e64 s15, 0, v7
	v_cmp_eq_f32_e64 s10, 0, v15
	v_mul_f32_e32 v59, v54, v39
	v_frexp_exp_i32_f64_e32 v27, v[27:28]
	v_fma_f32 v28, v57, v47, -v58
	v_fma_f32 v47, v55, v48, -v60
	s_xor_b32 s12, s15, s10
	v_cmp_eq_f32_e64 s6, 0x7f800000, v34
	v_cndmask_b32_e64 v34, 0x7f800000, 0, s12
	v_fma_f32 v26, v56, v45, -v50
	v_fmac_f32_e32 v47, v55, v36
	v_dual_mul_f32 v45, v52, v59 :: v_dual_fmac_f32 v28, v57, v33
	v_subrev_co_ci_u32_e64 v25, s12, 0, v25, s18
	s_and_b32 s11, s3, s21
	s_delay_alu instid0(VALU_DEP_2) | instskip(NEXT) | instid1(VALU_DEP_3)
	v_fma_f32 v30, v59, v52, -v45
	v_add_f32_e32 v32, v58, v28
	s_delay_alu instid0(VALU_DEP_3)
	v_cvt_f32_i32_e32 v25, v25
	v_add_f32_e32 v36, v60, v47
	v_cndmask_b32_e64 v42, 0, v12, s11
	v_fmac_f32_e32 v30, v59, v41
	v_sub_f32_e32 v48, v32, v58
	v_cndmask_b32_e64 v20, 1.0, v12, s11
	v_sub_f32_e32 v58, v36, v60
	v_sub_f32_e32 v60, v35, v36
	v_fmac_f32_e32 v26, v56, v38
	s_and_b32 s13, s7, s23
	s_and_b32 s11, s9, s19
	v_sub_f32_e32 v47, v58, v47
	v_sub_f32_e32 v35, v35, v60
	v_add_f32_e32 v33, v50, v26
	v_add_f32_e32 v52, v45, v30
	v_subrev_co_ci_u32_e64 v29, s12, 0, v29, s22
	v_subrev_co_ci_u32_e64 v31, s12, 0, v31, s17
	s_delay_alu instid0(VALU_DEP_4) | instskip(NEXT) | instid1(VALU_DEP_4)
	v_dual_sub_f32 v41, v44, v33 :: v_dual_sub_f32 v38, v33, v50
	v_sub_f32_e32 v45, v52, v45
	s_delay_alu instid0(VALU_DEP_4) | instskip(NEXT) | instid1(VALU_DEP_4)
	v_cvt_f32_i32_e32 v29, v29
	v_cvt_f32_i32_e32 v31, v31
	s_delay_alu instid0(VALU_DEP_4) | instskip(SKIP_3) | instid1(VALU_DEP_4)
	v_sub_f32_e32 v44, v44, v41
	v_sub_f32_e32 v50, v46, v32
	;; [unrolled: 1-line block ×4, first 2 shown]
	v_dual_sub_f32 v30, v45, v30 :: v_dual_sub_f32 v33, v44, v33
	s_delay_alu instid0(VALU_DEP_4) | instskip(SKIP_2) | instid1(VALU_DEP_4)
	v_sub_f32_e32 v38, v46, v50
	v_sub_f32_e32 v46, v54, v52
	v_subrev_co_ci_u32_e64 v27, s12, 0, v27, s20
	v_add_f32_e32 v26, v26, v33
	s_delay_alu instid0(VALU_DEP_4) | instskip(NEXT) | instid1(VALU_DEP_4)
	v_sub_f32_e32 v32, v38, v32
	v_sub_f32_e32 v38, v54, v46
	s_delay_alu instid0(VALU_DEP_4)
	v_cvt_f32_i32_e32 v27, v27
	v_cndmask_b32_e64 v43, 0, v13, s13
	v_cndmask_b32_e64 v24, 1.0, v15, s11
	v_add_f32_e32 v28, v28, v32
	v_sub_f32_e32 v32, v38, v52
	v_cndmask_b32_e64 v19, 1.0, v10, s16
	v_cndmask_b32_e64 v23, 1.0, v13, s13
	s_or_b32 vcc_lo, vcc_lo, s4
	s_delay_alu instid0(VALU_DEP_3) | instskip(NEXT) | instid1(VALU_DEP_1)
	v_add_f32_e32 v30, v30, v32
	v_add_f32_e32 v30, v46, v30
	s_delay_alu instid0(VALU_DEP_1) | instskip(SKIP_1) | instid1(VALU_DEP_1)
	v_dual_mul_f32 v30, v39, v30 :: v_dual_mul_f32 v39, 0x3f317218, v25
	v_sub_f32_e32 v35, v35, v36
	v_add_f32_e32 v33, v47, v35
	v_bfi_b32 v35, 0x7fffffff, v40, v42
	v_mul_f32_e32 v40, 0x3f317218, v27
	s_delay_alu instid0(VALU_DEP_1) | instskip(NEXT) | instid1(VALU_DEP_1)
	v_fma_f32 v54, 0x3f317218, v27, -v40
	v_fmac_f32_e32 v54, 0xb102e308, v27
	s_delay_alu instid0(VALU_DEP_1) | instskip(SKIP_2) | instid1(VALU_DEP_2)
	v_add_f32_e32 v65, v40, v54
	v_dual_add_f32 v26, v41, v26 :: v_dual_mul_f32 v41, 0x3f317218, v29
	v_add_f32_e32 v32, v60, v33
	v_mul_f32_e32 v26, v49, v26
	s_delay_alu instid0(VALU_DEP_2) | instskip(SKIP_1) | instid1(VALU_DEP_2)
	v_dual_add_f32 v49, v59, v30 :: v_dual_mul_f32 v32, v53, v32
	v_fma_f32 v53, 0x3f317218, v25, -v39
	v_dual_add_f32 v33, v56, v26 :: v_dual_mul_f32 v58, v49, v49
	s_delay_alu instid0(VALU_DEP_1) | instskip(SKIP_3) | instid1(VALU_DEP_4)
	v_dual_fmac_f32 v53, 0xb102e308, v25 :: v_dual_sub_f32 v42, v33, v56
	v_mul_f32_e32 v44, v33, v33
	v_ldexp_f32 v45, v33, 1
	v_fma_f32 v56, 0x3f317218, v29, -v41
	v_sub_f32_e32 v26, v26, v42
	s_delay_alu instid0(VALU_DEP_4) | instskip(NEXT) | instid1(VALU_DEP_2)
	v_fma_f32 v42, v33, v33, -v44
	v_add_f32_e32 v27, v26, v26
	v_add_f32_e32 v28, v50, v28
	s_delay_alu instid0(VALU_DEP_2) | instskip(NEXT) | instid1(VALU_DEP_2)
	v_fmac_f32_e32 v42, v33, v27
	v_mul_f32_e32 v28, v51, v28
	s_delay_alu instid0(VALU_DEP_2) | instskip(NEXT) | instid1(VALU_DEP_2)
	v_add_f32_e32 v66, v44, v42
	v_add_f32_e32 v36, v57, v28
	;; [unrolled: 1-line block ×3, first 2 shown]
	s_delay_alu instid0(VALU_DEP_2) | instskip(SKIP_1) | instid1(VALU_DEP_3)
	v_dual_sub_f32 v46, v36, v57 :: v_dual_sub_f32 v57, v49, v59
	v_mul_f32_e32 v47, v36, v36
	v_mul_f32_e32 v51, v38, v38
	v_ldexp_f32 v59, v49, 1
	s_delay_alu instid0(VALU_DEP_4) | instskip(SKIP_1) | instid1(VALU_DEP_2)
	v_sub_f32_e32 v30, v30, v57
	v_fma_f32 v57, v49, v49, -v58
	v_add_f32_e32 v27, v30, v30
	s_delay_alu instid0(VALU_DEP_1) | instskip(NEXT) | instid1(VALU_DEP_1)
	v_fmac_f32_e32 v57, v49, v27
	v_add_f32_e32 v70, v58, v57
	s_delay_alu instid0(VALU_DEP_1) | instskip(SKIP_4) | instid1(VALU_DEP_4)
	v_fmaak_f32 v73, s30, v70, 0x3e91f4c4
	v_sub_f32_e32 v28, v28, v46
	v_fma_f32 v46, v36, v36, -v47
	v_sub_f32_e32 v58, v70, v58
	v_sub_f32_e32 v50, v38, v55
	v_dual_fmaak_f32 v73, v70, v73, 0x3ecccdef :: v_dual_add_f32 v60, v28, v28
	v_dual_mul_f32 v74, v49, v70 :: v_dual_mul_f32 v55, 0x3f317218, v31
	s_delay_alu instid0(VALU_DEP_4) | instskip(SKIP_1) | instid1(VALU_DEP_4)
	v_sub_f32_e32 v57, v57, v58
	v_ldexp_f32 v61, v28, 1
	v_fmac_f32_e32 v46, v36, v60
	s_delay_alu instid0(VALU_DEP_4) | instskip(SKIP_1) | instid1(VALU_DEP_3)
	v_fma_f32 v58, v70, v49, -v74
	v_fma_f32 v25, 0x3f317218, v31, -v55
	v_add_f32_e32 v67, v47, v46
	s_delay_alu instid0(VALU_DEP_2) | instskip(NEXT) | instid1(VALU_DEP_2)
	v_dual_fmac_f32 v58, v70, v30 :: v_dual_fmac_f32 v25, 0xb102e308, v31
	v_sub_f32_e32 v47, v67, v47
	v_mul_f32_e32 v69, v36, v67
	v_fmaak_f32 v68, s30, v67, 0x3e91f4c4
	s_delay_alu instid0(VALU_DEP_4)
	v_fmac_f32_e32 v58, v57, v49
	v_add_f32_e32 v64, v39, v53
	v_sub_f32_e32 v46, v46, v47
	v_fma_f32 v47, v67, v36, -v69
	v_fmaak_f32 v68, v67, v68, 0x3ecccdef
	v_ldexp_f32 v48, v36, 1
	s_delay_alu instid0(VALU_DEP_3) | instskip(SKIP_1) | instid1(VALU_DEP_4)
	v_dual_fmac_f32 v47, v67, v28 :: v_dual_sub_f32 v32, v32, v50
	v_fma_f32 v50, v38, v38, -v51
	v_mul_f32_e32 v28, v67, v68
	s_delay_alu instid0(VALU_DEP_3) | instskip(NEXT) | instid1(VALU_DEP_4)
	v_fmac_f32_e32 v47, v46, v36
	v_add_f32_e32 v62, v32, v32
	v_ldexp_f32 v63, v32, 1
	s_delay_alu instid0(VALU_DEP_4) | instskip(SKIP_1) | instid1(VALU_DEP_4)
	v_fma_f32 v36, v67, v68, -v28
	v_add_f32_e32 v67, v74, v58
	v_dual_sub_f32 v39, v64, v39 :: v_dual_fmac_f32 v50, v38, v62
	v_add_f32_e32 v62, v55, v25
	s_delay_alu instid0(VALU_DEP_4) | instskip(SKIP_1) | instid1(VALU_DEP_4)
	v_fmac_f32_e32 v36, v46, v68
	v_sub_f32_e32 v40, v65, v40
	v_sub_f32_e32 v39, v53, v39
	v_add_f32_e32 v27, v51, v50
	v_sub_f32_e32 v53, v62, v55
	v_mul_f32_e32 v55, v33, v66
	v_ldexp_f32 v52, v38, 1
	s_delay_alu instid0(VALU_DEP_4) | instskip(SKIP_2) | instid1(VALU_DEP_3)
	v_fmaak_f32 v71, s30, v27, 0x3e91f4c4
	v_sub_f32_e32 v51, v27, v51
	v_dual_mul_f32 v72, v38, v27 :: v_dual_sub_f32 v25, v25, v53
	v_fmaak_f32 v71, v27, v71, 0x3ecccdef
	s_delay_alu instid0(VALU_DEP_3) | instskip(NEXT) | instid1(VALU_DEP_3)
	v_sub_f32_e32 v50, v50, v51
	v_fma_f32 v51, v27, v38, -v72
	s_delay_alu instid0(VALU_DEP_1) | instskip(NEXT) | instid1(VALU_DEP_1)
	v_fmac_f32_e32 v51, v27, v32
	v_dual_mul_f32 v32, v27, v71 :: v_dual_fmac_f32 v51, v50, v38
	s_delay_alu instid0(VALU_DEP_1) | instskip(NEXT) | instid1(VALU_DEP_2)
	v_fma_f32 v27, v27, v71, -v32
	v_dual_sub_f32 v40, v54, v40 :: v_dual_add_f32 v49, v72, v51
	s_delay_alu instid0(VALU_DEP_2) | instskip(SKIP_2) | instid1(VALU_DEP_3)
	v_fmac_f32_e32 v27, v50, v71
	v_ldexp_f32 v60, v30, 1
	v_mul_f32_e32 v30, v70, v73
	v_add_f32_e32 v68, v32, v27
	s_delay_alu instid0(VALU_DEP_2) | instskip(NEXT) | instid1(VALU_DEP_2)
	v_fma_f32 v46, v70, v73, -v30
	v_add_f32_e32 v71, 0x3f2aaaaa, v68
	v_sub_f32_e32 v32, v68, v32
	s_delay_alu instid0(VALU_DEP_3) | instskip(SKIP_1) | instid1(VALU_DEP_3)
	v_fmac_f32_e32 v46, v57, v73
	v_sub_f32_e32 v57, v49, v72
	v_dual_sub_f32 v27, v27, v32 :: v_dual_add_f32 v32, 0xbf2aaaaa, v71
	v_sub_f32_e32 v44, v66, v44
	s_delay_alu instid0(VALU_DEP_2) | instskip(NEXT) | instid1(VALU_DEP_3)
	v_dual_add_f32 v70, v30, v46 :: v_dual_add_f32 v27, 0x31739010, v27
	v_sub_f32_e32 v32, v68, v32
	v_fmaak_f32 v54, s30, v66, 0x3e91f4c4
	s_delay_alu instid0(VALU_DEP_3) | instskip(SKIP_2) | instid1(VALU_DEP_4)
	v_add_f32_e32 v72, 0x3f2aaaaa, v70
	v_sub_f32_e32 v42, v42, v44
	v_fma_f32 v44, v66, v33, -v55
	v_dual_add_f32 v27, v27, v32 :: v_dual_fmaak_f32 v54, v66, v54, 0x3ecccdef
	v_fmac_f32_e32 v56, 0xb102e308, v29
	v_ldexp_f32 v29, v26, 1
	s_delay_alu instid0(VALU_DEP_4) | instskip(SKIP_2) | instid1(VALU_DEP_3)
	v_fmac_f32_e32 v44, v66, v26
	v_sub_f32_e32 v30, v70, v30
	v_mul_f32_e32 v26, v66, v54
	v_fmac_f32_e32 v44, v42, v33
	s_delay_alu instid0(VALU_DEP_3) | instskip(NEXT) | instid1(VALU_DEP_3)
	v_sub_f32_e32 v30, v46, v30
	v_fma_f32 v33, v66, v54, -v26
	v_add_f32_e32 v66, v28, v36
	v_add_f32_e32 v46, 0xbf2aaaaa, v72
	v_add_f32_e32 v38, v55, v44
	v_add_f32_e32 v30, 0x31739010, v30
	v_dual_fmac_f32 v33, v42, v54 :: v_dual_add_f32 v42, v69, v47
	v_sub_f32_e32 v28, v66, v28
	s_delay_alu instid0(VALU_DEP_4) | instskip(NEXT) | instid1(VALU_DEP_3)
	v_dual_sub_f32 v50, v38, v55 :: v_dual_add_f32 v31, v41, v56
	v_add_f32_e32 v54, v26, v33
	s_delay_alu instid0(VALU_DEP_3) | instskip(NEXT) | instid1(VALU_DEP_3)
	v_dual_sub_f32 v55, v42, v69 :: v_dual_sub_f32 v28, v36, v28
	v_dual_sub_f32 v44, v44, v50 :: v_dual_sub_f32 v41, v31, v41
	s_delay_alu instid0(VALU_DEP_3) | instskip(NEXT) | instid1(VALU_DEP_3)
	v_add_f32_e32 v50, 0x3f2aaaaa, v54
	v_dual_sub_f32 v26, v54, v26 :: v_dual_sub_f32 v47, v47, v55
	v_add_f32_e32 v55, 0x3f2aaaaa, v66
	v_add_f32_e32 v28, 0x31739010, v28
	s_delay_alu instid0(VALU_DEP_3) | instskip(NEXT) | instid1(VALU_DEP_3)
	v_sub_f32_e32 v26, v33, v26
	v_dual_add_f32 v33, 0xbf2aaaaa, v50 :: v_dual_add_f32 v36, 0xbf2aaaaa, v55
	s_delay_alu instid0(VALU_DEP_1) | instskip(NEXT) | instid1(VALU_DEP_2)
	v_dual_add_f32 v26, 0x31739010, v26 :: v_dual_sub_f32 v33, v54, v33
	v_sub_f32_e32 v36, v66, v36
	s_delay_alu instid0(VALU_DEP_2) | instskip(NEXT) | instid1(VALU_DEP_2)
	v_add_f32_e32 v26, v26, v33
	v_dual_add_f32 v28, v28, v36 :: v_dual_sub_f32 v33, v70, v46
	v_sub_f32_e32 v36, v51, v57
	s_delay_alu instid0(VALU_DEP_3) | instskip(NEXT) | instid1(VALU_DEP_3)
	v_add_f32_e32 v32, v50, v26
	v_add_f32_e32 v46, v55, v28
	s_delay_alu instid0(VALU_DEP_4) | instskip(NEXT) | instid1(VALU_DEP_3)
	v_dual_add_f32 v30, v30, v33 :: v_dual_add_f32 v33, v71, v27
	v_sub_f32_e32 v50, v50, v32
	s_delay_alu instid0(VALU_DEP_3) | instskip(SKIP_1) | instid1(VALU_DEP_4)
	v_dual_mul_f32 v51, v38, v32 :: v_dual_sub_f32 v54, v55, v46
	v_mul_f32_e32 v55, v42, v46
	v_dual_add_f32 v57, v72, v30 :: v_dual_sub_f32 v66, v71, v33
	v_mul_f32_e32 v68, v49, v33
	v_add_f32_e32 v26, v26, v50
	v_fma_f32 v50, v38, v32, -v51
	v_add_f32_e32 v28, v28, v54
	v_fma_f32 v54, v42, v46, -v55
	v_sub_f32_e32 v70, v72, v57
	v_mul_f32_e32 v71, v67, v57
	v_add_f32_e32 v27, v27, v66
	v_fma_f32 v66, v49, v33, -v68
	v_fmac_f32_e32 v50, v38, v26
	v_dual_sub_f32 v69, v67, v74 :: v_dual_fmac_f32 v54, v42, v28
	v_add_f32_e32 v26, v30, v70
	v_fma_f32 v28, v67, v57, -v71
	v_fmac_f32_e32 v66, v49, v27
	s_delay_alu instid0(VALU_DEP_4) | instskip(SKIP_1) | instid1(VALU_DEP_4)
	v_dual_fmac_f32 v50, v44, v32 :: v_dual_sub_f32 v27, v58, v69
	v_fmac_f32_e32 v54, v47, v46
	v_fmac_f32_e32 v28, v67, v26
	s_delay_alu instid0(VALU_DEP_4) | instskip(NEXT) | instid1(VALU_DEP_4)
	v_fmac_f32_e32 v66, v36, v33
	v_add_f32_e32 v26, v51, v50
	v_sub_f32_e32 v30, v56, v41
	v_add_f32_e32 v32, v55, v54
	s_delay_alu instid0(VALU_DEP_4) | instskip(NEXT) | instid1(VALU_DEP_4)
	v_dual_fmac_f32 v28, v27, v57 :: v_dual_add_f32 v27, v68, v66
	v_dual_sub_f32 v33, v26, v51 :: v_dual_add_f32 v36, v45, v26
	s_delay_alu instid0(VALU_DEP_3) | instskip(SKIP_1) | instid1(VALU_DEP_4)
	v_sub_f32_e32 v38, v32, v55
	v_add_f32_e32 v41, v48, v32
	v_add_f32_e32 v42, v71, v28
	v_sub_f32_e32 v44, v27, v68
	v_dual_add_f32 v46, v52, v27 :: v_dual_sub_f32 v33, v50, v33
	v_dual_sub_f32 v45, v36, v45 :: v_dual_sub_f32 v38, v54, v38
	s_delay_alu instid0(VALU_DEP_4) | instskip(NEXT) | instid1(VALU_DEP_4)
	v_dual_sub_f32 v47, v41, v48 :: v_dual_sub_f32 v48, v42, v71
	v_dual_add_f32 v49, v59, v42 :: v_dual_sub_f32 v44, v66, v44
	s_delay_alu instid0(VALU_DEP_4) | instskip(NEXT) | instid1(VALU_DEP_4)
	v_sub_f32_e32 v50, v46, v52
	v_sub_f32_e32 v26, v26, v45
	s_delay_alu instid0(VALU_DEP_4) | instskip(SKIP_1) | instid1(VALU_DEP_4)
	v_dual_add_f32 v29, v29, v33 :: v_dual_sub_f32 v32, v32, v47
	v_dual_add_f32 v33, v61, v38 :: v_dual_sub_f32 v28, v28, v48
	v_dual_sub_f32 v38, v49, v59 :: v_dual_sub_f32 v27, v27, v50
	v_add_f32_e32 v44, v63, v44
	s_delay_alu instid0(VALU_DEP_4) | instskip(NEXT) | instid1(VALU_DEP_3)
	v_add_f32_e32 v26, v29, v26
	v_dual_add_f32 v29, v33, v32 :: v_dual_sub_f32 v32, v42, v38
	v_add_f32_e32 v28, v60, v28
	s_delay_alu instid0(VALU_DEP_4) | instskip(NEXT) | instid1(VALU_DEP_3)
	v_add_f32_e32 v27, v44, v27
	v_dual_add_f32 v33, v36, v26 :: v_dual_add_f32 v38, v41, v29
	s_delay_alu instid0(VALU_DEP_3) | instskip(NEXT) | instid1(VALU_DEP_3)
	v_add_f32_e32 v28, v28, v32
	v_add_f32_e32 v32, v46, v27
	s_delay_alu instid0(VALU_DEP_3) | instskip(SKIP_2) | instid1(VALU_DEP_4)
	v_sub_f32_e32 v36, v33, v36
	v_add_f32_e32 v42, v64, v33
	v_dual_sub_f32 v41, v38, v41 :: v_dual_add_f32 v44, v65, v38
	v_dual_add_f32 v45, v49, v28 :: v_dual_sub_f32 v46, v32, v46
	v_add_f32_e32 v47, v31, v32
	v_sub_f32_e32 v26, v26, v36
	s_delay_alu instid0(VALU_DEP_4)
	v_dual_sub_f32 v36, v42, v64 :: v_dual_sub_f32 v29, v29, v41
	v_sub_f32_e32 v41, v44, v65
	v_sub_f32_e32 v48, v45, v49
	v_add_f32_e32 v49, v62, v45
	v_sub_f32_e32 v27, v27, v46
	v_sub_f32_e32 v46, v47, v31
	;; [unrolled: 1-line block ×3, first 2 shown]
	v_dual_sub_f32 v33, v33, v36 :: v_dual_add_f32 v36, v39, v26
	v_sub_f32_e32 v51, v44, v41
	v_sub_f32_e32 v38, v38, v41
	v_add_f32_e32 v41, v40, v29
	v_sub_f32_e32 v28, v28, v48
	v_sub_f32_e32 v48, v49, v62
	;; [unrolled: 1-line block ×4, first 2 shown]
	v_add_f32_e32 v46, v30, v27
	v_sub_f32_e32 v50, v64, v50
	v_sub_f32_e32 v53, v36, v39
	v_sub_f32_e32 v51, v65, v51
	v_sub_f32_e32 v54, v41, v40
	v_sub_f32_e32 v55, v49, v48
	v_dual_sub_f32 v31, v31, v52 :: v_dual_sub_f32 v52, v46, v30
	v_add_f32_e32 v33, v33, v50
	v_sub_f32_e32 v45, v45, v48
	v_add_f32_e32 v48, v25, v28
	v_sub_f32_e32 v50, v36, v53
	v_sub_f32_e32 v26, v26, v53
	v_dual_add_f32 v38, v38, v51 :: v_dual_sub_f32 v51, v41, v54
	v_sub_f32_e32 v53, v62, v55
	v_dual_add_f32 v31, v32, v31 :: v_dual_sub_f32 v32, v46, v52
	v_add_f32_e32 v33, v36, v33
	v_dual_sub_f32 v29, v29, v54 :: v_dual_sub_f32 v54, v48, v25
	v_dual_sub_f32 v39, v39, v50 :: v_dual_sub_f32 v36, v40, v51
	v_add_f32_e32 v38, v41, v38
	v_add_f32_e32 v40, v45, v53
	v_sub_f32_e32 v30, v30, v32
	v_add_f32_e32 v31, v46, v31
	v_dual_add_f32 v32, v42, v33 :: v_dual_sub_f32 v41, v48, v54
	v_dual_add_f32 v26, v26, v39 :: v_dual_add_f32 v29, v29, v36
	v_add_f32_e32 v36, v44, v38
	s_delay_alu instid0(VALU_DEP_4) | instskip(NEXT) | instid1(VALU_DEP_4)
	v_dual_add_f32 v39, v48, v40 :: v_dual_add_f32 v40, v47, v31
	v_dual_sub_f32 v42, v32, v42 :: v_dual_sub_f32 v27, v27, v52
	v_sub_f32_e32 v25, v25, v41
	s_delay_alu instid0(VALU_DEP_3) | instskip(NEXT) | instid1(VALU_DEP_4)
	v_dual_sub_f32 v41, v36, v44 :: v_dual_add_f32 v44, v49, v39
	v_sub_f32_e32 v45, v40, v47
	s_delay_alu instid0(VALU_DEP_4) | instskip(SKIP_1) | instid1(VALU_DEP_4)
	v_sub_f32_e32 v33, v33, v42
	v_sub_f32_e32 v28, v28, v54
	v_dual_add_f32 v27, v27, v30 :: v_dual_sub_f32 v30, v38, v41
	v_sub_f32_e32 v38, v44, v49
	v_sub_f32_e32 v31, v31, v45
	v_add_f32_e32 v26, v26, v33
	s_delay_alu instid0(VALU_DEP_4) | instskip(NEXT) | instid1(VALU_DEP_4)
	v_dual_add_f32 v25, v28, v25 :: v_dual_add_f32 v28, v29, v30
	v_sub_f32_e32 v29, v39, v38
	s_delay_alu instid0(VALU_DEP_3) | instskip(SKIP_1) | instid1(VALU_DEP_4)
	v_dual_add_f32 v27, v27, v31 :: v_dual_add_f32 v30, v32, v26
	v_cndmask_b32_e64 v31, 0, v15, s11
	v_add_f32_e32 v33, v36, v28
	s_delay_alu instid0(VALU_DEP_4) | instskip(NEXT) | instid1(VALU_DEP_4)
	v_add_f32_e32 v25, v25, v29
	v_dual_add_f32 v29, v40, v27 :: v_dual_sub_f32 v32, v30, v32
	v_mul_f32_e32 v38, v0, v30
	s_delay_alu instid0(VALU_DEP_4) | instskip(SKIP_1) | instid1(VALU_DEP_4)
	v_sub_f32_e32 v36, v33, v36
	v_mul_f32_e32 v39, v5, v33
	v_sub_f32_e32 v40, v29, v40
	v_mul_f32_e32 v42, v6, v29
	v_sub_f32_e32 v26, v26, v32
	v_fma_f32 v30, v0, v30, -v38
	v_add_f32_e32 v41, v44, v25
	v_sub_f32_e32 v28, v28, v36
	v_fma_f32 v32, v5, v33, -v39
	v_sub_f32_e32 v27, v27, v40
	v_fma_f32 v29, v6, v29, -v42
	v_dual_fmac_f32 v30, v0, v26 :: v_dual_sub_f32 v33, v41, v44
	v_mul_f32_e32 v36, v7, v41
	s_delay_alu instid0(VALU_DEP_3) | instskip(NEXT) | instid1(VALU_DEP_3)
	v_dual_fmac_f32 v32, v5, v28 :: v_dual_fmac_f32 v29, v6, v27
	v_add_f32_e32 v27, v38, v30
	v_cmp_class_f32_e64 s11, v38, 0x204
	v_sub_f32_e32 v25, v25, v33
	v_fma_f32 v26, v7, v41, -v36
	v_bfi_b32 v28, 0x7fffffff, v37, v43
	v_add_f32_e32 v33, v39, v32
	v_sub_f32_e32 v37, v27, v38
	v_cndmask_b32_e64 v27, v27, v38, s11
	v_cmp_class_f32_e64 s11, v39, 0x204
	v_fmac_f32_e32 v26, v7, v25
	v_dual_add_f32 v25, v42, v29 :: v_dual_sub_f32 v38, v33, v39
	v_sub_f32_e32 v30, v30, v37
	s_delay_alu instid0(VALU_DEP_4) | instskip(SKIP_1) | instid1(VALU_DEP_4)
	v_cndmask_b32_e64 v33, v33, v39, s11
	v_cmp_class_f32_e64 s11, v42, 0x204
	v_sub_f32_e32 v40, v25, v42
	v_add_f32_e32 v39, v36, v26
	v_sub_f32_e32 v32, v32, v38
	s_delay_alu instid0(VALU_DEP_4) | instskip(SKIP_1) | instid1(VALU_DEP_4)
	v_cndmask_b32_e64 v25, v25, v42, s11
	v_cmp_eq_f32_e64 s11, 0x42b17218, v27
	v_sub_f32_e32 v41, v39, v36
	v_sub_f32_e32 v29, v29, v40
	s_delay_alu instid0(VALU_DEP_3) | instskip(SKIP_1) | instid1(VALU_DEP_4)
	v_cndmask_b32_e64 v37, 0, 0x37000000, s11
	v_cmp_eq_f32_e64 s11, 0x42b17218, v33
	v_sub_f32_e32 v26, v26, v41
	s_delay_alu instid0(VALU_DEP_2) | instskip(SKIP_1) | instid1(VALU_DEP_1)
	v_cndmask_b32_e64 v38, 0, 0x37000000, s11
	v_cmp_class_f32_e64 s11, v36, 0x204
	v_cndmask_b32_e64 v36, v39, v36, s11
	v_cmp_eq_f32_e64 s11, 0x42b17218, v25
	s_delay_alu instid0(VALU_DEP_1) | instskip(SKIP_2) | instid1(VALU_DEP_2)
	v_cndmask_b32_e64 v39, 0, 0x37000000, s11
	v_cmp_neq_f32_e64 s11, 0x7f800000, |v27|
	v_sub_f32_e32 v27, v27, v37
	v_cndmask_b32_e64 v30, 0, v30, s11
	v_cmp_neq_f32_e64 s11, 0x7f800000, |v33|
	v_sub_f32_e32 v33, v33, v38
	s_delay_alu instid0(VALU_DEP_3) | instskip(NEXT) | instid1(VALU_DEP_3)
	v_add_f32_e32 v30, v37, v30
	v_cndmask_b32_e64 v32, 0, v32, s11
	v_cmp_eq_f32_e64 s11, 0x42b17218, v36
	s_delay_alu instid0(VALU_DEP_2) | instskip(NEXT) | instid1(VALU_DEP_2)
	v_dual_mul_f32 v37, 0x3fb8aa3b, v27 :: v_dual_add_f32 v32, v38, v32
	v_cndmask_b32_e64 v40, 0, 0x37000000, s11
	v_cmp_neq_f32_e64 s11, 0x7f800000, |v25|
	v_dual_sub_f32 v25, v25, v39 :: v_dual_mul_f32 v38, 0x3fb8aa3b, v33
	s_delay_alu instid0(VALU_DEP_4) | instskip(SKIP_1) | instid1(VALU_DEP_3)
	v_fma_f32 v43, 0x3fb8aa3b, v27, -v37
	v_rndne_f32_e32 v44, v37
	v_dual_sub_f32 v41, v36, v40 :: v_dual_mul_f32 v42, 0x3fb8aa3b, v25
	s_delay_alu instid0(VALU_DEP_4)
	v_fma_f32 v45, 0x3fb8aa3b, v33, -v38
	v_rndne_f32_e32 v46, v38
	v_fmac_f32_e32 v43, 0x32a5705f, v27
	v_sub_f32_e32 v37, v37, v44
	v_mul_f32_e32 v47, 0x3fb8aa3b, v41
	v_fma_f32 v48, 0x3fb8aa3b, v25, -v42
	v_rndne_f32_e32 v49, v42
	v_dual_fmac_f32 v45, 0x32a5705f, v33 :: v_dual_sub_f32 v38, v38, v46
	v_add_f32_e32 v37, v37, v43
	v_cndmask_b32_e64 v29, 0, v29, s11
	v_fma_f32 v50, 0x3fb8aa3b, v41, -v47
	v_rndne_f32_e32 v51, v47
	v_fmac_f32_e32 v48, 0x32a5705f, v25
	v_sub_f32_e32 v42, v42, v49
	v_add_f32_e32 v38, v38, v45
	v_cmp_neq_f32_e64 s11, 0x7f800000, |v36|
	v_exp_f32_e32 v36, v37
	v_dual_fmac_f32 v50, 0x32a5705f, v41 :: v_dual_sub_f32 v43, v47, v51
	v_add_f32_e32 v42, v42, v48
	v_exp_f32_e32 v37, v38
	v_add_f32_e32 v29, v39, v29
	v_cvt_i32_f32_e32 v39, v44
	v_cndmask_b32_e64 v26, 0, v26, s11
	v_add_f32_e32 v38, v43, v50
	v_exp_f32_e32 v42, v42
	v_cvt_i32_f32_e32 v43, v46
	v_ldexp_f32 v36, v36, v39
	v_cmp_ngt_f32_e64 s11, 0xc2ce8ed0, v27
	v_cvt_i32_f32_e32 v44, v49
	v_exp_f32_e32 v38, v38
	v_ldexp_f32 v37, v37, v43
	v_add_f32_e32 v26, v40, v26
	v_cndmask_b32_e64 v36, 0, v36, s11
	v_cmp_ngt_f32_e64 s11, 0xc2ce8ed0, v33
	v_cvt_i32_f32_e32 v39, v51
	v_ldexp_f32 v40, v42, v44
	s_delay_alu instid0(VALU_DEP_3)
	v_cndmask_b32_e64 v37, 0, v37, s11
	v_cmp_ngt_f32_e64 s11, 0xc2ce8ed0, v25
	s_delay_alu instid0(TRANS32_DEP_1) | instid1(VALU_DEP_4)
	v_ldexp_f32 v38, v38, v39
	s_delay_alu instid0(VALU_DEP_2) | instskip(SKIP_1) | instid1(VALU_DEP_1)
	v_cndmask_b32_e64 v39, 0, v40, s11
	v_cmp_nlt_f32_e64 s11, 0x42b17218, v27
	v_cndmask_b32_e64 v27, 0x7f800000, v36, s11
	v_cmp_nlt_f32_e64 s11, 0x42b17218, v33
	s_delay_alu instid0(VALU_DEP_2) | instskip(NEXT) | instid1(VALU_DEP_2)
	v_fma_f32 v30, v27, v30, v27
	v_cndmask_b32_e64 v33, 0x7f800000, v37, s11
	v_cmp_ngt_f32_e64 s11, 0xc2ce8ed0, v41
	s_delay_alu instid0(VALU_DEP_2) | instskip(NEXT) | instid1(VALU_DEP_2)
	v_fma_f32 v32, v33, v32, v33
	v_cndmask_b32_e64 v36, 0, v38, s11
	v_cmp_nlt_f32_e64 s11, 0x42b17218, v25
	s_delay_alu instid0(VALU_DEP_1) | instskip(SKIP_1) | instid1(VALU_DEP_2)
	v_cndmask_b32_e64 v25, 0x7f800000, v39, s11
	v_cmp_nlt_f32_e64 s11, 0x42b17218, v41
	v_fma_f32 v29, v25, v29, v25
	s_delay_alu instid0(VALU_DEP_2) | instskip(SKIP_1) | instid1(VALU_DEP_2)
	v_cndmask_b32_e64 v36, 0x7f800000, v36, s11
	v_cmp_class_f32_e64 s11, v27, 0x204
	v_fma_f32 v26, v36, v26, v36
	s_delay_alu instid0(VALU_DEP_2) | instskip(SKIP_1) | instid1(VALU_DEP_2)
	v_cndmask_b32_e64 v27, v30, v27, s11
	v_cmp_class_f32_e64 s11, v33, 0x204
	v_bfi_b32 v19, 0x7fffffff, v27, v19
	s_delay_alu instid0(VALU_DEP_2) | instskip(SKIP_1) | instid1(VALU_DEP_3)
	v_cndmask_b32_e64 v30, v32, v33, s11
	v_cmp_class_f32_e64 s11, v25, 0x204
	v_cndmask_b32_e64 v27, 0x7fc00000, v19, s1
	s_delay_alu instid0(VALU_DEP_3) | instskip(NEXT) | instid1(VALU_DEP_3)
	v_bfi_b32 v20, 0x7fffffff, v30, v20
	v_cndmask_b32_e64 v25, v29, v25, s11
	v_cmp_class_f32_e64 s11, v36, 0x204
	v_cmp_gt_f32_e64 s1, 0, v10
	s_delay_alu instid0(VALU_DEP_4) | instskip(NEXT) | instid1(VALU_DEP_4)
	v_cndmask_b32_e64 v29, 0x7fc00000, v20, s3
	v_bfi_b32 v23, 0x7fffffff, v25, v23
	s_delay_alu instid0(VALU_DEP_4) | instskip(NEXT) | instid1(VALU_DEP_4)
	v_cndmask_b32_e64 v26, v26, v36, s11
	v_cndmask_b32_e64 v19, v19, v27, s1
	v_cmp_gt_f32_e64 s1, 0, v12
	v_bfi_b32 v25, 0x7fffffff, v34, v31
	s_delay_alu instid0(VALU_DEP_4) | instskip(SKIP_1) | instid1(VALU_DEP_4)
	v_bfi_b32 v24, 0x7fffffff, v26, v24
	v_cndmask_b32_e64 v26, 0x7fc00000, v23, s7
	v_cndmask_b32_e64 v20, v20, v29, s1
	v_cmp_gt_f32_e64 s1, 0, v13
	s_delay_alu instid0(VALU_DEP_4) | instskip(NEXT) | instid1(VALU_DEP_2)
	v_cndmask_b32_e64 v27, 0x7fc00000, v24, s9
	v_cndmask_b32_e64 v23, v23, v26, s1
	v_cmp_eq_f32_e64 s1, 0x7f800000, v8
	s_delay_alu instid0(VALU_DEP_1) | instskip(SKIP_1) | instid1(VALU_DEP_2)
	v_cndmask_b32_e64 v8, v19, v16, s1
	v_cmp_eq_f32_e64 s1, 0x7f800000, v9
	v_cndmask_b32_e32 v8, v8, v22, vcc_lo
	s_delay_alu instid0(VALU_DEP_2) | instskip(SKIP_3) | instid1(VALU_DEP_3)
	v_cndmask_b32_e64 v9, v20, v17, s1
	v_cmp_gt_f32_e64 s1, 0, v15
	s_or_b32 vcc_lo, s0, s5
	v_cmp_lt_u64_e64 s0, 0xffff, v[1:2]
	v_cndmask_b32_e32 v9, v9, v35, vcc_lo
	s_delay_alu instid0(VALU_DEP_3) | instskip(SKIP_2) | instid1(VALU_DEP_2)
	v_cndmask_b32_e64 v16, v24, v27, s1
	v_cmp_eq_f32_e64 s1, 0x7f800000, v11
	v_cmp_eq_f32_e32 vcc_lo, 0x7f800000, v14
	v_cndmask_b32_e64 v11, v23, v18, s1
	s_delay_alu instid0(VALU_DEP_4) | instskip(SKIP_1) | instid1(VALU_DEP_2)
	v_cndmask_b32_e32 v14, v16, v21, vcc_lo
	s_or_b32 vcc_lo, s2, s8
	v_cndmask_b32_e32 v11, v11, v28, vcc_lo
	v_cmp_o_f32_e32 vcc_lo, v10, v0
	v_cndmask_b32_e32 v0, 0x7fc00000, v8, vcc_lo
	s_or_b32 vcc_lo, s6, s10
	v_cndmask_b32_e32 v8, v14, v25, vcc_lo
	v_cmp_o_f32_e32 vcc_lo, v12, v5
	s_delay_alu instid0(VALU_DEP_3) | instskip(SKIP_2) | instid1(VALU_DEP_2)
	v_cvt_f16_f32_e32 v0, v0
	v_cndmask_b32_e32 v5, 0x7fc00000, v9, vcc_lo
	v_cmp_o_f32_e32 vcc_lo, v13, v6
	v_cvt_f16_f32_e32 v5, v5
	v_cndmask_b32_e32 v6, 0x7fc00000, v11, vcc_lo
	v_cmp_o_f32_e32 vcc_lo, v15, v7
	s_delay_alu instid0(VALU_DEP_3) | instskip(NEXT) | instid1(VALU_DEP_3)
	v_pack_b32_f16 v5, v0, v5
	v_cvt_f16_f32_e32 v6, v6
	v_cndmask_b32_e32 v7, 0x7fc00000, v8, vcc_lo
	v_cmp_le_i64_e32 vcc_lo, s[24:25], v[1:2]
	v_add_co_u32 v1, s1, v1, s29
	s_delay_alu instid0(VALU_DEP_1) | instskip(NEXT) | instid1(VALU_DEP_4)
	v_add_co_ci_u32_e64 v2, s1, 0, v2, s1
	v_cvt_f16_f32_e32 v7, v7
	s_or_b32 s0, vcc_lo, s0
	s_delay_alu instid0(SALU_CYCLE_1) | instskip(NEXT) | instid1(VALU_DEP_1)
	s_and_b32 s0, exec_lo, s0
	v_pack_b32_f16 v6, v7, v6
	s_or_b32 s27, s0, s27
	global_store_b64 v[3:4], v[5:6], off offset:-4
	v_add_co_u32 v3, vcc_lo, v3, s28
	v_add_co_ci_u32_e32 v4, vcc_lo, 0, v4, vcc_lo
	s_and_not1_b32 exec_lo, exec_lo, s27
	s_cbranch_execnz .LBB83_24
.LBB83_25:
	s_nop 0
	s_sendmsg sendmsg(MSG_DEALLOC_VGPRS)
	s_endpgm
	.section	.rodata,"a",@progbits
	.p2align	6, 0x0
	.amdhsa_kernel _ZN2at6native12_GLOBAL__N_125multi_tensor_apply_kernelINS1_28TensorListScalarListMetadataIfLi1EEENS1_25BinaryOpScalarListFunctorIN3c104HalfELi1ELi1ELi0EEEJNS1_13power_functorIfEEEEEvT_T0_DpT1_
		.amdhsa_group_segment_fixed_size 0
		.amdhsa_private_segment_fixed_size 0
		.amdhsa_kernarg_size 3784
		.amdhsa_user_sgpr_count 15
		.amdhsa_user_sgpr_dispatch_ptr 0
		.amdhsa_user_sgpr_queue_ptr 0
		.amdhsa_user_sgpr_kernarg_segment_ptr 1
		.amdhsa_user_sgpr_dispatch_id 0
		.amdhsa_user_sgpr_private_segment_size 0
		.amdhsa_wavefront_size32 1
		.amdhsa_uses_dynamic_stack 0
		.amdhsa_enable_private_segment 0
		.amdhsa_system_sgpr_workgroup_id_x 1
		.amdhsa_system_sgpr_workgroup_id_y 0
		.amdhsa_system_sgpr_workgroup_id_z 0
		.amdhsa_system_sgpr_workgroup_info 0
		.amdhsa_system_vgpr_workitem_id 0
		.amdhsa_next_free_vgpr 75
		.amdhsa_next_free_sgpr 31
		.amdhsa_reserve_vcc 1
		.amdhsa_float_round_mode_32 0
		.amdhsa_float_round_mode_16_64 0
		.amdhsa_float_denorm_mode_32 3
		.amdhsa_float_denorm_mode_16_64 3
		.amdhsa_dx10_clamp 1
		.amdhsa_ieee_mode 1
		.amdhsa_fp16_overflow 0
		.amdhsa_workgroup_processor_mode 1
		.amdhsa_memory_ordered 1
		.amdhsa_forward_progress 0
		.amdhsa_shared_vgpr_count 0
		.amdhsa_exception_fp_ieee_invalid_op 0
		.amdhsa_exception_fp_denorm_src 0
		.amdhsa_exception_fp_ieee_div_zero 0
		.amdhsa_exception_fp_ieee_overflow 0
		.amdhsa_exception_fp_ieee_underflow 0
		.amdhsa_exception_fp_ieee_inexact 0
		.amdhsa_exception_int_div_zero 0
	.end_amdhsa_kernel
	.section	.text._ZN2at6native12_GLOBAL__N_125multi_tensor_apply_kernelINS1_28TensorListScalarListMetadataIfLi1EEENS1_25BinaryOpScalarListFunctorIN3c104HalfELi1ELi1ELi0EEEJNS1_13power_functorIfEEEEEvT_T0_DpT1_,"axG",@progbits,_ZN2at6native12_GLOBAL__N_125multi_tensor_apply_kernelINS1_28TensorListScalarListMetadataIfLi1EEENS1_25BinaryOpScalarListFunctorIN3c104HalfELi1ELi1ELi0EEEJNS1_13power_functorIfEEEEEvT_T0_DpT1_,comdat
.Lfunc_end83:
	.size	_ZN2at6native12_GLOBAL__N_125multi_tensor_apply_kernelINS1_28TensorListScalarListMetadataIfLi1EEENS1_25BinaryOpScalarListFunctorIN3c104HalfELi1ELi1ELi0EEEJNS1_13power_functorIfEEEEEvT_T0_DpT1_, .Lfunc_end83-_ZN2at6native12_GLOBAL__N_125multi_tensor_apply_kernelINS1_28TensorListScalarListMetadataIfLi1EEENS1_25BinaryOpScalarListFunctorIN3c104HalfELi1ELi1ELi0EEEJNS1_13power_functorIfEEEEEvT_T0_DpT1_
                                        ; -- End function
	.section	.AMDGPU.csdata,"",@progbits
; Kernel info:
; codeLenInByte = 10500
; NumSgprs: 33
; NumVgprs: 75
; ScratchSize: 0
; MemoryBound: 0
; FloatMode: 240
; IeeeMode: 1
; LDSByteSize: 0 bytes/workgroup (compile time only)
; SGPRBlocks: 4
; VGPRBlocks: 9
; NumSGPRsForWavesPerEU: 33
; NumVGPRsForWavesPerEU: 75
; Occupancy: 16
; WaveLimiterHint : 0
; COMPUTE_PGM_RSRC2:SCRATCH_EN: 0
; COMPUTE_PGM_RSRC2:USER_SGPR: 15
; COMPUTE_PGM_RSRC2:TRAP_HANDLER: 0
; COMPUTE_PGM_RSRC2:TGID_X_EN: 1
; COMPUTE_PGM_RSRC2:TGID_Y_EN: 0
; COMPUTE_PGM_RSRC2:TGID_Z_EN: 0
; COMPUTE_PGM_RSRC2:TIDIG_COMP_CNT: 0
	.section	.text._ZN2at6native12_GLOBAL__N_125multi_tensor_apply_kernelINS1_28TensorListScalarListMetadataIfLi1EEENS1_25BinaryOpScalarListFunctorIN3c108BFloat16ELi1ELi1ELi0EEEJNS1_13power_functorIfEEEEEvT_T0_DpT1_,"axG",@progbits,_ZN2at6native12_GLOBAL__N_125multi_tensor_apply_kernelINS1_28TensorListScalarListMetadataIfLi1EEENS1_25BinaryOpScalarListFunctorIN3c108BFloat16ELi1ELi1ELi0EEEJNS1_13power_functorIfEEEEEvT_T0_DpT1_,comdat
	.globl	_ZN2at6native12_GLOBAL__N_125multi_tensor_apply_kernelINS1_28TensorListScalarListMetadataIfLi1EEENS1_25BinaryOpScalarListFunctorIN3c108BFloat16ELi1ELi1ELi0EEEJNS1_13power_functorIfEEEEEvT_T0_DpT1_ ; -- Begin function _ZN2at6native12_GLOBAL__N_125multi_tensor_apply_kernelINS1_28TensorListScalarListMetadataIfLi1EEENS1_25BinaryOpScalarListFunctorIN3c108BFloat16ELi1ELi1ELi0EEEJNS1_13power_functorIfEEEEEvT_T0_DpT1_
	.p2align	8
	.type	_ZN2at6native12_GLOBAL__N_125multi_tensor_apply_kernelINS1_28TensorListScalarListMetadataIfLi1EEENS1_25BinaryOpScalarListFunctorIN3c108BFloat16ELi1ELi1ELi0EEEJNS1_13power_functorIfEEEEEvT_T0_DpT1_,@function
_ZN2at6native12_GLOBAL__N_125multi_tensor_apply_kernelINS1_28TensorListScalarListMetadataIfLi1EEENS1_25BinaryOpScalarListFunctorIN3c108BFloat16ELi1ELi1ELi0EEEJNS1_13power_functorIfEEEEEvT_T0_DpT1_: ; @_ZN2at6native12_GLOBAL__N_125multi_tensor_apply_kernelINS1_28TensorListScalarListMetadataIfLi1EEENS1_25BinaryOpScalarListFunctorIN3c108BFloat16ELi1ELi1ELi0EEEJNS1_13power_functorIfEEEEEvT_T0_DpT1_
; %bb.0:
	v_mov_b32_e32 v1, s15
	s_add_u32 s2, s0, s15
	s_mul_i32 s3, s15, 3
	s_mul_hi_u32 s4, s15, 3
	s_addc_u32 s5, s1, 0
	global_load_u8 v1, v1, s[0:1] offset:1920
	s_add_u32 s2, s2, s3
	s_addc_u32 s3, s5, s4
	s_load_b32 s2, s[2:3], 0x8c0
	s_waitcnt vmcnt(0)
	v_readfirstlane_b32 s3, v1
	v_lshlrev_b32_e32 v1, 2, v1
	s_delay_alu instid0(VALU_DEP_2)
	s_lshl_b32 s6, s3, 3
	s_waitcnt lgkmcnt(0)
	s_ashr_i32 s3, s2, 31
	s_clause 0x1
	s_load_b64 s[4:5], s[0:1], s6 offset:0x300
	s_load_b64 s[10:11], s[0:1], s6 offset:0x0
	s_add_u32 s6, s0, s6
	s_addc_u32 s7, s1, 0
	v_sub_co_u32 v1, s6, s6, v1
	s_delay_alu instid0(VALU_DEP_1) | instskip(SKIP_1) | instid1(VALU_DEP_2)
	v_sub_co_ci_u32_e64 v2, null, s7, 0, s6
	s_lshl_b64 s[12:13], s[2:3], 17
	v_readfirstlane_b32 s6, v1
	s_lshl_b64 s[2:3], s[2:3], 16
	s_delay_alu instid0(VALU_DEP_2)
	v_readfirstlane_b32 s7, v2
	s_load_b32 s26, s[6:7], 0x600
	s_waitcnt lgkmcnt(0)
	s_and_b32 s6, s10, 7
	s_sub_u32 s24, s4, s2
	s_subb_u32 s25, s5, s3
	s_and_b32 s2, s4, 3
	s_mov_b32 s3, 0
	s_or_b32 s2, s6, s2
	s_delay_alu instid0(SALU_CYCLE_1)
	s_cmp_eq_u64 s[2:3], 0
	s_cbranch_scc1 .LBB84_21
; %bb.1:
	v_cmp_lt_i64_e64 s2, s[24:25], 1
	s_delay_alu instid0(VALU_DEP_1)
	s_and_b32 vcc_lo, exec_lo, s2
	s_cbranch_vccnz .LBB84_20
; %bb.2:
	s_load_b32 s2, s[0:1], 0xdd4
	v_cmp_gt_u64_e64 s3, 0x10000, s[24:25]
	v_lshlrev_b32_e32 v1, 1, v0
	s_mov_b64 s[16:17], 0
	s_mov_b32 s20, 0x3e76c4e1
	s_waitcnt lgkmcnt(0)
	s_and_b32 s2, s2, 0xffff
	s_and_b32 s3, s3, exec_lo
	v_add_co_u32 v5, s5, v0, s2
	s_cselect_b32 s15, s25, 0
	s_cselect_b32 s14, s24, 0x10000
	s_lshl_b32 s3, s2, 1
	s_lshl_b32 s9, s2, 2
	v_lshlrev_b32_e32 v3, 1, v5
	v_add_co_ci_u32_e64 v6, null, 0, 0, s5
	s_add_u32 s5, s10, s12
	v_add_co_u32 v9, s3, s3, v0
	s_mul_i32 s4, s2, 3
	s_addc_u32 s6, s11, s13
	v_add_co_ci_u32_e64 v10, null, 0, 0, s3
	v_add_co_u32 v1, s3, s5, v1
	v_add_co_u32 v7, s4, s4, v0
	v_add_co_ci_u32_e64 v2, null, s6, 0, s3
	v_add_co_u32 v3, s3, s5, v3
	v_add_co_ci_u32_e64 v8, null, 0, 0, s4
	v_add_co_ci_u32_e64 v4, null, s6, 0, s3
	s_lshl_b32 s18, s2, 3
	s_mul_i32 s19, s2, 6
	s_branch .LBB84_4
.LBB84_3:                               ;   in Loop: Header=BB84_4 Depth=1
	s_or_b32 exec_lo, exec_lo, s6
	s_add_u32 s16, s16, s9
	s_addc_u32 s17, s17, 0
	v_add_co_u32 v1, vcc_lo, v1, s18
	v_cmp_lt_i64_e64 s2, s[16:17], s[24:25]
	v_cmp_gt_u64_e64 s3, 0x10000, s[16:17]
	v_add_co_ci_u32_e32 v2, vcc_lo, 0, v2, vcc_lo
	v_add_co_u32 v3, vcc_lo, v3, s18
	v_add_co_ci_u32_e32 v4, vcc_lo, 0, v4, vcc_lo
	s_delay_alu instid0(VALU_DEP_4) | instskip(NEXT) | instid1(SALU_CYCLE_1)
	s_and_b32 s2, s2, s3
	s_and_b32 vcc_lo, exec_lo, s2
	s_cbranch_vccz .LBB84_20
.LBB84_4:                               ; =>This Inner Loop Header: Depth=1
	s_waitcnt vmcnt(0)
	v_add_co_u32 v11, s2, v0, s16
	s_delay_alu instid0(VALU_DEP_1) | instskip(SKIP_1) | instid1(VALU_DEP_2)
	v_add_co_ci_u32_e64 v12, null, 0, s17, s2
	v_mov_b32_e32 v14, 0
	v_cmp_gt_u64_e64 s4, s[14:15], v[11:12]
	s_delay_alu instid0(VALU_DEP_1)
	s_and_saveexec_b32 s2, s4
	s_cbranch_execz .LBB84_6
; %bb.5:                                ;   in Loop: Header=BB84_4 Depth=1
	global_load_u16 v14, v[1:2], off
.LBB84_6:                               ;   in Loop: Header=BB84_4 Depth=1
	s_or_b32 exec_lo, exec_lo, s2
	v_add_co_u32 v11, vcc_lo, v5, s16
	v_add_co_ci_u32_e32 v12, vcc_lo, s17, v6, vcc_lo
	v_mov_b32_e32 v13, 0
	s_delay_alu instid0(VALU_DEP_2) | instskip(NEXT) | instid1(VALU_DEP_1)
	v_cmp_gt_u64_e64 s3, s[14:15], v[11:12]
	s_and_saveexec_b32 s2, s3
	s_cbranch_execz .LBB84_8
; %bb.7:                                ;   in Loop: Header=BB84_4 Depth=1
	global_load_u16 v13, v[3:4], off
.LBB84_8:                               ;   in Loop: Header=BB84_4 Depth=1
	s_or_b32 exec_lo, exec_lo, s2
	v_add_co_u32 v11, vcc_lo, v9, s16
	v_add_co_ci_u32_e32 v12, vcc_lo, s17, v10, vcc_lo
	s_delay_alu instid0(VALU_DEP_1) | instskip(SKIP_1) | instid1(VALU_DEP_2)
	v_cmp_gt_u64_e64 s2, s[14:15], v[11:12]
	v_dual_mov_b32 v11, 0 :: v_dual_mov_b32 v12, 0
	s_and_saveexec_b32 s5, s2
	s_cbranch_execz .LBB84_10
; %bb.9:                                ;   in Loop: Header=BB84_4 Depth=1
	v_add_co_u32 v15, vcc_lo, v1, s9
	v_add_co_ci_u32_e32 v16, vcc_lo, 0, v2, vcc_lo
	global_load_u16 v12, v[15:16], off
.LBB84_10:                              ;   in Loop: Header=BB84_4 Depth=1
	s_or_b32 exec_lo, exec_lo, s5
	v_add_co_u32 v15, vcc_lo, v7, s16
	v_add_co_ci_u32_e32 v16, vcc_lo, s17, v8, vcc_lo
	s_delay_alu instid0(VALU_DEP_1)
	v_cmp_gt_u64_e32 vcc_lo, s[14:15], v[15:16]
	s_and_saveexec_b32 s6, vcc_lo
	s_cbranch_execnz .LBB84_15
; %bb.11:                               ;   in Loop: Header=BB84_4 Depth=1
	s_or_b32 exec_lo, exec_lo, s6
	s_and_saveexec_b32 s21, s4
	s_cbranch_execnz .LBB84_16
.LBB84_12:                              ;   in Loop: Header=BB84_4 Depth=1
	s_or_b32 exec_lo, exec_lo, s21
	s_and_saveexec_b32 s8, s3
	s_cbranch_execnz .LBB84_17
.LBB84_13:                              ;   in Loop: Header=BB84_4 Depth=1
	s_or_b32 exec_lo, exec_lo, s8
	s_and_saveexec_b32 s7, s2
	s_cbranch_execnz .LBB84_18
.LBB84_14:                              ;   in Loop: Header=BB84_4 Depth=1
	s_or_b32 exec_lo, exec_lo, s7
	s_and_saveexec_b32 s6, vcc_lo
	s_cbranch_execz .LBB84_3
	s_branch .LBB84_19
.LBB84_15:                              ;   in Loop: Header=BB84_4 Depth=1
	v_add_co_u32 v15, s5, v1, s19
	s_delay_alu instid0(VALU_DEP_1)
	v_add_co_ci_u32_e64 v16, s5, 0, v2, s5
	global_load_u16 v11, v[15:16], off
	s_or_b32 exec_lo, exec_lo, s6
	s_and_saveexec_b32 s21, s4
	s_cbranch_execz .LBB84_12
.LBB84_16:                              ;   in Loop: Header=BB84_4 Depth=1
	s_waitcnt vmcnt(0)
	v_lshlrev_b32_e32 v14, 16, v14
	s_delay_alu instid0(VALU_DEP_1) | instskip(NEXT) | instid1(VALU_DEP_1)
	v_cmp_eq_f32_e64 s4, 1.0, v14
	v_cndmask_b32_e64 v16, s26, 1.0, s4
	s_delay_alu instid0(VALU_DEP_1) | instskip(SKIP_1) | instid1(VALU_DEP_2)
	v_cmp_eq_f32_e64 s5, 0, v16
	v_cmp_gt_f32_e64 s7, 0, v16
	v_cndmask_b32_e64 v18, |v14|, 1.0, s5
	v_cndmask_b32_e64 v17, v14, 1.0, s5
	s_delay_alu instid0(VALU_DEP_2) | instskip(NEXT) | instid1(VALU_DEP_2)
	v_cvt_f64_f32_e32 v[14:15], v18
	v_cmp_eq_f32_e64 s8, 0, v17
	s_delay_alu instid0(VALU_DEP_2) | instskip(SKIP_1) | instid1(VALU_DEP_1)
	v_frexp_exp_i32_f64_e32 v14, v[14:15]
	v_frexp_mant_f32_e32 v15, v18
	v_cmp_gt_f32_e64 s5, 0x3f2aaaab, v15
	s_delay_alu instid0(VALU_DEP_1) | instskip(NEXT) | instid1(VALU_DEP_1)
	v_cndmask_b32_e64 v19, 1.0, 2.0, s5
	v_mul_f32_e32 v15, v15, v19
	s_delay_alu instid0(VALU_DEP_1) | instskip(SKIP_1) | instid1(VALU_DEP_1)
	v_add_f32_e32 v21, -1.0, v15
	v_add_f32_e32 v19, 1.0, v15
	v_rcp_f32_e32 v20, v19
	s_waitcnt_depctr 0xfff
	v_mul_f32_e32 v22, v21, v20
	v_subrev_co_ci_u32_e64 v14, s6, 0, v14, s5
	s_delay_alu instid0(VALU_DEP_2) | instskip(NEXT) | instid1(VALU_DEP_2)
	v_dual_mul_f32 v24, v19, v22 :: v_dual_add_f32 v23, -1.0, v19
	v_cvt_f32_i32_e32 v14, v14
	s_delay_alu instid0(VALU_DEP_2) | instskip(NEXT) | instid1(VALU_DEP_3)
	v_fma_f32 v19, v22, v19, -v24
	v_sub_f32_e32 v15, v15, v23
	s_delay_alu instid0(VALU_DEP_1) | instskip(NEXT) | instid1(VALU_DEP_1)
	v_fmac_f32_e32 v19, v22, v15
	v_add_f32_e32 v15, v24, v19
	s_delay_alu instid0(VALU_DEP_1) | instskip(NEXT) | instid1(VALU_DEP_1)
	v_dual_sub_f32 v23, v21, v15 :: v_dual_sub_f32 v24, v15, v24
	v_sub_f32_e32 v21, v21, v23
	s_delay_alu instid0(VALU_DEP_2) | instskip(NEXT) | instid1(VALU_DEP_2)
	v_sub_f32_e32 v19, v24, v19
	v_sub_f32_e32 v15, v21, v15
	s_delay_alu instid0(VALU_DEP_1) | instskip(NEXT) | instid1(VALU_DEP_1)
	v_add_f32_e32 v15, v19, v15
	v_add_f32_e32 v15, v23, v15
	s_delay_alu instid0(VALU_DEP_1) | instskip(NEXT) | instid1(VALU_DEP_1)
	v_mul_f32_e32 v15, v20, v15
	v_add_f32_e32 v19, v22, v15
	s_delay_alu instid0(VALU_DEP_1) | instskip(SKIP_1) | instid1(VALU_DEP_2)
	v_sub_f32_e32 v20, v19, v22
	v_mul_f32_e32 v21, v19, v19
	v_sub_f32_e32 v15, v15, v20
	s_delay_alu instid0(VALU_DEP_2) | instskip(NEXT) | instid1(VALU_DEP_2)
	v_fma_f32 v20, v19, v19, -v21
	v_add_f32_e32 v22, v15, v15
	s_delay_alu instid0(VALU_DEP_1) | instskip(NEXT) | instid1(VALU_DEP_1)
	v_fmac_f32_e32 v20, v19, v22
	v_add_f32_e32 v22, v21, v20
	s_delay_alu instid0(VALU_DEP_1) | instskip(SKIP_2) | instid1(VALU_DEP_3)
	v_mul_f32_e32 v26, v19, v22
	v_fmaak_f32 v23, s20, v22, 0x3e91f4c4
	v_sub_f32_e32 v21, v22, v21
	v_fma_f32 v27, v22, v19, -v26
	s_delay_alu instid0(VALU_DEP_2) | instskip(NEXT) | instid1(VALU_DEP_1)
	v_dual_fmaak_f32 v23, v22, v23, 0x3ecccdef :: v_dual_sub_f32 v20, v20, v21
	v_mul_f32_e32 v24, v22, v23
	s_delay_alu instid0(VALU_DEP_3) | instskip(SKIP_1) | instid1(VALU_DEP_3)
	v_fmac_f32_e32 v27, v22, v15
	v_ldexp_f32 v15, v15, 1
	v_fma_f32 v21, v22, v23, -v24
	s_delay_alu instid0(VALU_DEP_3) | instskip(NEXT) | instid1(VALU_DEP_2)
	v_fmac_f32_e32 v27, v20, v19
	v_fmac_f32_e32 v21, v20, v23
	s_delay_alu instid0(VALU_DEP_1) | instskip(NEXT) | instid1(VALU_DEP_1)
	v_dual_add_f32 v22, v26, v27 :: v_dual_add_f32 v23, v24, v21
	v_dual_sub_f32 v24, v23, v24 :: v_dual_add_f32 v25, 0x3f2aaaaa, v23
	s_delay_alu instid0(VALU_DEP_1) | instskip(NEXT) | instid1(VALU_DEP_1)
	v_dual_sub_f32 v21, v21, v24 :: v_dual_add_f32 v24, 0xbf2aaaaa, v25
	v_add_f32_e32 v21, 0x31739010, v21
	s_delay_alu instid0(VALU_DEP_2) | instskip(NEXT) | instid1(VALU_DEP_1)
	v_sub_f32_e32 v23, v23, v24
	v_add_f32_e32 v21, v21, v23
	s_delay_alu instid0(VALU_DEP_1) | instskip(NEXT) | instid1(VALU_DEP_1)
	v_add_f32_e32 v20, v25, v21
	v_sub_f32_e32 v23, v25, v20
	v_mul_f32_e32 v24, v22, v20
	v_sub_f32_e32 v25, v22, v26
	s_delay_alu instid0(VALU_DEP_3) | instskip(NEXT) | instid1(VALU_DEP_3)
	v_add_f32_e32 v21, v21, v23
	v_fma_f32 v23, v22, v20, -v24
	s_delay_alu instid0(VALU_DEP_3) | instskip(NEXT) | instid1(VALU_DEP_2)
	v_sub_f32_e32 v25, v27, v25
	v_fmac_f32_e32 v23, v22, v21
	s_delay_alu instid0(VALU_DEP_1) | instskip(NEXT) | instid1(VALU_DEP_1)
	v_fmac_f32_e32 v23, v25, v20
	v_add_f32_e32 v20, v24, v23
	s_delay_alu instid0(VALU_DEP_1) | instskip(SKIP_1) | instid1(VALU_DEP_2)
	v_dual_sub_f32 v21, v20, v24 :: v_dual_mul_f32 v24, 0x3f317218, v14
	v_ldexp_f32 v19, v19, 1
	v_sub_f32_e32 v21, v23, v21
	s_delay_alu instid0(VALU_DEP_3) | instskip(NEXT) | instid1(VALU_DEP_3)
	v_fma_f32 v23, 0x3f317218, v14, -v24
	v_add_f32_e32 v22, v19, v20
	s_delay_alu instid0(VALU_DEP_3) | instskip(NEXT) | instid1(VALU_DEP_3)
	v_add_f32_e32 v15, v15, v21
	v_fmac_f32_e32 v23, 0xb102e308, v14
	s_delay_alu instid0(VALU_DEP_3) | instskip(NEXT) | instid1(VALU_DEP_1)
	v_sub_f32_e32 v19, v22, v19
	v_sub_f32_e32 v19, v20, v19
	s_delay_alu instid0(VALU_DEP_1) | instskip(NEXT) | instid1(VALU_DEP_4)
	v_add_f32_e32 v14, v15, v19
	v_add_f32_e32 v15, v24, v23
	s_delay_alu instid0(VALU_DEP_1) | instskip(NEXT) | instid1(VALU_DEP_1)
	v_dual_add_f32 v19, v22, v14 :: v_dual_sub_f32 v24, v15, v24
	v_add_f32_e32 v20, v15, v19
	v_sub_f32_e32 v22, v19, v22
	s_delay_alu instid0(VALU_DEP_3) | instskip(NEXT) | instid1(VALU_DEP_2)
	v_sub_f32_e32 v23, v23, v24
	v_dual_sub_f32 v21, v20, v15 :: v_dual_sub_f32 v14, v14, v22
	s_delay_alu instid0(VALU_DEP_1) | instskip(SKIP_1) | instid1(VALU_DEP_3)
	v_sub_f32_e32 v25, v20, v21
	v_sub_f32_e32 v19, v19, v21
	v_add_f32_e32 v21, v23, v14
	s_delay_alu instid0(VALU_DEP_3) | instskip(NEXT) | instid1(VALU_DEP_1)
	v_sub_f32_e32 v15, v15, v25
	v_add_f32_e32 v15, v19, v15
	s_delay_alu instid0(VALU_DEP_3) | instskip(NEXT) | instid1(VALU_DEP_2)
	v_sub_f32_e32 v19, v21, v23
	v_add_f32_e32 v15, v21, v15
	s_delay_alu instid0(VALU_DEP_2) | instskip(SKIP_1) | instid1(VALU_DEP_2)
	v_sub_f32_e32 v21, v21, v19
	v_sub_f32_e32 v14, v14, v19
	v_dual_add_f32 v22, v20, v15 :: v_dual_sub_f32 v19, v23, v21
	s_delay_alu instid0(VALU_DEP_1) | instskip(NEXT) | instid1(VALU_DEP_1)
	v_sub_f32_e32 v20, v22, v20
	v_dual_add_f32 v14, v14, v19 :: v_dual_sub_f32 v15, v15, v20
	s_delay_alu instid0(VALU_DEP_1) | instskip(NEXT) | instid1(VALU_DEP_1)
	v_add_f32_e32 v14, v14, v15
	v_add_f32_e32 v15, v22, v14
	s_delay_alu instid0(VALU_DEP_1) | instskip(NEXT) | instid1(VALU_DEP_1)
	v_dual_sub_f32 v19, v15, v22 :: v_dual_mul_f32 v20, v16, v15
	v_sub_f32_e32 v14, v14, v19
	s_delay_alu instid0(VALU_DEP_2) | instskip(SKIP_1) | instid1(VALU_DEP_2)
	v_fma_f32 v15, v16, v15, -v20
	v_cmp_class_f32_e64 s5, v20, 0x204
	v_fmac_f32_e32 v15, v16, v14
	s_delay_alu instid0(VALU_DEP_1) | instskip(NEXT) | instid1(VALU_DEP_1)
	v_add_f32_e32 v14, v20, v15
	v_cndmask_b32_e64 v19, v14, v20, s5
	v_sub_f32_e32 v14, v14, v20
	s_delay_alu instid0(VALU_DEP_2) | instskip(NEXT) | instid1(VALU_DEP_2)
	v_cmp_eq_f32_e64 s5, 0x42b17218, v19
	v_sub_f32_e32 v14, v15, v14
	v_trunc_f32_e32 v15, v16
	s_delay_alu instid0(VALU_DEP_3) | instskip(SKIP_1) | instid1(VALU_DEP_2)
	v_cndmask_b32_e64 v21, 0, 0x37000000, s5
	v_cmp_neq_f32_e64 s5, 0x7f800000, |v19|
	v_sub_f32_e32 v22, v19, v21
	s_delay_alu instid0(VALU_DEP_2) | instskip(NEXT) | instid1(VALU_DEP_2)
	v_cndmask_b32_e64 v14, 0, v14, s5
	v_mul_f32_e32 v23, 0x3fb8aa3b, v22
	s_delay_alu instid0(VALU_DEP_2) | instskip(SKIP_2) | instid1(VALU_DEP_4)
	v_add_f32_e32 v14, v21, v14
	v_cmp_ngt_f32_e64 s5, 0xc2ce8ed0, v22
	v_cmp_nlt_f32_e64 s6, 0x42b17218, v22
	v_fma_f32 v24, 0x3fb8aa3b, v22, -v23
	v_rndne_f32_e32 v25, v23
	s_delay_alu instid0(VALU_DEP_1) | instskip(SKIP_1) | instid1(VALU_DEP_2)
	v_dual_fmac_f32 v24, 0x32a5705f, v22 :: v_dual_sub_f32 v23, v23, v25
	v_cvt_i32_f32_e32 v20, v25
	v_add_f32_e32 v23, v23, v24
	s_delay_alu instid0(VALU_DEP_1) | instskip(SKIP_3) | instid1(VALU_DEP_2)
	v_exp_f32_e32 v23, v23
	s_waitcnt_depctr 0xfff
	v_ldexp_f32 v20, v23, v20
	v_mul_f32_e32 v23, 0.5, v16
	v_cndmask_b32_e64 v19, 0, v20, s5
	s_delay_alu instid0(VALU_DEP_2) | instskip(SKIP_1) | instid1(VALU_DEP_3)
	v_trunc_f32_e32 v20, v23
	v_cmp_eq_f32_e64 s5, v15, v16
	v_cndmask_b32_e64 v15, 0x7f800000, v19, s6
	s_delay_alu instid0(VALU_DEP_3) | instskip(SKIP_1) | instid1(VALU_DEP_3)
	v_cmp_neq_f32_e64 s6, v20, v23
	v_cndmask_b32_e64 v19, |s26|, 1.0, s4
	v_fma_f32 v14, v15, v14, v15
	s_delay_alu instid0(VALU_DEP_3) | instskip(SKIP_4) | instid1(VALU_DEP_1)
	s_and_b32 s4, s5, s6
	v_cmp_gt_f32_e64 s6, 1.0, v18
	v_cndmask_b32_e64 v20, 0, v17, s4
	v_cndmask_b32_e64 v21, 1.0, v17, s4
	v_cmp_class_f32_e64 s4, v15, 0x204
	v_cndmask_b32_e64 v14, v14, v15, s4
	v_cmp_neq_f32_e64 s4, v16, v19
	s_delay_alu instid0(VALU_DEP_2) | instskip(NEXT) | instid1(VALU_DEP_2)
	v_bfi_b32 v14, 0x7fffffff, v14, v21
	s_xor_b32 s4, s4, s6
	s_delay_alu instid0(SALU_CYCLE_1) | instskip(SKIP_1) | instid1(VALU_DEP_2)
	v_cndmask_b32_e64 v15, v19, 0, s4
	s_xor_b32 s4, s7, s8
	v_cndmask_b32_e64 v21, 0x7fc00000, v14, s5
	v_cndmask_b32_e64 v22, 0x7f800000, 0, s4
	v_cmp_eq_f32_e64 s4, 1.0, v18
	v_cmp_eq_f32_e64 s5, 0x7f800000, v19
	s_delay_alu instid0(VALU_DEP_2) | instskip(SKIP_1) | instid1(VALU_DEP_1)
	v_cndmask_b32_e64 v15, v15, v18, s4
	v_cmp_gt_f32_e64 s4, 0, v17
	v_cndmask_b32_e64 v14, v14, v21, s4
	v_cmp_eq_f32_e64 s4, 0x7f800000, v18
	v_bfi_b32 v18, 0x7fffffff, v22, v20
	s_delay_alu instid0(VALU_DEP_3) | instskip(NEXT) | instid1(VALU_DEP_3)
	v_cndmask_b32_e64 v14, v14, v15, s5
	s_or_b32 s4, s4, s8
	s_delay_alu instid0(VALU_DEP_1) | instid1(SALU_CYCLE_1)
	v_cndmask_b32_e64 v14, v14, v18, s4
	v_cmp_o_f32_e64 s4, v17, v16
	s_delay_alu instid0(VALU_DEP_1) | instskip(NEXT) | instid1(VALU_DEP_1)
	v_cndmask_b32_e64 v14, 0x7fc00000, v14, s4
	v_bfe_u32 v15, v14, 16, 1
	v_cmp_o_f32_e64 s4, v14, v14
	s_delay_alu instid0(VALU_DEP_2) | instskip(NEXT) | instid1(VALU_DEP_1)
	v_add3_u32 v15, v14, v15, 0x7fff
	v_lshrrev_b32_e32 v15, 16, v15
	s_delay_alu instid0(VALU_DEP_1)
	v_cndmask_b32_e64 v14, 0x7fc0, v15, s4
	global_store_b16 v[1:2], v14, off
	s_or_b32 exec_lo, exec_lo, s21
	s_and_saveexec_b32 s8, s3
	s_cbranch_execz .LBB84_13
.LBB84_17:                              ;   in Loop: Header=BB84_4 Depth=1
	s_waitcnt vmcnt(0)
	v_lshlrev_b32_e32 v15, 16, v13
	s_delay_alu instid0(VALU_DEP_1) | instskip(NEXT) | instid1(VALU_DEP_1)
	v_cmp_eq_f32_e64 s4, 1.0, v15
	v_cndmask_b32_e64 v16, s26, 1.0, s4
	s_delay_alu instid0(VALU_DEP_1) | instskip(SKIP_1) | instid1(VALU_DEP_2)
	v_cmp_eq_f32_e64 s3, 0, v16
	v_cmp_gt_f32_e64 s7, 0, v16
	v_cndmask_b32_e64 v17, |v15|, 1.0, s3
	s_delay_alu instid0(VALU_DEP_1) | instskip(NEXT) | instid1(VALU_DEP_1)
	v_frexp_mant_f32_e32 v13, v17
	v_cmp_gt_f32_e64 s5, 0x3f2aaaab, v13
	s_delay_alu instid0(VALU_DEP_1) | instskip(NEXT) | instid1(VALU_DEP_1)
	v_cndmask_b32_e64 v14, 1.0, 2.0, s5
	v_mul_f32_e32 v13, v13, v14
	s_delay_alu instid0(VALU_DEP_1) | instskip(SKIP_1) | instid1(VALU_DEP_2)
	v_add_f32_e32 v14, 1.0, v13
	v_add_f32_e32 v19, -1.0, v13
	v_rcp_f32_e32 v18, v14
	s_waitcnt_depctr 0xfff
	v_mul_f32_e32 v20, v19, v18
	s_delay_alu instid0(VALU_DEP_1) | instskip(NEXT) | instid1(VALU_DEP_1)
	v_dual_add_f32 v21, -1.0, v14 :: v_dual_mul_f32 v22, v14, v20
	v_sub_f32_e32 v13, v13, v21
	s_delay_alu instid0(VALU_DEP_2) | instskip(NEXT) | instid1(VALU_DEP_1)
	v_fma_f32 v14, v20, v14, -v22
	v_fmac_f32_e32 v14, v20, v13
	s_delay_alu instid0(VALU_DEP_1) | instskip(NEXT) | instid1(VALU_DEP_1)
	v_add_f32_e32 v13, v22, v14
	v_dual_sub_f32 v22, v13, v22 :: v_dual_sub_f32 v21, v19, v13
	s_delay_alu instid0(VALU_DEP_1) | instskip(NEXT) | instid1(VALU_DEP_1)
	v_dual_sub_f32 v14, v22, v14 :: v_dual_sub_f32 v19, v19, v21
	v_sub_f32_e32 v13, v19, v13
	s_delay_alu instid0(VALU_DEP_1) | instskip(NEXT) | instid1(VALU_DEP_1)
	v_add_f32_e32 v13, v14, v13
	v_add_f32_e32 v13, v21, v13
	s_delay_alu instid0(VALU_DEP_1) | instskip(NEXT) | instid1(VALU_DEP_1)
	v_mul_f32_e32 v13, v18, v13
	v_add_f32_e32 v18, v20, v13
	s_delay_alu instid0(VALU_DEP_1) | instskip(SKIP_1) | instid1(VALU_DEP_2)
	v_sub_f32_e32 v14, v18, v20
	v_mul_f32_e32 v19, v18, v18
	v_sub_f32_e32 v20, v13, v14
	s_delay_alu instid0(VALU_DEP_2) | instskip(NEXT) | instid1(VALU_DEP_2)
	v_fma_f32 v21, v18, v18, -v19
	v_add_f32_e32 v13, v20, v20
	s_delay_alu instid0(VALU_DEP_1) | instskip(SKIP_1) | instid1(VALU_DEP_2)
	v_fmac_f32_e32 v21, v18, v13
	v_cvt_f64_f32_e32 v[13:14], v17
	v_add_f32_e32 v22, v19, v21
	s_delay_alu instid0(VALU_DEP_1) | instskip(SKIP_2) | instid1(VALU_DEP_3)
	v_fmaak_f32 v23, s20, v22, 0x3e91f4c4
	v_sub_f32_e32 v19, v22, v19
	v_mul_f32_e32 v26, v18, v22
	v_fmaak_f32 v23, v22, v23, 0x3ecccdef
	s_delay_alu instid0(VALU_DEP_3) | instskip(NEXT) | instid1(VALU_DEP_2)
	v_sub_f32_e32 v19, v21, v19
	v_mul_f32_e32 v24, v22, v23
	s_delay_alu instid0(VALU_DEP_1) | instskip(NEXT) | instid1(VALU_DEP_1)
	v_fma_f32 v21, v22, v23, -v24
	v_fmac_f32_e32 v21, v19, v23
	s_delay_alu instid0(VALU_DEP_1) | instskip(SKIP_1) | instid1(VALU_DEP_2)
	v_add_f32_e32 v23, v24, v21
	v_frexp_exp_i32_f64_e32 v13, v[13:14]
	v_sub_f32_e32 v24, v23, v24
	s_delay_alu instid0(VALU_DEP_1) | instskip(SKIP_1) | instid1(VALU_DEP_2)
	v_sub_f32_e32 v14, v21, v24
	v_fma_f32 v24, v22, v18, -v26
	v_add_f32_e32 v14, 0x31739010, v14
	s_delay_alu instid0(VALU_DEP_2) | instskip(SKIP_1) | instid1(VALU_DEP_2)
	v_dual_add_f32 v25, 0x3f2aaaaa, v23 :: v_dual_fmac_f32 v24, v22, v20
	v_ldexp_f32 v20, v20, 1
	v_dual_add_f32 v21, 0xbf2aaaaa, v25 :: v_dual_fmac_f32 v24, v19, v18
	s_delay_alu instid0(VALU_DEP_1) | instskip(NEXT) | instid1(VALU_DEP_1)
	v_sub_f32_e32 v21, v23, v21
	v_add_f32_e32 v14, v14, v21
	s_delay_alu instid0(VALU_DEP_3) | instskip(NEXT) | instid1(VALU_DEP_2)
	v_add_f32_e32 v21, v26, v24
	v_add_f32_e32 v19, v25, v14
	s_delay_alu instid0(VALU_DEP_1) | instskip(NEXT) | instid1(VALU_DEP_3)
	v_sub_f32_e32 v22, v25, v19
	v_mul_f32_e32 v23, v21, v19
	v_subrev_co_ci_u32_e64 v13, s5, 0, v13, s5
	s_delay_alu instid0(VALU_DEP_3) | instskip(NEXT) | instid1(VALU_DEP_3)
	v_add_f32_e32 v14, v14, v22
	v_fma_f32 v22, v21, v19, -v23
	s_delay_alu instid0(VALU_DEP_3) | instskip(SKIP_1) | instid1(VALU_DEP_3)
	v_cvt_f32_i32_e32 v13, v13
	v_sub_f32_e32 v25, v21, v26
	v_fmac_f32_e32 v22, v21, v14
	v_ldexp_f32 v14, v18, 1
	s_delay_alu instid0(VALU_DEP_3) | instskip(NEXT) | instid1(VALU_DEP_1)
	v_sub_f32_e32 v24, v24, v25
	v_fmac_f32_e32 v22, v24, v19
	s_delay_alu instid0(VALU_DEP_1) | instskip(NEXT) | instid1(VALU_DEP_1)
	v_add_f32_e32 v18, v23, v22
	v_add_f32_e32 v19, v14, v18
	s_delay_alu instid0(VALU_DEP_1) | instskip(NEXT) | instid1(VALU_DEP_1)
	v_dual_sub_f32 v14, v19, v14 :: v_dual_sub_f32 v21, v18, v23
	v_dual_mul_f32 v23, 0x3f317218, v13 :: v_dual_sub_f32 v14, v18, v14
	s_delay_alu instid0(VALU_DEP_2) | instskip(NEXT) | instid1(VALU_DEP_2)
	v_sub_f32_e32 v21, v22, v21
	v_fma_f32 v22, 0x3f317218, v13, -v23
	s_delay_alu instid0(VALU_DEP_2) | instskip(NEXT) | instid1(VALU_DEP_1)
	v_add_f32_e32 v18, v20, v21
	v_dual_fmac_f32 v22, 0xb102e308, v13 :: v_dual_add_f32 v13, v18, v14
	s_delay_alu instid0(VALU_DEP_1) | instskip(NEXT) | instid1(VALU_DEP_2)
	v_add_f32_e32 v14, v23, v22
	v_add_f32_e32 v18, v19, v13
	s_delay_alu instid0(VALU_DEP_1) | instskip(SKIP_1) | instid1(VALU_DEP_1)
	v_add_f32_e32 v20, v14, v18
	v_sub_f32_e32 v23, v14, v23
	v_dual_sub_f32 v21, v20, v14 :: v_dual_sub_f32 v22, v22, v23
	s_delay_alu instid0(VALU_DEP_1) | instskip(NEXT) | instid1(VALU_DEP_1)
	v_dual_sub_f32 v24, v20, v21 :: v_dual_sub_f32 v19, v18, v19
	v_dual_sub_f32 v18, v18, v21 :: v_dual_sub_f32 v13, v13, v19
	s_delay_alu instid0(VALU_DEP_2) | instskip(NEXT) | instid1(VALU_DEP_2)
	v_sub_f32_e32 v14, v14, v24
	v_add_f32_e32 v19, v22, v13
	s_delay_alu instid0(VALU_DEP_2) | instskip(NEXT) | instid1(VALU_DEP_2)
	v_add_f32_e32 v14, v18, v14
	v_sub_f32_e32 v18, v19, v22
	s_delay_alu instid0(VALU_DEP_2) | instskip(NEXT) | instid1(VALU_DEP_2)
	v_add_f32_e32 v14, v19, v14
	v_sub_f32_e32 v19, v19, v18
	s_delay_alu instid0(VALU_DEP_2) | instskip(NEXT) | instid1(VALU_DEP_2)
	v_add_f32_e32 v21, v20, v14
	v_dual_sub_f32 v13, v13, v18 :: v_dual_sub_f32 v18, v22, v19
	s_delay_alu instid0(VALU_DEP_2) | instskip(NEXT) | instid1(VALU_DEP_1)
	v_sub_f32_e32 v19, v21, v20
	v_dual_add_f32 v13, v13, v18 :: v_dual_sub_f32 v14, v14, v19
	s_delay_alu instid0(VALU_DEP_1) | instskip(NEXT) | instid1(VALU_DEP_1)
	v_add_f32_e32 v13, v13, v14
	v_add_f32_e32 v14, v21, v13
	s_delay_alu instid0(VALU_DEP_1) | instskip(NEXT) | instid1(VALU_DEP_1)
	v_dual_sub_f32 v18, v14, v21 :: v_dual_mul_f32 v19, v16, v14
	v_sub_f32_e32 v13, v13, v18
	s_delay_alu instid0(VALU_DEP_2) | instskip(SKIP_1) | instid1(VALU_DEP_2)
	v_fma_f32 v14, v16, v14, -v19
	v_cmp_class_f32_e64 s5, v19, 0x204
	v_fmac_f32_e32 v14, v16, v13
	s_delay_alu instid0(VALU_DEP_1) | instskip(NEXT) | instid1(VALU_DEP_1)
	v_add_f32_e32 v13, v19, v14
	v_cndmask_b32_e64 v18, v13, v19, s5
	s_delay_alu instid0(VALU_DEP_1) | instskip(NEXT) | instid1(VALU_DEP_1)
	v_cmp_eq_f32_e64 s5, 0x42b17218, v18
	v_cndmask_b32_e64 v20, 0, 0x37000000, s5
	v_cmp_neq_f32_e64 s5, 0x7f800000, |v18|
	s_delay_alu instid0(VALU_DEP_2) | instskip(NEXT) | instid1(VALU_DEP_1)
	v_sub_f32_e32 v21, v18, v20
	v_mul_f32_e32 v22, 0x3fb8aa3b, v21
	s_delay_alu instid0(VALU_DEP_1) | instskip(SKIP_1) | instid1(VALU_DEP_1)
	v_fma_f32 v23, 0x3fb8aa3b, v21, -v22
	v_rndne_f32_e32 v24, v22
	v_dual_fmac_f32 v23, 0x32a5705f, v21 :: v_dual_sub_f32 v22, v22, v24
	v_sub_f32_e32 v13, v13, v19
	v_cvt_i32_f32_e32 v19, v24
	s_delay_alu instid0(VALU_DEP_3) | instskip(NEXT) | instid1(VALU_DEP_3)
	v_add_f32_e32 v22, v22, v23
	v_sub_f32_e32 v13, v14, v13
	v_trunc_f32_e32 v14, v16
	s_delay_alu instid0(VALU_DEP_3) | instskip(NEXT) | instid1(VALU_DEP_2)
	v_exp_f32_e32 v22, v22
	v_cndmask_b32_e64 v13, 0, v13, s5
	v_cmp_ngt_f32_e64 s5, 0xc2ce8ed0, v21
	s_delay_alu instid0(VALU_DEP_2) | instskip(SKIP_3) | instid1(VALU_DEP_2)
	v_add_f32_e32 v13, v20, v13
	s_waitcnt_depctr 0xfff
	v_ldexp_f32 v19, v22, v19
	v_mul_f32_e32 v22, 0.5, v16
	v_cndmask_b32_e64 v18, 0, v19, s5
	v_cndmask_b32_e64 v19, |s26|, 1.0, s4
	v_cmp_nlt_f32_e64 s4, 0x42b17218, v21
	s_delay_alu instid0(VALU_DEP_4) | instskip(NEXT) | instid1(VALU_DEP_2)
	v_trunc_f32_e32 v23, v22
	v_cndmask_b32_e64 v18, 0x7f800000, v18, s4
	v_cmp_eq_f32_e64 s4, v14, v16
	s_delay_alu instid0(VALU_DEP_3)
	v_cmp_neq_f32_e64 s5, v23, v22
	v_cndmask_b32_e64 v14, v15, 1.0, s3
	v_cmp_neq_f32_e64 s3, v16, v19
	v_fma_f32 v13, v18, v13, v18
	v_cmp_class_f32_e64 s6, v18, 0x204
	s_and_b32 s5, s4, s5
	s_delay_alu instid0(SALU_CYCLE_1) | instskip(NEXT) | instid1(VALU_DEP_2)
	v_cndmask_b32_e64 v15, 1.0, v14, s5
	v_cndmask_b32_e64 v13, v13, v18, s6
	v_cmp_gt_f32_e64 s6, 1.0, v17
	s_delay_alu instid0(VALU_DEP_2) | instskip(NEXT) | instid1(VALU_DEP_2)
	v_bfi_b32 v13, 0x7fffffff, v13, v15
	s_xor_b32 s3, s3, s6
	s_delay_alu instid0(SALU_CYCLE_1) | instskip(SKIP_1) | instid1(VALU_DEP_3)
	v_cndmask_b32_e64 v15, v19, 0, s3
	v_cmp_eq_f32_e64 s3, 0, v14
	v_cndmask_b32_e64 v18, 0x7fc00000, v13, s4
	v_cmp_eq_f32_e64 s4, 1.0, v17
	s_delay_alu instid0(VALU_DEP_1) | instskip(NEXT) | instid1(VALU_DEP_4)
	v_cndmask_b32_e64 v15, v15, v17, s4
	s_xor_b32 s4, s7, s3
	s_delay_alu instid0(SALU_CYCLE_1) | instskip(SKIP_1) | instid1(VALU_DEP_1)
	v_cndmask_b32_e64 v20, 0x7f800000, 0, s4
	v_cmp_gt_f32_e64 s4, 0, v14
	v_cndmask_b32_e64 v13, v13, v18, s4
	v_cndmask_b32_e64 v18, 0, v14, s5
	v_cmp_eq_f32_e64 s5, 0x7f800000, v19
	v_cmp_eq_f32_e64 s4, 0x7f800000, v17
	s_delay_alu instid0(VALU_DEP_2) | instskip(NEXT) | instid1(VALU_DEP_4)
	v_cndmask_b32_e64 v13, v13, v15, s5
	v_bfi_b32 v15, 0x7fffffff, v20, v18
	s_delay_alu instid0(VALU_DEP_3)
	s_or_b32 s3, s4, s3
	s_delay_alu instid0(VALU_DEP_1) | instid1(SALU_CYCLE_1)
	v_cndmask_b32_e64 v13, v13, v15, s3
	v_cmp_o_f32_e64 s3, v14, v16
	s_delay_alu instid0(VALU_DEP_1) | instskip(NEXT) | instid1(VALU_DEP_1)
	v_cndmask_b32_e64 v13, 0x7fc00000, v13, s3
	v_bfe_u32 v14, v13, 16, 1
	v_cmp_o_f32_e64 s3, v13, v13
	s_delay_alu instid0(VALU_DEP_2) | instskip(NEXT) | instid1(VALU_DEP_1)
	v_add3_u32 v14, v13, v14, 0x7fff
	v_lshrrev_b32_e32 v14, 16, v14
	s_delay_alu instid0(VALU_DEP_1)
	v_cndmask_b32_e64 v13, 0x7fc0, v14, s3
	global_store_b16 v[3:4], v13, off
	s_or_b32 exec_lo, exec_lo, s8
	s_and_saveexec_b32 s7, s2
	s_cbranch_execz .LBB84_14
.LBB84_18:                              ;   in Loop: Header=BB84_4 Depth=1
	s_waitcnt vmcnt(0)
	v_lshlrev_b32_e32 v14, 16, v12
	s_delay_alu instid0(VALU_DEP_1) | instskip(NEXT) | instid1(VALU_DEP_1)
	v_cmp_eq_f32_e64 s3, 1.0, v14
	v_cndmask_b32_e64 v15, s26, 1.0, s3
	s_delay_alu instid0(VALU_DEP_1) | instskip(NEXT) | instid1(VALU_DEP_1)
	v_cmp_eq_f32_e64 s2, 0, v15
	v_cndmask_b32_e64 v16, |v14|, 1.0, s2
	s_delay_alu instid0(VALU_DEP_1) | instskip(SKIP_1) | instid1(VALU_DEP_2)
	v_frexp_mant_f32_e32 v12, v16
	v_cmp_gt_f32_e64 s5, 1.0, v16
	v_cmp_gt_f32_e64 s4, 0x3f2aaaab, v12
	s_delay_alu instid0(VALU_DEP_1) | instskip(NEXT) | instid1(VALU_DEP_1)
	v_cndmask_b32_e64 v13, 1.0, 2.0, s4
	v_mul_f32_e32 v12, v12, v13
	s_delay_alu instid0(VALU_DEP_1) | instskip(SKIP_1) | instid1(VALU_DEP_2)
	v_add_f32_e32 v13, 1.0, v12
	v_add_f32_e32 v18, -1.0, v12
	v_rcp_f32_e32 v17, v13
	s_waitcnt_depctr 0xfff
	v_mul_f32_e32 v19, v18, v17
	s_delay_alu instid0(VALU_DEP_1) | instskip(NEXT) | instid1(VALU_DEP_1)
	v_dual_add_f32 v20, -1.0, v13 :: v_dual_mul_f32 v21, v13, v19
	v_sub_f32_e32 v12, v12, v20
	s_delay_alu instid0(VALU_DEP_2) | instskip(NEXT) | instid1(VALU_DEP_1)
	v_fma_f32 v13, v19, v13, -v21
	v_fmac_f32_e32 v13, v19, v12
	s_delay_alu instid0(VALU_DEP_1) | instskip(NEXT) | instid1(VALU_DEP_1)
	v_add_f32_e32 v12, v21, v13
	v_dual_sub_f32 v21, v12, v21 :: v_dual_sub_f32 v20, v18, v12
	s_delay_alu instid0(VALU_DEP_1) | instskip(NEXT) | instid1(VALU_DEP_1)
	v_dual_sub_f32 v13, v21, v13 :: v_dual_sub_f32 v18, v18, v20
	v_sub_f32_e32 v12, v18, v12
	s_delay_alu instid0(VALU_DEP_1) | instskip(NEXT) | instid1(VALU_DEP_1)
	v_add_f32_e32 v12, v13, v12
	v_add_f32_e32 v12, v20, v12
	s_delay_alu instid0(VALU_DEP_1) | instskip(NEXT) | instid1(VALU_DEP_1)
	v_mul_f32_e32 v12, v17, v12
	v_add_f32_e32 v17, v19, v12
	s_delay_alu instid0(VALU_DEP_1) | instskip(SKIP_1) | instid1(VALU_DEP_2)
	v_sub_f32_e32 v13, v17, v19
	v_mul_f32_e32 v18, v17, v17
	v_sub_f32_e32 v19, v12, v13
	s_delay_alu instid0(VALU_DEP_2) | instskip(NEXT) | instid1(VALU_DEP_2)
	v_fma_f32 v20, v17, v17, -v18
	v_add_f32_e32 v12, v19, v19
	s_delay_alu instid0(VALU_DEP_1) | instskip(SKIP_1) | instid1(VALU_DEP_2)
	v_fmac_f32_e32 v20, v17, v12
	v_cvt_f64_f32_e32 v[12:13], v16
	v_add_f32_e32 v21, v18, v20
	s_delay_alu instid0(VALU_DEP_1) | instskip(SKIP_2) | instid1(VALU_DEP_3)
	v_fmaak_f32 v22, s20, v21, 0x3e91f4c4
	v_sub_f32_e32 v18, v21, v18
	v_mul_f32_e32 v25, v17, v21
	v_fmaak_f32 v22, v21, v22, 0x3ecccdef
	s_delay_alu instid0(VALU_DEP_3) | instskip(NEXT) | instid1(VALU_DEP_2)
	v_sub_f32_e32 v18, v20, v18
	v_mul_f32_e32 v23, v21, v22
	s_delay_alu instid0(VALU_DEP_1) | instskip(NEXT) | instid1(VALU_DEP_1)
	v_fma_f32 v20, v21, v22, -v23
	v_fmac_f32_e32 v20, v18, v22
	s_delay_alu instid0(VALU_DEP_1) | instskip(SKIP_1) | instid1(VALU_DEP_2)
	v_add_f32_e32 v22, v23, v20
	v_frexp_exp_i32_f64_e32 v12, v[12:13]
	v_sub_f32_e32 v23, v22, v23
	s_delay_alu instid0(VALU_DEP_1) | instskip(SKIP_1) | instid1(VALU_DEP_2)
	v_sub_f32_e32 v13, v20, v23
	v_fma_f32 v23, v21, v17, -v25
	v_add_f32_e32 v13, 0x31739010, v13
	s_delay_alu instid0(VALU_DEP_2) | instskip(SKIP_1) | instid1(VALU_DEP_2)
	v_dual_add_f32 v24, 0x3f2aaaaa, v22 :: v_dual_fmac_f32 v23, v21, v19
	v_ldexp_f32 v19, v19, 1
	v_dual_add_f32 v20, 0xbf2aaaaa, v24 :: v_dual_fmac_f32 v23, v18, v17
	s_delay_alu instid0(VALU_DEP_1) | instskip(NEXT) | instid1(VALU_DEP_1)
	v_sub_f32_e32 v20, v22, v20
	v_add_f32_e32 v13, v13, v20
	s_delay_alu instid0(VALU_DEP_3) | instskip(NEXT) | instid1(VALU_DEP_2)
	v_add_f32_e32 v20, v25, v23
	v_add_f32_e32 v18, v24, v13
	s_delay_alu instid0(VALU_DEP_1) | instskip(NEXT) | instid1(VALU_DEP_3)
	v_sub_f32_e32 v21, v24, v18
	v_mul_f32_e32 v22, v20, v18
	v_subrev_co_ci_u32_e64 v12, s4, 0, v12, s4
	s_delay_alu instid0(VALU_DEP_3) | instskip(NEXT) | instid1(VALU_DEP_3)
	v_add_f32_e32 v13, v13, v21
	v_fma_f32 v21, v20, v18, -v22
	s_delay_alu instid0(VALU_DEP_3) | instskip(SKIP_1) | instid1(VALU_DEP_3)
	v_cvt_f32_i32_e32 v12, v12
	v_sub_f32_e32 v24, v20, v25
	v_fmac_f32_e32 v21, v20, v13
	v_ldexp_f32 v13, v17, 1
	s_delay_alu instid0(VALU_DEP_3) | instskip(NEXT) | instid1(VALU_DEP_1)
	v_sub_f32_e32 v23, v23, v24
	v_fmac_f32_e32 v21, v23, v18
	s_delay_alu instid0(VALU_DEP_1) | instskip(NEXT) | instid1(VALU_DEP_1)
	v_add_f32_e32 v17, v22, v21
	v_add_f32_e32 v18, v13, v17
	s_delay_alu instid0(VALU_DEP_1) | instskip(NEXT) | instid1(VALU_DEP_1)
	v_dual_sub_f32 v13, v18, v13 :: v_dual_sub_f32 v20, v17, v22
	v_dual_mul_f32 v22, 0x3f317218, v12 :: v_dual_sub_f32 v13, v17, v13
	s_delay_alu instid0(VALU_DEP_2) | instskip(NEXT) | instid1(VALU_DEP_2)
	v_sub_f32_e32 v20, v21, v20
	v_fma_f32 v21, 0x3f317218, v12, -v22
	s_delay_alu instid0(VALU_DEP_2) | instskip(NEXT) | instid1(VALU_DEP_1)
	v_add_f32_e32 v17, v19, v20
	v_dual_fmac_f32 v21, 0xb102e308, v12 :: v_dual_add_f32 v12, v17, v13
	s_delay_alu instid0(VALU_DEP_1) | instskip(NEXT) | instid1(VALU_DEP_2)
	v_add_f32_e32 v13, v22, v21
	v_add_f32_e32 v17, v18, v12
	s_delay_alu instid0(VALU_DEP_1) | instskip(SKIP_1) | instid1(VALU_DEP_1)
	v_add_f32_e32 v19, v13, v17
	v_sub_f32_e32 v22, v13, v22
	v_dual_sub_f32 v20, v19, v13 :: v_dual_sub_f32 v21, v21, v22
	s_delay_alu instid0(VALU_DEP_1) | instskip(NEXT) | instid1(VALU_DEP_1)
	v_dual_sub_f32 v23, v19, v20 :: v_dual_sub_f32 v18, v17, v18
	v_dual_sub_f32 v17, v17, v20 :: v_dual_sub_f32 v12, v12, v18
	s_delay_alu instid0(VALU_DEP_2) | instskip(NEXT) | instid1(VALU_DEP_2)
	v_sub_f32_e32 v13, v13, v23
	v_add_f32_e32 v18, v21, v12
	s_delay_alu instid0(VALU_DEP_2) | instskip(NEXT) | instid1(VALU_DEP_2)
	v_add_f32_e32 v13, v17, v13
	v_sub_f32_e32 v17, v18, v21
	s_delay_alu instid0(VALU_DEP_2) | instskip(NEXT) | instid1(VALU_DEP_2)
	v_add_f32_e32 v13, v18, v13
	v_sub_f32_e32 v18, v18, v17
	s_delay_alu instid0(VALU_DEP_2) | instskip(NEXT) | instid1(VALU_DEP_2)
	v_add_f32_e32 v20, v19, v13
	v_dual_sub_f32 v12, v12, v17 :: v_dual_sub_f32 v17, v21, v18
	s_delay_alu instid0(VALU_DEP_2) | instskip(NEXT) | instid1(VALU_DEP_1)
	v_sub_f32_e32 v18, v20, v19
	v_dual_add_f32 v12, v12, v17 :: v_dual_sub_f32 v13, v13, v18
	s_delay_alu instid0(VALU_DEP_1) | instskip(NEXT) | instid1(VALU_DEP_1)
	v_add_f32_e32 v12, v12, v13
	v_add_f32_e32 v13, v20, v12
	s_delay_alu instid0(VALU_DEP_1) | instskip(NEXT) | instid1(VALU_DEP_1)
	v_dual_sub_f32 v17, v13, v20 :: v_dual_mul_f32 v18, v15, v13
	v_sub_f32_e32 v12, v12, v17
	s_delay_alu instid0(VALU_DEP_2) | instskip(SKIP_1) | instid1(VALU_DEP_2)
	v_fma_f32 v13, v15, v13, -v18
	v_cmp_class_f32_e64 s4, v18, 0x204
	v_fmac_f32_e32 v13, v15, v12
	s_delay_alu instid0(VALU_DEP_1) | instskip(NEXT) | instid1(VALU_DEP_1)
	v_add_f32_e32 v12, v18, v13
	v_cndmask_b32_e64 v17, v12, v18, s4
	s_delay_alu instid0(VALU_DEP_1) | instskip(NEXT) | instid1(VALU_DEP_1)
	v_cmp_eq_f32_e64 s4, 0x42b17218, v17
	v_cndmask_b32_e64 v19, 0, 0x37000000, s4
	v_cmp_neq_f32_e64 s4, 0x7f800000, |v17|
	s_delay_alu instid0(VALU_DEP_2) | instskip(NEXT) | instid1(VALU_DEP_1)
	v_sub_f32_e32 v20, v17, v19
	v_mul_f32_e32 v21, 0x3fb8aa3b, v20
	s_delay_alu instid0(VALU_DEP_1) | instskip(SKIP_1) | instid1(VALU_DEP_1)
	v_fma_f32 v22, 0x3fb8aa3b, v20, -v21
	v_rndne_f32_e32 v23, v21
	v_dual_fmac_f32 v22, 0x32a5705f, v20 :: v_dual_sub_f32 v21, v21, v23
	v_sub_f32_e32 v12, v12, v18
	v_cvt_i32_f32_e32 v18, v23
	s_delay_alu instid0(VALU_DEP_3) | instskip(NEXT) | instid1(VALU_DEP_3)
	v_add_f32_e32 v21, v21, v22
	v_sub_f32_e32 v12, v13, v12
	v_trunc_f32_e32 v13, v15
	s_delay_alu instid0(VALU_DEP_3) | instskip(NEXT) | instid1(VALU_DEP_2)
	v_exp_f32_e32 v21, v21
	v_cndmask_b32_e64 v12, 0, v12, s4
	v_cmp_ngt_f32_e64 s4, 0xc2ce8ed0, v20
	s_delay_alu instid0(VALU_DEP_2) | instskip(SKIP_3) | instid1(VALU_DEP_2)
	v_add_f32_e32 v12, v19, v12
	s_waitcnt_depctr 0xfff
	v_ldexp_f32 v18, v21, v18
	v_mul_f32_e32 v21, 0.5, v15
	v_cndmask_b32_e64 v17, 0, v18, s4
	v_cndmask_b32_e64 v18, |s26|, 1.0, s3
	v_cmp_nlt_f32_e64 s3, 0x42b17218, v20
	s_delay_alu instid0(VALU_DEP_4) | instskip(NEXT) | instid1(VALU_DEP_2)
	v_trunc_f32_e32 v22, v21
	v_cndmask_b32_e64 v17, 0x7f800000, v17, s3
	v_cmp_eq_f32_e64 s3, v13, v15
	s_delay_alu instid0(VALU_DEP_3)
	v_cmp_neq_f32_e64 s4, v22, v21
	v_cndmask_b32_e64 v13, v14, 1.0, s2
	v_cmp_neq_f32_e64 s2, v15, v18
	v_fma_f32 v12, v17, v12, v17
	v_cmp_class_f32_e64 s6, v17, 0x204
	s_and_b32 s4, s3, s4
	s_delay_alu instid0(SALU_CYCLE_1) | instskip(SKIP_1) | instid1(VALU_DEP_2)
	v_cndmask_b32_e64 v14, 1.0, v13, s4
	s_xor_b32 s2, s2, s5
	v_cndmask_b32_e64 v12, v12, v17, s6
	v_cmp_gt_f32_e64 s6, 0, v15
	v_cndmask_b32_e64 v17, v18, 0, s2
	v_cmp_eq_f32_e64 s2, 0, v13
	v_cmp_eq_f32_e64 s5, 1.0, v16
	v_bfi_b32 v12, 0x7fffffff, v12, v14
	v_cndmask_b32_e64 v20, 0, v13, s4
	v_cmp_eq_f32_e64 s4, 0x7f800000, v18
	s_delay_alu instid0(VALU_DEP_4) | instskip(NEXT) | instid1(VALU_DEP_4)
	v_cndmask_b32_e64 v14, v17, v16, s5
	v_cndmask_b32_e64 v17, 0x7fc00000, v12, s3
	s_xor_b32 s3, s6, s2
	s_delay_alu instid0(SALU_CYCLE_1) | instskip(SKIP_1) | instid1(VALU_DEP_1)
	v_cndmask_b32_e64 v19, 0x7f800000, 0, s3
	v_cmp_gt_f32_e64 s3, 0, v13
	v_cndmask_b32_e64 v12, v12, v17, s3
	v_cmp_eq_f32_e64 s3, 0x7f800000, v16
	s_delay_alu instid0(VALU_DEP_4) | instskip(NEXT) | instid1(VALU_DEP_3)
	v_bfi_b32 v16, 0x7fffffff, v19, v20
	v_cndmask_b32_e64 v12, v12, v14, s4
	s_delay_alu instid0(VALU_DEP_3)
	s_or_b32 s2, s3, s2
	s_delay_alu instid0(VALU_DEP_1) | instid1(SALU_CYCLE_1)
	v_cndmask_b32_e64 v12, v12, v16, s2
	v_cmp_o_f32_e64 s2, v13, v15
	s_delay_alu instid0(VALU_DEP_1) | instskip(NEXT) | instid1(VALU_DEP_1)
	v_cndmask_b32_e64 v12, 0x7fc00000, v12, s2
	v_bfe_u32 v13, v12, 16, 1
	v_cmp_o_f32_e64 s2, v12, v12
	s_delay_alu instid0(VALU_DEP_2) | instskip(NEXT) | instid1(VALU_DEP_1)
	v_add3_u32 v13, v12, v13, 0x7fff
	v_lshrrev_b32_e32 v13, 16, v13
	s_delay_alu instid0(VALU_DEP_1) | instskip(SKIP_1) | instid1(VALU_DEP_1)
	v_cndmask_b32_e64 v14, 0x7fc0, v13, s2
	v_add_co_u32 v12, s2, v1, s9
	v_add_co_ci_u32_e64 v13, s2, 0, v2, s2
	global_store_b16 v[12:13], v14, off
	s_or_b32 exec_lo, exec_lo, s7
	s_and_saveexec_b32 s6, vcc_lo
	s_cbranch_execz .LBB84_3
.LBB84_19:                              ;   in Loop: Header=BB84_4 Depth=1
	s_waitcnt vmcnt(0)
	v_lshlrev_b32_e32 v13, 16, v11
	s_delay_alu instid0(VALU_DEP_1) | instskip(NEXT) | instid1(VALU_DEP_1)
	v_cmp_eq_f32_e64 s2, 1.0, v13
	v_cndmask_b32_e64 v14, s26, 1.0, s2
	s_delay_alu instid0(VALU_DEP_1) | instskip(SKIP_1) | instid1(VALU_DEP_1)
	v_cmp_eq_f32_e32 vcc_lo, 0, v14
	v_cndmask_b32_e64 v15, |v13|, 1.0, vcc_lo
	v_frexp_mant_f32_e32 v11, v15
	v_cmp_gt_f32_e64 s4, 1.0, v15
	s_delay_alu instid0(VALU_DEP_2) | instskip(NEXT) | instid1(VALU_DEP_1)
	v_cmp_gt_f32_e64 s3, 0x3f2aaaab, v11
	v_cndmask_b32_e64 v12, 1.0, 2.0, s3
	s_delay_alu instid0(VALU_DEP_1) | instskip(NEXT) | instid1(VALU_DEP_1)
	v_mul_f32_e32 v11, v11, v12
	v_add_f32_e32 v12, 1.0, v11
	v_add_f32_e32 v17, -1.0, v11
	s_delay_alu instid0(VALU_DEP_2) | instskip(SKIP_2) | instid1(VALU_DEP_1)
	v_rcp_f32_e32 v16, v12
	s_waitcnt_depctr 0xfff
	v_mul_f32_e32 v18, v17, v16
	v_dual_add_f32 v19, -1.0, v12 :: v_dual_mul_f32 v20, v12, v18
	s_delay_alu instid0(VALU_DEP_1) | instskip(NEXT) | instid1(VALU_DEP_2)
	v_sub_f32_e32 v11, v11, v19
	v_fma_f32 v12, v18, v12, -v20
	s_delay_alu instid0(VALU_DEP_1) | instskip(NEXT) | instid1(VALU_DEP_1)
	v_fmac_f32_e32 v12, v18, v11
	v_add_f32_e32 v11, v20, v12
	s_delay_alu instid0(VALU_DEP_1) | instskip(NEXT) | instid1(VALU_DEP_1)
	v_dual_sub_f32 v20, v11, v20 :: v_dual_sub_f32 v19, v17, v11
	v_dual_sub_f32 v12, v20, v12 :: v_dual_sub_f32 v17, v17, v19
	s_delay_alu instid0(VALU_DEP_1) | instskip(NEXT) | instid1(VALU_DEP_1)
	v_sub_f32_e32 v11, v17, v11
	v_add_f32_e32 v11, v12, v11
	s_delay_alu instid0(VALU_DEP_1) | instskip(NEXT) | instid1(VALU_DEP_1)
	v_add_f32_e32 v11, v19, v11
	v_mul_f32_e32 v11, v16, v11
	s_delay_alu instid0(VALU_DEP_1) | instskip(NEXT) | instid1(VALU_DEP_1)
	v_add_f32_e32 v16, v18, v11
	v_sub_f32_e32 v12, v16, v18
	v_mul_f32_e32 v17, v16, v16
	s_delay_alu instid0(VALU_DEP_2) | instskip(NEXT) | instid1(VALU_DEP_2)
	v_sub_f32_e32 v18, v11, v12
	v_fma_f32 v19, v16, v16, -v17
	s_delay_alu instid0(VALU_DEP_2) | instskip(NEXT) | instid1(VALU_DEP_1)
	v_add_f32_e32 v11, v18, v18
	v_fmac_f32_e32 v19, v16, v11
	v_cvt_f64_f32_e32 v[11:12], v15
	s_delay_alu instid0(VALU_DEP_2) | instskip(NEXT) | instid1(VALU_DEP_1)
	v_add_f32_e32 v20, v17, v19
	v_fmaak_f32 v21, s20, v20, 0x3e91f4c4
	v_sub_f32_e32 v17, v20, v17
	v_mul_f32_e32 v24, v16, v20
	s_delay_alu instid0(VALU_DEP_3) | instskip(NEXT) | instid1(VALU_DEP_3)
	v_fmaak_f32 v21, v20, v21, 0x3ecccdef
	v_sub_f32_e32 v17, v19, v17
	s_delay_alu instid0(VALU_DEP_2) | instskip(NEXT) | instid1(VALU_DEP_1)
	v_mul_f32_e32 v22, v20, v21
	v_fma_f32 v19, v20, v21, -v22
	s_delay_alu instid0(VALU_DEP_1) | instskip(NEXT) | instid1(VALU_DEP_1)
	v_fmac_f32_e32 v19, v17, v21
	v_add_f32_e32 v21, v22, v19
	v_frexp_exp_i32_f64_e32 v11, v[11:12]
	s_delay_alu instid0(VALU_DEP_2) | instskip(NEXT) | instid1(VALU_DEP_1)
	v_sub_f32_e32 v22, v21, v22
	v_sub_f32_e32 v12, v19, v22
	v_fma_f32 v22, v20, v16, -v24
	s_delay_alu instid0(VALU_DEP_2) | instskip(NEXT) | instid1(VALU_DEP_2)
	v_add_f32_e32 v12, 0x31739010, v12
	v_dual_add_f32 v23, 0x3f2aaaaa, v21 :: v_dual_fmac_f32 v22, v20, v18
	v_ldexp_f32 v18, v18, 1
	s_delay_alu instid0(VALU_DEP_2) | instskip(NEXT) | instid1(VALU_DEP_1)
	v_dual_add_f32 v19, 0xbf2aaaaa, v23 :: v_dual_fmac_f32 v22, v17, v16
	v_sub_f32_e32 v19, v21, v19
	s_delay_alu instid0(VALU_DEP_1) | instskip(NEXT) | instid1(VALU_DEP_3)
	v_add_f32_e32 v12, v12, v19
	v_add_f32_e32 v19, v24, v22
	s_delay_alu instid0(VALU_DEP_2) | instskip(NEXT) | instid1(VALU_DEP_1)
	v_add_f32_e32 v17, v23, v12
	v_sub_f32_e32 v20, v23, v17
	s_delay_alu instid0(VALU_DEP_3) | instskip(SKIP_1) | instid1(VALU_DEP_3)
	v_mul_f32_e32 v21, v19, v17
	v_subrev_co_ci_u32_e64 v11, s3, 0, v11, s3
	v_add_f32_e32 v12, v12, v20
	s_delay_alu instid0(VALU_DEP_3) | instskip(NEXT) | instid1(VALU_DEP_3)
	v_fma_f32 v20, v19, v17, -v21
	v_cvt_f32_i32_e32 v11, v11
	v_sub_f32_e32 v23, v19, v24
	s_delay_alu instid0(VALU_DEP_3) | instskip(SKIP_1) | instid1(VALU_DEP_3)
	v_fmac_f32_e32 v20, v19, v12
	v_ldexp_f32 v12, v16, 1
	v_sub_f32_e32 v22, v22, v23
	s_delay_alu instid0(VALU_DEP_1) | instskip(NEXT) | instid1(VALU_DEP_1)
	v_fmac_f32_e32 v20, v22, v17
	v_add_f32_e32 v16, v21, v20
	s_delay_alu instid0(VALU_DEP_1) | instskip(NEXT) | instid1(VALU_DEP_1)
	v_add_f32_e32 v17, v12, v16
	v_dual_sub_f32 v12, v17, v12 :: v_dual_sub_f32 v19, v16, v21
	s_delay_alu instid0(VALU_DEP_1) | instskip(NEXT) | instid1(VALU_DEP_2)
	v_dual_mul_f32 v21, 0x3f317218, v11 :: v_dual_sub_f32 v12, v16, v12
	v_sub_f32_e32 v19, v20, v19
	s_delay_alu instid0(VALU_DEP_2) | instskip(NEXT) | instid1(VALU_DEP_2)
	v_fma_f32 v20, 0x3f317218, v11, -v21
	v_add_f32_e32 v16, v18, v19
	s_delay_alu instid0(VALU_DEP_1) | instskip(NEXT) | instid1(VALU_DEP_1)
	v_dual_fmac_f32 v20, 0xb102e308, v11 :: v_dual_add_f32 v11, v16, v12
	v_add_f32_e32 v12, v21, v20
	s_delay_alu instid0(VALU_DEP_2) | instskip(NEXT) | instid1(VALU_DEP_1)
	v_add_f32_e32 v16, v17, v11
	v_add_f32_e32 v18, v12, v16
	v_sub_f32_e32 v21, v12, v21
	s_delay_alu instid0(VALU_DEP_1) | instskip(NEXT) | instid1(VALU_DEP_1)
	v_dual_sub_f32 v19, v18, v12 :: v_dual_sub_f32 v20, v20, v21
	v_dual_sub_f32 v22, v18, v19 :: v_dual_sub_f32 v17, v16, v17
	s_delay_alu instid0(VALU_DEP_1) | instskip(NEXT) | instid1(VALU_DEP_2)
	v_dual_sub_f32 v16, v16, v19 :: v_dual_sub_f32 v11, v11, v17
	v_sub_f32_e32 v12, v12, v22
	s_delay_alu instid0(VALU_DEP_2) | instskip(NEXT) | instid1(VALU_DEP_2)
	v_add_f32_e32 v17, v20, v11
	v_add_f32_e32 v12, v16, v12
	s_delay_alu instid0(VALU_DEP_2) | instskip(NEXT) | instid1(VALU_DEP_2)
	v_sub_f32_e32 v16, v17, v20
	v_add_f32_e32 v12, v17, v12
	s_delay_alu instid0(VALU_DEP_2) | instskip(NEXT) | instid1(VALU_DEP_2)
	v_sub_f32_e32 v17, v17, v16
	v_add_f32_e32 v19, v18, v12
	s_delay_alu instid0(VALU_DEP_2) | instskip(NEXT) | instid1(VALU_DEP_2)
	v_dual_sub_f32 v11, v11, v16 :: v_dual_sub_f32 v16, v20, v17
	v_sub_f32_e32 v17, v19, v18
	s_delay_alu instid0(VALU_DEP_1) | instskip(NEXT) | instid1(VALU_DEP_1)
	v_dual_add_f32 v11, v11, v16 :: v_dual_sub_f32 v12, v12, v17
	v_add_f32_e32 v11, v11, v12
	s_delay_alu instid0(VALU_DEP_1) | instskip(NEXT) | instid1(VALU_DEP_1)
	v_add_f32_e32 v12, v19, v11
	v_dual_sub_f32 v16, v12, v19 :: v_dual_mul_f32 v17, v14, v12
	s_delay_alu instid0(VALU_DEP_1) | instskip(NEXT) | instid1(VALU_DEP_2)
	v_sub_f32_e32 v11, v11, v16
	v_fma_f32 v12, v14, v12, -v17
	v_cmp_class_f32_e64 s3, v17, 0x204
	s_delay_alu instid0(VALU_DEP_2) | instskip(NEXT) | instid1(VALU_DEP_1)
	v_fmac_f32_e32 v12, v14, v11
	v_add_f32_e32 v11, v17, v12
	s_delay_alu instid0(VALU_DEP_1) | instskip(NEXT) | instid1(VALU_DEP_1)
	v_cndmask_b32_e64 v16, v11, v17, s3
	v_cmp_eq_f32_e64 s3, 0x42b17218, v16
	s_delay_alu instid0(VALU_DEP_1) | instskip(SKIP_1) | instid1(VALU_DEP_2)
	v_cndmask_b32_e64 v18, 0, 0x37000000, s3
	v_cmp_neq_f32_e64 s3, 0x7f800000, |v16|
	v_sub_f32_e32 v19, v16, v18
	s_delay_alu instid0(VALU_DEP_1) | instskip(NEXT) | instid1(VALU_DEP_1)
	v_mul_f32_e32 v20, 0x3fb8aa3b, v19
	v_fma_f32 v21, 0x3fb8aa3b, v19, -v20
	v_rndne_f32_e32 v22, v20
	s_delay_alu instid0(VALU_DEP_1) | instskip(SKIP_2) | instid1(VALU_DEP_3)
	v_dual_fmac_f32 v21, 0x32a5705f, v19 :: v_dual_sub_f32 v20, v20, v22
	v_sub_f32_e32 v11, v11, v17
	v_cvt_i32_f32_e32 v17, v22
	v_add_f32_e32 v20, v20, v21
	s_delay_alu instid0(VALU_DEP_3) | instskip(SKIP_1) | instid1(VALU_DEP_3)
	v_sub_f32_e32 v11, v12, v11
	v_trunc_f32_e32 v12, v14
	v_exp_f32_e32 v20, v20
	s_delay_alu instid0(VALU_DEP_2) | instskip(SKIP_1) | instid1(VALU_DEP_2)
	v_cndmask_b32_e64 v11, 0, v11, s3
	v_cmp_ngt_f32_e64 s3, 0xc2ce8ed0, v19
	v_add_f32_e32 v11, v18, v11
	s_waitcnt_depctr 0xfff
	v_ldexp_f32 v17, v20, v17
	v_mul_f32_e32 v20, 0.5, v14
	s_delay_alu instid0(VALU_DEP_2) | instskip(SKIP_2) | instid1(VALU_DEP_4)
	v_cndmask_b32_e64 v16, 0, v17, s3
	v_cndmask_b32_e64 v17, |s26|, 1.0, s2
	v_cmp_nlt_f32_e64 s2, 0x42b17218, v19
	v_trunc_f32_e32 v21, v20
	s_delay_alu instid0(VALU_DEP_2) | instskip(SKIP_1) | instid1(VALU_DEP_3)
	v_cndmask_b32_e64 v16, 0x7f800000, v16, s2
	v_cmp_eq_f32_e64 s2, v12, v14
	v_cmp_neq_f32_e64 s3, v21, v20
	v_cndmask_b32_e64 v12, v13, 1.0, vcc_lo
	v_cmp_neq_f32_e32 vcc_lo, v14, v17
	v_fma_f32 v11, v16, v11, v16
	v_cmp_class_f32_e64 s5, v16, 0x204
	s_and_b32 s3, s2, s3
	s_delay_alu instid0(SALU_CYCLE_1) | instskip(SKIP_1) | instid1(VALU_DEP_2)
	v_cndmask_b32_e64 v13, 1.0, v12, s3
	s_xor_b32 s4, vcc_lo, s4
	v_cndmask_b32_e64 v11, v11, v16, s5
	v_cmp_gt_f32_e64 s5, 0, v14
	v_cndmask_b32_e64 v16, v17, 0, s4
	v_cmp_eq_f32_e32 vcc_lo, 0, v12
	v_cmp_eq_f32_e64 s4, 1.0, v15
	v_bfi_b32 v11, 0x7fffffff, v11, v13
	v_cndmask_b32_e64 v19, 0, v12, s3
	v_cmp_eq_f32_e64 s3, 0x7f800000, v17
	s_delay_alu instid0(VALU_DEP_4) | instskip(NEXT) | instid1(VALU_DEP_4)
	v_cndmask_b32_e64 v13, v16, v15, s4
	v_cndmask_b32_e64 v16, 0x7fc00000, v11, s2
	s_xor_b32 s2, s5, vcc_lo
	s_delay_alu instid0(SALU_CYCLE_1) | instskip(SKIP_1) | instid1(VALU_DEP_1)
	v_cndmask_b32_e64 v18, 0x7f800000, 0, s2
	v_cmp_gt_f32_e64 s2, 0, v12
	v_cndmask_b32_e64 v11, v11, v16, s2
	v_cmp_eq_f32_e64 s2, 0x7f800000, v15
	s_delay_alu instid0(VALU_DEP_4) | instskip(NEXT) | instid1(VALU_DEP_3)
	v_bfi_b32 v15, 0x7fffffff, v18, v19
	v_cndmask_b32_e64 v11, v11, v13, s3
	s_delay_alu instid0(VALU_DEP_3) | instskip(NEXT) | instid1(VALU_DEP_1)
	s_or_b32 vcc_lo, s2, vcc_lo
	v_cndmask_b32_e32 v11, v11, v15, vcc_lo
	v_cmp_o_f32_e32 vcc_lo, v12, v14
	s_delay_alu instid0(VALU_DEP_2) | instskip(NEXT) | instid1(VALU_DEP_1)
	v_cndmask_b32_e32 v11, 0x7fc00000, v11, vcc_lo
	v_bfe_u32 v12, v11, 16, 1
	v_cmp_o_f32_e32 vcc_lo, v11, v11
	s_delay_alu instid0(VALU_DEP_2) | instskip(NEXT) | instid1(VALU_DEP_1)
	v_add3_u32 v12, v11, v12, 0x7fff
	v_lshrrev_b32_e32 v12, 16, v12
	s_delay_alu instid0(VALU_DEP_1)
	v_cndmask_b32_e32 v13, 0x7fc0, v12, vcc_lo
	v_add_co_u32 v11, vcc_lo, v1, s19
	v_add_co_ci_u32_e32 v12, vcc_lo, 0, v2, vcc_lo
	global_store_b16 v[11:12], v13, off
	s_branch .LBB84_3
.LBB84_20:
	s_cbranch_execz .LBB84_22
	s_branch .LBB84_25
.LBB84_21:
.LBB84_22:
	v_dual_mov_b32 v2, 0 :: v_dual_lshlrev_b32 v1, 2, v0
	s_mov_b32 s27, 0
	s_mov_b32 s2, exec_lo
	s_delay_alu instid0(VALU_DEP_1)
	v_cmpx_gt_i64_e64 s[24:25], v[1:2]
	s_cbranch_execz .LBB84_25
; %bb.23:
	s_load_b32 s0, s[0:1], 0xdd4
	v_lshlrev_b32_e32 v1, 3, v0
	s_mov_b32 s30, 0x3e76c4e1
	s_waitcnt lgkmcnt(0)
	s_and_b32 s0, s0, 0xffff
	s_add_u32 s1, s10, s12
	s_addc_u32 s2, s11, s13
	v_add_co_u32 v3, s1, s1, v1
	s_delay_alu instid0(VALU_DEP_1)
	v_add_co_ci_u32_e64 v4, null, s2, 0, s1
	v_add_lshl_u32 v1, v0, s0, 2
	s_lshl_b32 s28, s0, 3
	s_lshl_b32 s29, s0, 2
.LBB84_24:                              ; =>This Inner Loop Header: Depth=1
	global_load_b64 v[5:6], v[3:4], off
	s_waitcnt vmcnt(0)
	v_and_b32_e32 v10, 0xffff0000, v5
	s_delay_alu instid0(VALU_DEP_1) | instskip(NEXT) | instid1(VALU_DEP_1)
	v_cmp_eq_f32_e64 s0, 1.0, v10
	v_cndmask_b32_e64 v0, s26, 1.0, s0
	v_lshlrev_b32_e32 v11, 16, v5
	v_alignbit_b32 v5, v6, v5, 16
	v_cndmask_b32_e64 v9, |s26|, 1.0, s0
	s_delay_alu instid0(VALU_DEP_4) | instskip(NEXT) | instid1(VALU_DEP_4)
	v_mul_f32_e32 v20, 0.5, v0
	v_cmp_eq_f32_e32 vcc_lo, 1.0, v11
	s_delay_alu instid0(VALU_DEP_4)
	v_and_b32_e32 v15, 0xffff0000, v5
	v_cmp_eq_f32_e64 s3, 0, v0
	v_cmp_neq_f32_e64 s9, v0, v9
	v_cmp_gt_f32_e64 s10, 0, v0
	v_cndmask_b32_e64 v8, |s26|, 1.0, vcc_lo
	v_cmp_eq_f32_e64 s4, 1.0, v15
	v_trunc_f32_e32 v19, v0
	s_delay_alu instid0(VALU_DEP_2) | instskip(SKIP_2) | instid1(VALU_DEP_3)
	v_cndmask_b32_e64 v7, s26, 1.0, s4
	v_and_b32_e32 v13, 0xffff0000, v6
	v_cndmask_b32_e64 v6, s26, 1.0, vcc_lo
	v_mul_f32_e32 v36, 0.5, v7
	s_delay_alu instid0(VALU_DEP_3) | instskip(NEXT) | instid1(VALU_DEP_3)
	v_cmp_eq_f32_e64 s1, 1.0, v13
	v_cmp_eq_f32_e64 s2, 0, v6
	v_mul_f32_e32 v17, 0.5, v6
	v_cmp_eq_f32_e64 s14, 0, v7
	v_cndmask_b32_e64 v18, |v10|, 1.0, s3
	v_cndmask_b32_e64 v5, s26, 1.0, s1
	v_cndmask_b32_e64 v16, |v11|, 1.0, s2
	v_trunc_f32_e32 v31, v17
	v_cndmask_b32_e64 v12, |s26|, 1.0, s1
	v_trunc_f32_e32 v14, v6
	v_cmp_eq_f32_e64 s5, 0, v5
	v_cvt_f64_f32_e32 v[25:26], v16
	v_frexp_mant_f32_e32 v24, v16
	v_cmp_neq_f32_e64 s6, v6, v8
	v_cmp_gt_f32_e64 s8, 1.0, v16
	v_cndmask_b32_e64 v21, |v13|, 1.0, s5
	v_cmp_neq_f32_e64 s19, v31, v17
	v_cmp_gt_f32_e64 s18, 0x3f2aaaab, v24
	v_frexp_mant_f32_e32 v33, v18
	v_cmp_neq_f32_e64 s16, v5, v12
	v_frexp_mant_f32_e32 v37, v21
	v_cvt_f64_f32_e32 v[29:30], v21
	v_cndmask_b32_e64 v38, 1.0, 2.0, s18
	v_cmp_gt_f32_e64 s17, 1.0, v21
	v_cmp_eq_f32_e64 s1, v14, v6
	v_cmp_gt_f32_e64 s13, 1.0, v18
	v_trunc_f32_e32 v35, v7
	v_mul_f32_e32 v38, v24, v38
	v_cndmask_b32_e64 v34, |v15|, 1.0, s14
	v_cndmask_b32_e64 v14, |s26|, 1.0, s4
	s_xor_b32 s4, s6, s8
	v_cmp_gt_f32_e64 s22, 0x3f2aaaab, v37
	v_cndmask_b32_e64 v17, v8, 0, s4
	v_cvt_f64_f32_e32 v[31:32], v34
	v_cmp_gt_f32_e64 s20, 0x3f2aaaab, v33
	s_xor_b32 s8, s16, s17
	v_cmp_eq_f32_e64 s17, 1.0, v16
	v_cvt_f64_f32_e32 v[27:28], v18
	v_trunc_f32_e32 v22, v5
	v_cndmask_b32_e64 v10, v10, 1.0, s3
	v_cndmask_b32_e64 v13, v13, 1.0, s5
	s_xor_b32 s5, s9, s13
	v_cmp_eq_f32_e64 s9, v35, v7
	v_trunc_f32_e32 v35, v36
	v_cndmask_b32_e64 v42, 1.0, 2.0, s22
	v_mul_f32_e32 v23, 0.5, v5
	v_cmp_eq_f32_e32 vcc_lo, 0x7f800000, v16
	v_cndmask_b32_e64 v39, 1.0, 2.0, s20
	v_cndmask_b32_e64 v40, v9, 0, s5
	v_frexp_mant_f32_e32 v41, v34
	v_cndmask_b32_e64 v16, v17, v16, s17
	v_cmp_eq_f32_e64 s17, 1.0, v18
	v_frexp_exp_i32_f64_e32 v25, v[25:26]
	v_cndmask_b32_e64 v11, v11, 1.0, s2
	v_cmp_eq_f32_e64 s7, v22, v5
	v_cmp_eq_f32_e64 s5, 0, v10
	s_and_b32 s16, s1, s19
	v_cmp_neq_f32_e64 s19, v35, v36
	v_mul_f32_e32 v36, v37, v42
	v_trunc_f32_e32 v22, v23
	v_cndmask_b32_e64 v15, v15, 1.0, s14
	v_cmp_neq_f32_e64 s13, v7, v14
	v_cmp_gt_f32_e64 s14, 1.0, v34
	v_dual_mul_f32 v33, v33, v39 :: v_dual_add_f32 v44, -1.0, v38
	v_cndmask_b32_e64 v17, v40, v18, s17
	v_cmp_gt_f32_e64 s17, 0x3f2aaaab, v41
	v_cmp_gt_f32_e64 s11, 0, v6
	;; [unrolled: 1-line block ×3, first 2 shown]
	v_cmp_eq_f32_e64 s4, 0, v11
	v_cmp_neq_f32_e64 s23, v22, v23
	v_cndmask_b32_e64 v22, v12, 0, s8
	v_cmp_eq_f32_e64 s8, 0, v13
	s_xor_b32 s10, s10, s5
	v_cndmask_b32_e64 v24, 1.0, 2.0, s17
	v_cndmask_b32_e64 v39, 0x7f800000, 0, s10
	s_xor_b32 s10, s13, s14
	v_cmp_eq_f32_e64 s14, 1.0, v21
	v_dual_add_f32 v45, 1.0, v38 :: v_dual_add_f32 v46, -1.0, v33
	v_dual_add_f32 v47, 1.0, v33 :: v_dual_add_f32 v48, 1.0, v36
	s_xor_b32 s11, s11, s4
	s_xor_b32 s12, s12, s8
	v_cmp_eq_f32_e64 s0, 0x7f800000, v18
	v_cndmask_b32_e64 v43, 0x7f800000, 0, s11
	v_cndmask_b32_e64 v35, v14, 0, s10
	;; [unrolled: 1-line block ×5, first 2 shown]
	v_dual_mul_f32 v41, v41, v24 :: v_dual_add_f32 v50, -1.0, v47
	v_cmp_eq_f32_e64 s12, 1.0, v34
	v_rcp_f32_e32 v49, v45
	v_rcp_f32_e32 v51, v47
	;; [unrolled: 1-line block ×3, first 2 shown]
	v_cmp_eq_f32_e64 s2, 0x7f800000, v21
	v_cndmask_b32_e64 v21, v35, v34, s12
	v_dual_add_f32 v35, -1.0, v36 :: v_dual_add_f32 v52, 1.0, v41
	v_bfi_b32 v22, 0x7fffffff, v43, v22
	v_add_f32_e32 v43, -1.0, v45
	v_dual_add_f32 v54, -1.0, v41 :: v_dual_add_f32 v55, -1.0, v48
	s_delay_alu instid0(TRANS32_DEP_3) | instskip(SKIP_1) | instid1(VALU_DEP_4)
	v_dual_sub_f32 v33, v33, v50 :: v_dual_mul_f32 v56, v44, v49
	v_add_f32_e32 v50, -1.0, v52
	v_sub_f32_e32 v38, v38, v43
	v_rcp_f32_e32 v43, v52
	v_mul_f32_e32 v57, v46, v51
	s_delay_alu instid0(VALU_DEP_3)
	v_dual_sub_f32 v36, v36, v55 :: v_dual_sub_f32 v41, v41, v50
	v_mul_f32_e32 v55, v35, v53
	v_frexp_exp_i32_f64_e32 v29, v[29:30]
	v_frexp_exp_i32_f64_e32 v31, v[31:32]
	v_mul_f32_e32 v50, v45, v56
	v_mul_f32_e32 v58, v47, v57
	;; [unrolled: 1-line block ×3, first 2 shown]
	v_cmp_gt_f32_e64 s15, 0, v7
	v_cmp_eq_f32_e64 s10, 0, v15
	v_mul_f32_e32 v59, v54, v43
	v_frexp_exp_i32_f64_e32 v27, v[27:28]
	v_fma_f32 v28, v57, v47, -v58
	v_fma_f32 v47, v55, v48, -v60
	s_xor_b32 s12, s15, s10
	v_cmp_eq_f32_e64 s6, 0x7f800000, v34
	v_cndmask_b32_e64 v34, 0x7f800000, 0, s12
	v_fma_f32 v26, v56, v45, -v50
	v_fmac_f32_e32 v47, v55, v36
	v_dual_mul_f32 v45, v52, v59 :: v_dual_fmac_f32 v28, v57, v33
	v_subrev_co_ci_u32_e64 v25, s12, 0, v25, s18
	v_cmp_eq_f32_e64 s3, v19, v0
	s_delay_alu instid0(VALU_DEP_3) | instskip(NEXT) | instid1(VALU_DEP_4)
	v_fma_f32 v30, v59, v52, -v45
	v_add_f32_e32 v32, v58, v28
	s_delay_alu instid0(VALU_DEP_4)
	v_cvt_f32_i32_e32 v25, v25
	v_add_f32_e32 v36, v60, v47
	v_trunc_f32_e32 v19, v20
	v_fmac_f32_e32 v30, v59, v41
	v_sub_f32_e32 v48, v32, v58
	s_and_b32 s13, s7, s23
	v_sub_f32_e32 v58, v36, v60
	v_sub_f32_e32 v60, v35, v36
	v_fmac_f32_e32 v26, v56, v38
	v_cmp_neq_f32_e64 s21, v19, v20
	v_cndmask_b32_e64 v42, 0, v13, s13
	v_sub_f32_e32 v47, v58, v47
	v_sub_f32_e32 v35, v35, v60
	v_add_f32_e32 v33, v50, v26
	v_add_f32_e32 v52, v45, v30
	v_subrev_co_ci_u32_e64 v29, s12, 0, v29, s22
	s_delay_alu instid0(VALU_DEP_4) | instskip(NEXT) | instid1(VALU_DEP_4)
	v_sub_f32_e32 v35, v35, v36
	v_dual_sub_f32 v41, v44, v33 :: v_dual_sub_f32 v38, v33, v50
	s_delay_alu instid0(VALU_DEP_4) | instskip(SKIP_1) | instid1(VALU_DEP_3)
	v_sub_f32_e32 v45, v52, v45
	v_subrev_co_ci_u32_e64 v31, s12, 0, v31, s17
	v_sub_f32_e32 v44, v44, v41
	v_sub_f32_e32 v50, v46, v32
	v_cvt_f32_i32_e32 v29, v29
	v_sub_f32_e32 v26, v38, v26
	v_cvt_f32_i32_e32 v31, v31
	s_delay_alu instid0(VALU_DEP_4)
	v_dual_sub_f32 v33, v44, v33 :: v_dual_sub_f32 v38, v46, v50
	v_sub_f32_e32 v46, v54, v52
	v_sub_f32_e32 v28, v48, v28
	s_and_b32 s11, s3, s21
	v_sub_f32_e32 v30, v45, v30
	v_sub_f32_e32 v32, v38, v32
	v_sub_f32_e32 v38, v54, v46
	v_cndmask_b32_e64 v40, 0, v10, s11
	v_dual_add_f32 v26, v26, v33 :: v_dual_add_f32 v33, v47, v35
	s_delay_alu instid0(VALU_DEP_4) | instskip(NEXT) | instid1(VALU_DEP_4)
	v_add_f32_e32 v28, v28, v32
	v_sub_f32_e32 v32, v38, v52
	v_subrev_co_ci_u32_e64 v27, s12, 0, v27, s20
	v_bfi_b32 v35, 0x7fffffff, v39, v40
	s_delay_alu instid0(VALU_DEP_3) | instskip(SKIP_1) | instid1(VALU_DEP_4)
	v_dual_mul_f32 v39, 0x3f317218, v25 :: v_dual_add_f32 v30, v30, v32
	v_add_f32_e32 v32, v60, v33
	v_cvt_f32_i32_e32 v27, v27
	v_cndmask_b32_e64 v20, 1.0, v10, s11
	s_and_b32 s11, s9, s19
	v_cndmask_b32_e64 v19, 1.0, v11, s16
	v_mul_f32_e32 v32, v53, v32
	v_mul_f32_e32 v40, 0x3f317218, v27
	v_fma_f32 v53, 0x3f317218, v25, -v39
	v_cndmask_b32_e64 v24, 1.0, v15, s11
	v_cndmask_b32_e64 v23, 1.0, v13, s13
	s_or_b32 vcc_lo, vcc_lo, s4
	v_fma_f32 v54, 0x3f317218, v27, -v40
	s_delay_alu instid0(VALU_DEP_1) | instskip(NEXT) | instid1(VALU_DEP_1)
	v_dual_fmac_f32 v53, 0xb102e308, v25 :: v_dual_fmac_f32 v54, 0xb102e308, v27
	v_dual_add_f32 v64, v39, v53 :: v_dual_add_f32 v65, v40, v54
	s_delay_alu instid0(VALU_DEP_1) | instskip(SKIP_1) | instid1(VALU_DEP_2)
	v_dual_add_f32 v26, v41, v26 :: v_dual_sub_f32 v39, v64, v39
	v_dual_add_f32 v38, v55, v32 :: v_dual_mul_f32 v41, 0x3f317218, v29
	v_dual_add_f32 v28, v50, v28 :: v_dual_sub_f32 v39, v53, v39
	s_delay_alu instid0(VALU_DEP_2) | instskip(NEXT) | instid1(VALU_DEP_4)
	v_sub_f32_e32 v50, v38, v55
	v_dual_mul_f32 v55, 0x3f317218, v31 :: v_dual_mul_f32 v26, v49, v26
	v_add_f32_e32 v30, v46, v30
	v_ldexp_f32 v52, v38, 1
	s_delay_alu instid0(VALU_DEP_4) | instskip(NEXT) | instid1(VALU_DEP_4)
	v_sub_f32_e32 v32, v32, v50
	v_fma_f32 v25, 0x3f317218, v31, -v55
	v_add_f32_e32 v33, v56, v26
	v_mul_f32_e32 v30, v43, v30
	s_delay_alu instid0(VALU_DEP_3) | instskip(NEXT) | instid1(VALU_DEP_3)
	v_dual_add_f32 v62, v32, v32 :: v_dual_fmac_f32 v25, 0xb102e308, v31
	v_sub_f32_e32 v43, v33, v56
	v_fma_f32 v56, 0x3f317218, v29, -v41
	s_delay_alu instid0(VALU_DEP_4) | instskip(SKIP_1) | instid1(VALU_DEP_3)
	v_add_f32_e32 v49, v59, v30
	v_ldexp_f32 v45, v33, 1
	v_fmac_f32_e32 v56, 0xb102e308, v29
	s_delay_alu instid0(VALU_DEP_3) | instskip(NEXT) | instid1(VALU_DEP_2)
	v_mul_f32_e32 v58, v49, v49
	v_add_f32_e32 v31, v41, v56
	s_delay_alu instid0(VALU_DEP_1) | instskip(SKIP_1) | instid1(VALU_DEP_1)
	v_sub_f32_e32 v41, v31, v41
	v_dual_mul_f32 v28, v51, v28 :: v_dual_mul_f32 v51, v38, v38
	v_add_f32_e32 v36, v57, v28
	s_delay_alu instid0(VALU_DEP_2) | instskip(SKIP_1) | instid1(VALU_DEP_3)
	v_fma_f32 v50, v38, v38, -v51
	v_mul_f32_e32 v44, v33, v33
	v_sub_f32_e32 v46, v36, v57
	s_delay_alu instid0(VALU_DEP_3) | instskip(SKIP_3) | instid1(VALU_DEP_3)
	v_fmac_f32_e32 v50, v38, v62
	v_dual_add_f32 v62, v55, v25 :: v_dual_sub_f32 v57, v49, v59
	v_mul_f32_e32 v47, v36, v36
	v_ldexp_f32 v59, v49, 1
	v_sub_f32_e32 v53, v62, v55
	v_sub_f32_e32 v26, v26, v43
	v_fma_f32 v43, v33, v33, -v44
	v_sub_f32_e32 v30, v30, v57
	v_fma_f32 v57, v49, v49, -v58
	v_sub_f32_e32 v25, v25, v53
	v_add_f32_e32 v27, v26, v26
	s_delay_alu instid0(VALU_DEP_1) | instskip(SKIP_1) | instid1(VALU_DEP_1)
	v_fmac_f32_e32 v43, v33, v27
	v_add_f32_e32 v27, v30, v30
	v_fmac_f32_e32 v57, v49, v27
	v_add_f32_e32 v27, v51, v50
	s_delay_alu instid0(VALU_DEP_1) | instskip(SKIP_3) | instid1(VALU_DEP_4)
	v_dual_fmaak_f32 v71, s30, v27, 0x3e91f4c4 :: v_dual_sub_f32 v28, v28, v46
	v_sub_f32_e32 v51, v27, v51
	v_fma_f32 v46, v36, v36, -v47
	v_mul_f32_e32 v72, v38, v27
	v_dual_fmaak_f32 v71, v27, v71, 0x3ecccdef :: v_dual_add_f32 v70, v58, v57
	s_delay_alu instid0(VALU_DEP_4) | instskip(SKIP_1) | instid1(VALU_DEP_4)
	v_sub_f32_e32 v50, v50, v51
	v_ldexp_f32 v61, v28, 1
	v_fma_f32 v51, v27, v38, -v72
	s_delay_alu instid0(VALU_DEP_4) | instskip(SKIP_2) | instid1(VALU_DEP_3)
	v_dual_fmaak_f32 v73, s30, v70, 0x3e91f4c4 :: v_dual_add_f32 v60, v28, v28
	v_mul_f32_e32 v74, v49, v70
	v_ldexp_f32 v29, v26, 1
	v_dual_fmaak_f32 v73, v70, v73, 0x3ecccdef :: v_dual_fmac_f32 v46, v36, v60
	s_delay_alu instid0(VALU_DEP_1) | instskip(NEXT) | instid1(VALU_DEP_1)
	v_add_f32_e32 v67, v47, v46
	v_sub_f32_e32 v47, v67, v47
	v_mul_f32_e32 v69, v36, v67
	v_fmaak_f32 v68, s30, v67, 0x3e91f4c4
	v_add_f32_e32 v66, v44, v43
	v_ldexp_f32 v48, v36, 1
	v_sub_f32_e32 v46, v46, v47
	v_fma_f32 v47, v67, v36, -v69
	s_delay_alu instid0(VALU_DEP_4) | instskip(SKIP_1) | instid1(VALU_DEP_3)
	v_dual_fmaak_f32 v68, v67, v68, 0x3ecccdef :: v_dual_mul_f32 v55, v33, v66
	v_sub_f32_e32 v44, v66, v44
	v_fmac_f32_e32 v47, v67, v28
	v_ldexp_f32 v63, v32, 1
	v_fmac_f32_e32 v51, v27, v32
	v_mul_f32_e32 v32, v27, v71
	v_mul_f32_e32 v28, v67, v68
	v_fmac_f32_e32 v47, v46, v36
	v_sub_f32_e32 v43, v43, v44
	v_fma_f32 v44, v66, v33, -v55
	v_fma_f32 v27, v27, v71, -v32
	v_sub_f32_e32 v40, v65, v40
	v_fma_f32 v36, v67, v68, -v28
	v_fmac_f32_e32 v51, v50, v38
	v_fmac_f32_e32 v44, v66, v26
	;; [unrolled: 1-line block ×3, first 2 shown]
	s_delay_alu instid0(VALU_DEP_4) | instskip(NEXT) | instid1(VALU_DEP_3)
	v_fmac_f32_e32 v36, v46, v68
	v_fmac_f32_e32 v44, v43, v33
	s_delay_alu instid0(VALU_DEP_3) | instskip(NEXT) | instid1(VALU_DEP_1)
	v_add_f32_e32 v68, v32, v27
	v_dual_add_f32 v71, 0x3f2aaaaa, v68 :: v_dual_sub_f32 v58, v70, v58
	s_delay_alu instid0(VALU_DEP_1) | instskip(SKIP_1) | instid1(VALU_DEP_2)
	v_dual_sub_f32 v32, v68, v32 :: v_dual_sub_f32 v57, v57, v58
	v_sub_f32_e32 v40, v54, v40
	v_dual_fmaak_f32 v54, s30, v66, 0x3e91f4c4 :: v_dual_sub_f32 v27, v27, v32
	v_fma_f32 v58, v70, v49, -v74
	v_add_f32_e32 v32, 0xbf2aaaaa, v71
	s_delay_alu instid0(VALU_DEP_3) | instskip(NEXT) | instid1(VALU_DEP_2)
	v_fmaak_f32 v54, v66, v54, 0x3ecccdef
	v_dual_add_f32 v27, 0x31739010, v27 :: v_dual_sub_f32 v32, v68, v32
	s_delay_alu instid0(VALU_DEP_1) | instskip(NEXT) | instid1(VALU_DEP_1)
	v_dual_mul_f32 v26, v66, v54 :: v_dual_add_f32 v27, v27, v32
	v_fma_f32 v33, v66, v54, -v26
	s_delay_alu instid0(VALU_DEP_1) | instskip(SKIP_3) | instid1(VALU_DEP_4)
	v_fmac_f32_e32 v33, v43, v54
	v_fmac_f32_e32 v58, v70, v30
	v_ldexp_f32 v60, v30, 1
	v_dual_mul_f32 v30, v70, v73 :: v_dual_add_f32 v43, v69, v47
	v_add_f32_e32 v54, v26, v33
	s_delay_alu instid0(VALU_DEP_4) | instskip(SKIP_1) | instid1(VALU_DEP_4)
	v_fmac_f32_e32 v58, v57, v49
	v_add_f32_e32 v38, v55, v44
	v_fma_f32 v46, v70, v73, -v30
	s_delay_alu instid0(VALU_DEP_4) | instskip(NEXT) | instid1(VALU_DEP_3)
	v_sub_f32_e32 v26, v54, v26
	v_sub_f32_e32 v50, v38, v55
	s_delay_alu instid0(VALU_DEP_3) | instskip(NEXT) | instid1(VALU_DEP_3)
	v_fmac_f32_e32 v46, v57, v73
	v_dual_sub_f32 v55, v43, v69 :: v_dual_sub_f32 v26, v33, v26
	s_delay_alu instid0(VALU_DEP_3) | instskip(SKIP_1) | instid1(VALU_DEP_3)
	v_sub_f32_e32 v44, v44, v50
	v_add_f32_e32 v50, 0x3f2aaaaa, v54
	v_dual_add_f32 v70, v30, v46 :: v_dual_sub_f32 v47, v47, v55
	s_delay_alu instid0(VALU_DEP_4) | instskip(NEXT) | instid1(VALU_DEP_3)
	v_add_f32_e32 v26, 0x31739010, v26
	v_add_f32_e32 v33, 0xbf2aaaaa, v50
	s_delay_alu instid0(VALU_DEP_3) | instskip(NEXT) | instid1(VALU_DEP_2)
	v_dual_add_f32 v49, v72, v51 :: v_dual_sub_f32 v30, v70, v30
	v_sub_f32_e32 v33, v54, v33
	s_delay_alu instid0(VALU_DEP_2) | instskip(NEXT) | instid1(VALU_DEP_3)
	v_dual_sub_f32 v57, v49, v72 :: v_dual_add_f32 v72, 0x3f2aaaaa, v70
	v_sub_f32_e32 v30, v46, v30
	s_delay_alu instid0(VALU_DEP_3) | instskip(NEXT) | instid1(VALU_DEP_3)
	v_add_f32_e32 v26, v26, v33
	v_add_f32_e32 v46, 0xbf2aaaaa, v72
	s_delay_alu instid0(VALU_DEP_3) | instskip(NEXT) | instid1(VALU_DEP_3)
	v_add_f32_e32 v30, 0x31739010, v30
	v_add_f32_e32 v32, v50, v26
	s_delay_alu instid0(VALU_DEP_3) | instskip(NEXT) | instid1(VALU_DEP_2)
	v_dual_sub_f32 v33, v70, v46 :: v_dual_add_f32 v66, v28, v36
	v_sub_f32_e32 v50, v50, v32
	s_delay_alu instid0(VALU_DEP_2) | instskip(SKIP_2) | instid1(VALU_DEP_4)
	v_dual_add_f32 v30, v30, v33 :: v_dual_add_f32 v55, 0x3f2aaaaa, v66
	v_dual_sub_f32 v28, v66, v28 :: v_dual_add_f32 v33, v71, v27
	v_add_f32_e32 v67, v74, v58
	v_add_f32_e32 v26, v26, v50
	s_delay_alu instid0(VALU_DEP_3) | instskip(SKIP_1) | instid1(VALU_DEP_4)
	v_sub_f32_e32 v28, v36, v28
	v_add_f32_e32 v36, 0xbf2aaaaa, v55
	v_dual_mul_f32 v68, v49, v33 :: v_dual_sub_f32 v69, v67, v74
	s_delay_alu instid0(VALU_DEP_3) | instskip(NEXT) | instid1(VALU_DEP_3)
	v_add_f32_e32 v28, 0x31739010, v28
	v_sub_f32_e32 v36, v66, v36
	v_sub_f32_e32 v66, v71, v33
	s_delay_alu instid0(VALU_DEP_1) | instskip(SKIP_2) | instid1(VALU_DEP_3)
	v_dual_add_f32 v28, v28, v36 :: v_dual_add_f32 v27, v27, v66
	v_fma_f32 v66, v49, v33, -v68
	v_dual_sub_f32 v36, v51, v57 :: v_dual_add_f32 v57, v72, v30
	v_add_f32_e32 v46, v55, v28
	s_delay_alu instid0(VALU_DEP_3) | instskip(NEXT) | instid1(VALU_DEP_2)
	v_dual_fmac_f32 v66, v49, v27 :: v_dual_sub_f32 v27, v58, v69
	v_dual_mul_f32 v51, v38, v32 :: v_dual_sub_f32 v54, v55, v46
	s_delay_alu instid0(VALU_DEP_4) | instskip(SKIP_1) | instid1(VALU_DEP_3)
	v_dual_mul_f32 v55, v43, v46 :: v_dual_sub_f32 v70, v72, v57
	v_mul_f32_e32 v71, v67, v57
	v_fma_f32 v50, v38, v32, -v51
	s_delay_alu instid0(VALU_DEP_4) | instskip(NEXT) | instid1(VALU_DEP_4)
	v_add_f32_e32 v28, v28, v54
	v_fma_f32 v54, v43, v46, -v55
	v_fmac_f32_e32 v66, v36, v33
	s_delay_alu instid0(VALU_DEP_4) | instskip(SKIP_1) | instid1(VALU_DEP_4)
	v_fmac_f32_e32 v50, v38, v26
	v_add_f32_e32 v26, v30, v70
	v_fmac_f32_e32 v54, v43, v28
	v_fma_f32 v28, v67, v57, -v71
	v_sub_f32_e32 v30, v56, v41
	v_fmac_f32_e32 v50, v44, v32
	s_delay_alu instid0(VALU_DEP_4) | instskip(NEXT) | instid1(VALU_DEP_4)
	v_fmac_f32_e32 v54, v47, v46
	v_fmac_f32_e32 v28, v67, v26
	s_delay_alu instid0(VALU_DEP_3) | instskip(NEXT) | instid1(VALU_DEP_3)
	v_add_f32_e32 v26, v51, v50
	v_add_f32_e32 v32, v55, v54
	s_delay_alu instid0(VALU_DEP_3) | instskip(NEXT) | instid1(VALU_DEP_3)
	v_dual_fmac_f32 v28, v27, v57 :: v_dual_add_f32 v27, v68, v66
	v_dual_sub_f32 v33, v26, v51 :: v_dual_add_f32 v36, v45, v26
	s_delay_alu instid0(VALU_DEP_3) | instskip(SKIP_1) | instid1(VALU_DEP_4)
	v_sub_f32_e32 v38, v32, v55
	v_add_f32_e32 v41, v48, v32
	v_add_f32_e32 v43, v71, v28
	v_sub_f32_e32 v44, v27, v68
	v_dual_add_f32 v46, v52, v27 :: v_dual_sub_f32 v33, v50, v33
	v_dual_sub_f32 v45, v36, v45 :: v_dual_sub_f32 v38, v54, v38
	s_delay_alu instid0(VALU_DEP_4) | instskip(NEXT) | instid1(VALU_DEP_4)
	v_dual_sub_f32 v47, v41, v48 :: v_dual_sub_f32 v48, v43, v71
	v_dual_add_f32 v49, v59, v43 :: v_dual_sub_f32 v44, v66, v44
	s_delay_alu instid0(VALU_DEP_4) | instskip(NEXT) | instid1(VALU_DEP_4)
	v_sub_f32_e32 v50, v46, v52
	v_sub_f32_e32 v26, v26, v45
	s_delay_alu instid0(VALU_DEP_4) | instskip(SKIP_1) | instid1(VALU_DEP_4)
	v_dual_add_f32 v29, v29, v33 :: v_dual_sub_f32 v32, v32, v47
	v_dual_add_f32 v33, v61, v38 :: v_dual_sub_f32 v28, v28, v48
	v_dual_sub_f32 v38, v49, v59 :: v_dual_sub_f32 v27, v27, v50
	v_add_f32_e32 v44, v63, v44
	s_delay_alu instid0(VALU_DEP_4) | instskip(NEXT) | instid1(VALU_DEP_3)
	v_add_f32_e32 v26, v29, v26
	v_dual_add_f32 v29, v33, v32 :: v_dual_sub_f32 v32, v43, v38
	v_add_f32_e32 v28, v60, v28
	s_delay_alu instid0(VALU_DEP_4) | instskip(NEXT) | instid1(VALU_DEP_3)
	v_add_f32_e32 v27, v44, v27
	v_dual_add_f32 v33, v36, v26 :: v_dual_add_f32 v38, v41, v29
	s_delay_alu instid0(VALU_DEP_3) | instskip(NEXT) | instid1(VALU_DEP_3)
	v_add_f32_e32 v28, v28, v32
	v_add_f32_e32 v32, v46, v27
	s_delay_alu instid0(VALU_DEP_3) | instskip(NEXT) | instid1(VALU_DEP_4)
	v_dual_sub_f32 v36, v33, v36 :: v_dual_add_f32 v43, v64, v33
	v_dual_sub_f32 v41, v38, v41 :: v_dual_add_f32 v44, v65, v38
	s_delay_alu instid0(VALU_DEP_3) | instskip(SKIP_1) | instid1(VALU_DEP_4)
	v_dual_add_f32 v45, v49, v28 :: v_dual_sub_f32 v46, v32, v46
	v_add_f32_e32 v47, v31, v32
	v_sub_f32_e32 v26, v26, v36
	s_delay_alu instid0(VALU_DEP_4)
	v_dual_sub_f32 v36, v43, v64 :: v_dual_sub_f32 v29, v29, v41
	v_sub_f32_e32 v41, v44, v65
	v_sub_f32_e32 v48, v45, v49
	v_add_f32_e32 v49, v62, v45
	v_sub_f32_e32 v27, v27, v46
	v_sub_f32_e32 v46, v47, v31
	;; [unrolled: 1-line block ×3, first 2 shown]
	v_dual_sub_f32 v33, v33, v36 :: v_dual_add_f32 v36, v39, v26
	v_sub_f32_e32 v51, v44, v41
	v_sub_f32_e32 v38, v38, v41
	v_add_f32_e32 v41, v40, v29
	v_sub_f32_e32 v28, v28, v48
	v_sub_f32_e32 v48, v49, v62
	;; [unrolled: 1-line block ×4, first 2 shown]
	v_add_f32_e32 v46, v30, v27
	v_sub_f32_e32 v50, v64, v50
	v_sub_f32_e32 v53, v36, v39
	;; [unrolled: 1-line block ×5, first 2 shown]
	v_dual_sub_f32 v31, v31, v52 :: v_dual_sub_f32 v52, v46, v30
	v_add_f32_e32 v33, v33, v50
	v_sub_f32_e32 v45, v45, v48
	v_add_f32_e32 v48, v25, v28
	v_sub_f32_e32 v50, v36, v53
	v_sub_f32_e32 v26, v26, v53
	v_dual_add_f32 v38, v38, v51 :: v_dual_sub_f32 v51, v41, v54
	v_sub_f32_e32 v53, v62, v55
	v_dual_add_f32 v31, v32, v31 :: v_dual_sub_f32 v32, v46, v52
	v_add_f32_e32 v33, v36, v33
	v_dual_sub_f32 v29, v29, v54 :: v_dual_sub_f32 v54, v48, v25
	v_dual_sub_f32 v39, v39, v50 :: v_dual_sub_f32 v36, v40, v51
	v_add_f32_e32 v38, v41, v38
	v_add_f32_e32 v40, v45, v53
	v_sub_f32_e32 v30, v30, v32
	v_dual_add_f32 v31, v46, v31 :: v_dual_add_f32 v32, v43, v33
	v_dual_sub_f32 v41, v48, v54 :: v_dual_add_f32 v26, v26, v39
	v_dual_add_f32 v29, v29, v36 :: v_dual_add_f32 v36, v44, v38
	s_delay_alu instid0(VALU_DEP_3) | instskip(NEXT) | instid1(VALU_DEP_4)
	v_dual_add_f32 v39, v48, v40 :: v_dual_add_f32 v40, v47, v31
	v_sub_f32_e32 v43, v32, v43
	v_sub_f32_e32 v27, v27, v52
	;; [unrolled: 1-line block ×3, first 2 shown]
	s_delay_alu instid0(VALU_DEP_4) | instskip(SKIP_2) | instid1(VALU_DEP_3)
	v_dual_sub_f32 v41, v36, v44 :: v_dual_add_f32 v44, v49, v39
	v_sub_f32_e32 v45, v40, v47
	v_dual_sub_f32 v33, v33, v43 :: v_dual_sub_f32 v28, v28, v54
	v_dual_add_f32 v27, v27, v30 :: v_dual_sub_f32 v30, v38, v41
	s_delay_alu instid0(VALU_DEP_4) | instskip(NEXT) | instid1(VALU_DEP_4)
	v_sub_f32_e32 v38, v44, v49
	v_sub_f32_e32 v31, v31, v45
	s_delay_alu instid0(VALU_DEP_4) | instskip(NEXT) | instid1(VALU_DEP_4)
	v_add_f32_e32 v26, v26, v33
	v_dual_add_f32 v25, v28, v25 :: v_dual_add_f32 v28, v29, v30
	s_delay_alu instid0(VALU_DEP_4) | instskip(NEXT) | instid1(VALU_DEP_3)
	v_sub_f32_e32 v29, v39, v38
	v_dual_add_f32 v27, v27, v31 :: v_dual_add_f32 v30, v32, v26
	v_cndmask_b32_e64 v31, 0, v15, s11
	s_delay_alu instid0(VALU_DEP_4) | instskip(NEXT) | instid1(VALU_DEP_4)
	v_add_f32_e32 v33, v36, v28
	v_add_f32_e32 v25, v25, v29
	s_delay_alu instid0(VALU_DEP_4) | instskip(SKIP_1) | instid1(VALU_DEP_4)
	v_dual_add_f32 v29, v40, v27 :: v_dual_sub_f32 v32, v30, v32
	v_mul_f32_e32 v38, v6, v30
	v_dual_sub_f32 v36, v33, v36 :: v_dual_mul_f32 v39, v0, v33
	s_delay_alu instid0(VALU_DEP_3) | instskip(NEXT) | instid1(VALU_DEP_4)
	v_sub_f32_e32 v40, v29, v40
	v_dual_mul_f32 v43, v5, v29 :: v_dual_sub_f32 v26, v26, v32
	s_delay_alu instid0(VALU_DEP_4)
	v_fma_f32 v30, v6, v30, -v38
	v_add_f32_e32 v41, v44, v25
	v_sub_f32_e32 v28, v28, v36
	v_fma_f32 v32, v0, v33, -v39
	v_sub_f32_e32 v27, v27, v40
	v_fma_f32 v29, v5, v29, -v43
	v_dual_fmac_f32 v30, v6, v26 :: v_dual_sub_f32 v33, v41, v44
	v_mul_f32_e32 v36, v7, v41
	s_delay_alu instid0(VALU_DEP_3) | instskip(NEXT) | instid1(VALU_DEP_3)
	v_dual_fmac_f32 v32, v0, v28 :: v_dual_fmac_f32 v29, v5, v27
	v_add_f32_e32 v27, v38, v30
	v_cmp_class_f32_e64 s11, v38, 0x204
	v_sub_f32_e32 v25, v25, v33
	v_fma_f32 v26, v7, v41, -v36
	v_bfi_b32 v28, 0x7fffffff, v37, v42
	v_add_f32_e32 v33, v39, v32
	v_sub_f32_e32 v37, v27, v38
	v_cndmask_b32_e64 v27, v27, v38, s11
	v_cmp_class_f32_e64 s11, v39, 0x204
	v_fmac_f32_e32 v26, v7, v25
	v_dual_add_f32 v25, v43, v29 :: v_dual_sub_f32 v38, v33, v39
	v_sub_f32_e32 v30, v30, v37
	s_delay_alu instid0(VALU_DEP_4) | instskip(SKIP_1) | instid1(VALU_DEP_4)
	v_cndmask_b32_e64 v33, v33, v39, s11
	v_cmp_class_f32_e64 s11, v43, 0x204
	v_dual_sub_f32 v40, v25, v43 :: v_dual_add_f32 v39, v36, v26
	v_sub_f32_e32 v32, v32, v38
	s_delay_alu instid0(VALU_DEP_3) | instskip(SKIP_1) | instid1(VALU_DEP_4)
	v_cndmask_b32_e64 v25, v25, v43, s11
	v_cmp_eq_f32_e64 s11, 0x42b17218, v27
	v_sub_f32_e32 v41, v39, v36
	v_sub_f32_e32 v29, v29, v40
	s_delay_alu instid0(VALU_DEP_3) | instskip(SKIP_1) | instid1(VALU_DEP_4)
	v_cndmask_b32_e64 v37, 0, 0x37000000, s11
	v_cmp_eq_f32_e64 s11, 0x42b17218, v33
	v_sub_f32_e32 v26, v26, v41
	s_delay_alu instid0(VALU_DEP_2) | instskip(SKIP_1) | instid1(VALU_DEP_1)
	v_cndmask_b32_e64 v38, 0, 0x37000000, s11
	v_cmp_class_f32_e64 s11, v36, 0x204
	v_cndmask_b32_e64 v36, v39, v36, s11
	v_cmp_eq_f32_e64 s11, 0x42b17218, v25
	s_delay_alu instid0(VALU_DEP_1) | instskip(SKIP_2) | instid1(VALU_DEP_2)
	v_cndmask_b32_e64 v39, 0, 0x37000000, s11
	v_cmp_neq_f32_e64 s11, 0x7f800000, |v27|
	v_sub_f32_e32 v27, v27, v37
	v_cndmask_b32_e64 v30, 0, v30, s11
	v_cmp_neq_f32_e64 s11, 0x7f800000, |v33|
	v_sub_f32_e32 v33, v33, v38
	s_delay_alu instid0(VALU_DEP_3) | instskip(NEXT) | instid1(VALU_DEP_3)
	v_add_f32_e32 v30, v37, v30
	v_cndmask_b32_e64 v32, 0, v32, s11
	v_cmp_eq_f32_e64 s11, 0x42b17218, v36
	s_delay_alu instid0(VALU_DEP_2) | instskip(NEXT) | instid1(VALU_DEP_2)
	v_dual_mul_f32 v37, 0x3fb8aa3b, v27 :: v_dual_add_f32 v32, v38, v32
	v_cndmask_b32_e64 v40, 0, 0x37000000, s11
	v_cmp_neq_f32_e64 s11, 0x7f800000, |v25|
	v_dual_sub_f32 v25, v25, v39 :: v_dual_mul_f32 v38, 0x3fb8aa3b, v33
	s_delay_alu instid0(VALU_DEP_4) | instskip(SKIP_1) | instid1(VALU_DEP_3)
	v_fma_f32 v43, 0x3fb8aa3b, v27, -v37
	v_rndne_f32_e32 v44, v37
	v_dual_sub_f32 v41, v36, v40 :: v_dual_mul_f32 v42, 0x3fb8aa3b, v25
	s_delay_alu instid0(VALU_DEP_4)
	v_fma_f32 v45, 0x3fb8aa3b, v33, -v38
	v_rndne_f32_e32 v46, v38
	v_fmac_f32_e32 v43, 0x32a5705f, v27
	v_sub_f32_e32 v37, v37, v44
	v_mul_f32_e32 v47, 0x3fb8aa3b, v41
	v_fma_f32 v48, 0x3fb8aa3b, v25, -v42
	v_rndne_f32_e32 v49, v42
	v_dual_fmac_f32 v45, 0x32a5705f, v33 :: v_dual_sub_f32 v38, v38, v46
	v_add_f32_e32 v37, v37, v43
	v_cndmask_b32_e64 v29, 0, v29, s11
	v_fma_f32 v50, 0x3fb8aa3b, v41, -v47
	v_rndne_f32_e32 v51, v47
	v_fmac_f32_e32 v48, 0x32a5705f, v25
	v_sub_f32_e32 v42, v42, v49
	v_add_f32_e32 v38, v38, v45
	v_cmp_neq_f32_e64 s11, 0x7f800000, |v36|
	v_exp_f32_e32 v36, v37
	v_dual_fmac_f32 v50, 0x32a5705f, v41 :: v_dual_sub_f32 v43, v47, v51
	v_add_f32_e32 v42, v42, v48
	v_exp_f32_e32 v37, v38
	v_add_f32_e32 v29, v39, v29
	v_cvt_i32_f32_e32 v39, v44
	v_cndmask_b32_e64 v26, 0, v26, s11
	v_add_f32_e32 v38, v43, v50
	v_exp_f32_e32 v42, v42
	v_cvt_i32_f32_e32 v43, v46
	v_ldexp_f32 v36, v36, v39
	v_cmp_ngt_f32_e64 s11, 0xc2ce8ed0, v27
	v_cvt_i32_f32_e32 v44, v49
	v_exp_f32_e32 v38, v38
	v_ldexp_f32 v37, v37, v43
	v_add_f32_e32 v26, v40, v26
	v_cndmask_b32_e64 v36, 0, v36, s11
	v_cmp_ngt_f32_e64 s11, 0xc2ce8ed0, v33
	v_cvt_i32_f32_e32 v39, v51
	v_ldexp_f32 v40, v42, v44
	s_delay_alu instid0(VALU_DEP_3)
	v_cndmask_b32_e64 v37, 0, v37, s11
	v_cmp_ngt_f32_e64 s11, 0xc2ce8ed0, v25
	s_delay_alu instid0(TRANS32_DEP_1) | instid1(VALU_DEP_4)
	v_ldexp_f32 v38, v38, v39
	s_delay_alu instid0(VALU_DEP_2) | instskip(SKIP_1) | instid1(VALU_DEP_1)
	v_cndmask_b32_e64 v39, 0, v40, s11
	v_cmp_nlt_f32_e64 s11, 0x42b17218, v27
	v_cndmask_b32_e64 v27, 0x7f800000, v36, s11
	v_cmp_nlt_f32_e64 s11, 0x42b17218, v33
	s_delay_alu instid0(VALU_DEP_2) | instskip(NEXT) | instid1(VALU_DEP_2)
	v_fma_f32 v30, v27, v30, v27
	v_cndmask_b32_e64 v33, 0x7f800000, v37, s11
	v_cmp_ngt_f32_e64 s11, 0xc2ce8ed0, v41
	s_delay_alu instid0(VALU_DEP_2) | instskip(NEXT) | instid1(VALU_DEP_2)
	v_fma_f32 v32, v33, v32, v33
	v_cndmask_b32_e64 v36, 0, v38, s11
	v_cmp_nlt_f32_e64 s11, 0x42b17218, v25
	s_delay_alu instid0(VALU_DEP_1) | instskip(SKIP_1) | instid1(VALU_DEP_2)
	v_cndmask_b32_e64 v25, 0x7f800000, v39, s11
	v_cmp_nlt_f32_e64 s11, 0x42b17218, v41
	v_fma_f32 v29, v25, v29, v25
	s_delay_alu instid0(VALU_DEP_2) | instskip(SKIP_1) | instid1(VALU_DEP_2)
	v_cndmask_b32_e64 v36, 0x7f800000, v36, s11
	v_cmp_class_f32_e64 s11, v27, 0x204
	v_fma_f32 v26, v36, v26, v36
	s_delay_alu instid0(VALU_DEP_2) | instskip(SKIP_1) | instid1(VALU_DEP_2)
	v_cndmask_b32_e64 v27, v30, v27, s11
	v_cmp_class_f32_e64 s11, v33, 0x204
	v_bfi_b32 v19, 0x7fffffff, v27, v19
	s_delay_alu instid0(VALU_DEP_2) | instskip(SKIP_1) | instid1(VALU_DEP_3)
	v_cndmask_b32_e64 v30, v32, v33, s11
	v_cmp_class_f32_e64 s11, v25, 0x204
	v_cndmask_b32_e64 v27, 0x7fc00000, v19, s1
	s_delay_alu instid0(VALU_DEP_3) | instskip(NEXT) | instid1(VALU_DEP_3)
	v_bfi_b32 v20, 0x7fffffff, v30, v20
	v_cndmask_b32_e64 v25, v29, v25, s11
	v_cmp_class_f32_e64 s11, v36, 0x204
	v_cmp_gt_f32_e64 s1, 0, v11
	s_delay_alu instid0(VALU_DEP_4) | instskip(NEXT) | instid1(VALU_DEP_4)
	v_cndmask_b32_e64 v29, 0x7fc00000, v20, s3
	v_bfi_b32 v23, 0x7fffffff, v25, v23
	s_delay_alu instid0(VALU_DEP_4) | instskip(NEXT) | instid1(VALU_DEP_4)
	v_cndmask_b32_e64 v26, v26, v36, s11
	v_cndmask_b32_e64 v19, v19, v27, s1
	v_cmp_gt_f32_e64 s1, 0, v10
	v_bfi_b32 v25, 0x7fffffff, v34, v31
	s_delay_alu instid0(VALU_DEP_4) | instskip(SKIP_1) | instid1(VALU_DEP_4)
	v_bfi_b32 v24, 0x7fffffff, v26, v24
	v_cndmask_b32_e64 v26, 0x7fc00000, v23, s7
	v_cndmask_b32_e64 v20, v20, v29, s1
	v_cmp_gt_f32_e64 s1, 0, v13
	s_delay_alu instid0(VALU_DEP_4) | instskip(NEXT) | instid1(VALU_DEP_2)
	v_cndmask_b32_e64 v27, 0x7fc00000, v24, s9
	v_cndmask_b32_e64 v23, v23, v26, s1
	v_cmp_eq_f32_e64 s1, 0x7f800000, v8
	s_delay_alu instid0(VALU_DEP_1) | instskip(SKIP_1) | instid1(VALU_DEP_2)
	v_cndmask_b32_e64 v8, v19, v16, s1
	v_cmp_eq_f32_e64 s1, 0x7f800000, v9
	v_cndmask_b32_e32 v8, v8, v22, vcc_lo
	s_delay_alu instid0(VALU_DEP_2) | instskip(SKIP_3) | instid1(VALU_DEP_3)
	v_cndmask_b32_e64 v9, v20, v17, s1
	v_cmp_gt_f32_e64 s1, 0, v15
	s_or_b32 vcc_lo, s0, s5
	v_cmp_lt_u64_e64 s0, 0xffff, v[1:2]
	v_cndmask_b32_e32 v9, v9, v35, vcc_lo
	s_delay_alu instid0(VALU_DEP_3) | instskip(SKIP_2) | instid1(VALU_DEP_2)
	v_cndmask_b32_e64 v16, v24, v27, s1
	v_cmp_eq_f32_e64 s1, 0x7f800000, v12
	v_cmp_eq_f32_e32 vcc_lo, 0x7f800000, v14
	v_cndmask_b32_e64 v12, v23, v18, s1
	s_delay_alu instid0(VALU_DEP_4) | instskip(SKIP_1) | instid1(VALU_DEP_2)
	v_cndmask_b32_e32 v14, v16, v21, vcc_lo
	s_or_b32 vcc_lo, s2, s8
	v_cndmask_b32_e32 v12, v12, v28, vcc_lo
	v_cmp_o_f32_e32 vcc_lo, v11, v6
	v_cndmask_b32_e32 v6, 0x7fc00000, v8, vcc_lo
	s_or_b32 vcc_lo, s6, s10
	v_cndmask_b32_e32 v8, v14, v25, vcc_lo
	v_cmp_o_f32_e32 vcc_lo, v10, v0
	v_cndmask_b32_e32 v0, 0x7fc00000, v9, vcc_lo
	v_cmp_o_f32_e32 vcc_lo, v13, v5
	v_bfe_u32 v9, v6, 16, 1
	v_cndmask_b32_e32 v5, 0x7fc00000, v12, vcc_lo
	v_cmp_o_f32_e32 vcc_lo, v15, v7
	s_delay_alu instid0(VALU_DEP_3) | instskip(NEXT) | instid1(VALU_DEP_3)
	v_add3_u32 v9, v6, v9, 0x7fff
	v_bfe_u32 v10, v5, 16, 1
	v_cndmask_b32_e32 v7, 0x7fc00000, v8, vcc_lo
	v_bfe_u32 v8, v0, 16, 1
	v_cmp_o_f32_e32 vcc_lo, v0, v0
	v_lshrrev_b32_e32 v9, 16, v9
	v_add3_u32 v10, v5, v10, 0x7fff
	v_bfe_u32 v11, v7, 16, 1
	v_add3_u32 v8, v0, v8, 0x7fff
	s_delay_alu instid0(VALU_DEP_3) | instskip(NEXT) | instid1(VALU_DEP_3)
	v_and_b32_e32 v10, 0xffff0000, v10
	v_add3_u32 v11, v7, v11, 0x7fff
	s_delay_alu instid0(VALU_DEP_3) | instskip(NEXT) | instid1(VALU_DEP_2)
	v_and_b32_e32 v8, 0xffff0000, v8
	v_lshrrev_b32_e32 v11, 16, v11
	s_delay_alu instid0(VALU_DEP_2) | instskip(SKIP_3) | instid1(VALU_DEP_2)
	v_cndmask_b32_e32 v0, 0x7fc00000, v8, vcc_lo
	v_cmp_o_f32_e32 vcc_lo, v6, v6
	v_cndmask_b32_e32 v6, 0x7fc0, v9, vcc_lo
	v_cmp_o_f32_e32 vcc_lo, v5, v5
	v_or_b32_e32 v0, v6, v0
	v_cndmask_b32_e32 v5, 0x7fc00000, v10, vcc_lo
	v_cmp_o_f32_e32 vcc_lo, v7, v7
	v_cndmask_b32_e32 v7, 0x7fc0, v11, vcc_lo
	v_cmp_le_i64_e32 vcc_lo, s[24:25], v[1:2]
	v_add_co_u32 v1, s1, v1, s29
	s_delay_alu instid0(VALU_DEP_1) | instskip(NEXT) | instid1(VALU_DEP_4)
	v_add_co_ci_u32_e64 v2, s1, 0, v2, s1
	v_or3_b32 v6, 0, v7, v5
	v_or3_b32 v5, v0, 0, 0
	s_or_b32 s0, vcc_lo, s0
	s_delay_alu instid0(SALU_CYCLE_1) | instskip(SKIP_4) | instid1(SALU_CYCLE_1)
	s_and_b32 s0, exec_lo, s0
	global_store_b64 v[3:4], v[5:6], off
	v_add_co_u32 v3, vcc_lo, v3, s28
	v_add_co_ci_u32_e32 v4, vcc_lo, 0, v4, vcc_lo
	s_or_b32 s27, s0, s27
	s_and_not1_b32 exec_lo, exec_lo, s27
	s_cbranch_execnz .LBB84_24
.LBB84_25:
	s_nop 0
	s_sendmsg sendmsg(MSG_DEALLOC_VGPRS)
	s_endpgm
	.section	.rodata,"a",@progbits
	.p2align	6, 0x0
	.amdhsa_kernel _ZN2at6native12_GLOBAL__N_125multi_tensor_apply_kernelINS1_28TensorListScalarListMetadataIfLi1EEENS1_25BinaryOpScalarListFunctorIN3c108BFloat16ELi1ELi1ELi0EEEJNS1_13power_functorIfEEEEEvT_T0_DpT1_
		.amdhsa_group_segment_fixed_size 0
		.amdhsa_private_segment_fixed_size 0
		.amdhsa_kernarg_size 3784
		.amdhsa_user_sgpr_count 15
		.amdhsa_user_sgpr_dispatch_ptr 0
		.amdhsa_user_sgpr_queue_ptr 0
		.amdhsa_user_sgpr_kernarg_segment_ptr 1
		.amdhsa_user_sgpr_dispatch_id 0
		.amdhsa_user_sgpr_private_segment_size 0
		.amdhsa_wavefront_size32 1
		.amdhsa_uses_dynamic_stack 0
		.amdhsa_enable_private_segment 0
		.amdhsa_system_sgpr_workgroup_id_x 1
		.amdhsa_system_sgpr_workgroup_id_y 0
		.amdhsa_system_sgpr_workgroup_id_z 0
		.amdhsa_system_sgpr_workgroup_info 0
		.amdhsa_system_vgpr_workitem_id 0
		.amdhsa_next_free_vgpr 75
		.amdhsa_next_free_sgpr 31
		.amdhsa_reserve_vcc 1
		.amdhsa_float_round_mode_32 0
		.amdhsa_float_round_mode_16_64 0
		.amdhsa_float_denorm_mode_32 3
		.amdhsa_float_denorm_mode_16_64 3
		.amdhsa_dx10_clamp 1
		.amdhsa_ieee_mode 1
		.amdhsa_fp16_overflow 0
		.amdhsa_workgroup_processor_mode 1
		.amdhsa_memory_ordered 1
		.amdhsa_forward_progress 0
		.amdhsa_shared_vgpr_count 0
		.amdhsa_exception_fp_ieee_invalid_op 0
		.amdhsa_exception_fp_denorm_src 0
		.amdhsa_exception_fp_ieee_div_zero 0
		.amdhsa_exception_fp_ieee_overflow 0
		.amdhsa_exception_fp_ieee_underflow 0
		.amdhsa_exception_fp_ieee_inexact 0
		.amdhsa_exception_int_div_zero 0
	.end_amdhsa_kernel
	.section	.text._ZN2at6native12_GLOBAL__N_125multi_tensor_apply_kernelINS1_28TensorListScalarListMetadataIfLi1EEENS1_25BinaryOpScalarListFunctorIN3c108BFloat16ELi1ELi1ELi0EEEJNS1_13power_functorIfEEEEEvT_T0_DpT1_,"axG",@progbits,_ZN2at6native12_GLOBAL__N_125multi_tensor_apply_kernelINS1_28TensorListScalarListMetadataIfLi1EEENS1_25BinaryOpScalarListFunctorIN3c108BFloat16ELi1ELi1ELi0EEEJNS1_13power_functorIfEEEEEvT_T0_DpT1_,comdat
.Lfunc_end84:
	.size	_ZN2at6native12_GLOBAL__N_125multi_tensor_apply_kernelINS1_28TensorListScalarListMetadataIfLi1EEENS1_25BinaryOpScalarListFunctorIN3c108BFloat16ELi1ELi1ELi0EEEJNS1_13power_functorIfEEEEEvT_T0_DpT1_, .Lfunc_end84-_ZN2at6native12_GLOBAL__N_125multi_tensor_apply_kernelINS1_28TensorListScalarListMetadataIfLi1EEENS1_25BinaryOpScalarListFunctorIN3c108BFloat16ELi1ELi1ELi0EEEJNS1_13power_functorIfEEEEEvT_T0_DpT1_
                                        ; -- End function
	.section	.AMDGPU.csdata,"",@progbits
; Kernel info:
; codeLenInByte = 10832
; NumSgprs: 33
; NumVgprs: 75
; ScratchSize: 0
; MemoryBound: 0
; FloatMode: 240
; IeeeMode: 1
; LDSByteSize: 0 bytes/workgroup (compile time only)
; SGPRBlocks: 4
; VGPRBlocks: 9
; NumSGPRsForWavesPerEU: 33
; NumVGPRsForWavesPerEU: 75
; Occupancy: 16
; WaveLimiterHint : 0
; COMPUTE_PGM_RSRC2:SCRATCH_EN: 0
; COMPUTE_PGM_RSRC2:USER_SGPR: 15
; COMPUTE_PGM_RSRC2:TRAP_HANDLER: 0
; COMPUTE_PGM_RSRC2:TGID_X_EN: 1
; COMPUTE_PGM_RSRC2:TGID_Y_EN: 0
; COMPUTE_PGM_RSRC2:TGID_Z_EN: 0
; COMPUTE_PGM_RSRC2:TIDIG_COMP_CNT: 0
	.section	.text._ZN2at6native12_GLOBAL__N_125multi_tensor_apply_kernelINS1_28TensorListScalarListMetadataIhLi2EEENS1_25BinaryOpScalarListFunctorIhLi2ELi1ELi1EEEJNS1_13power_functorIhEEEEEvT_T0_DpT1_,"axG",@progbits,_ZN2at6native12_GLOBAL__N_125multi_tensor_apply_kernelINS1_28TensorListScalarListMetadataIhLi2EEENS1_25BinaryOpScalarListFunctorIhLi2ELi1ELi1EEEJNS1_13power_functorIhEEEEEvT_T0_DpT1_,comdat
	.globl	_ZN2at6native12_GLOBAL__N_125multi_tensor_apply_kernelINS1_28TensorListScalarListMetadataIhLi2EEENS1_25BinaryOpScalarListFunctorIhLi2ELi1ELi1EEEJNS1_13power_functorIhEEEEEvT_T0_DpT1_ ; -- Begin function _ZN2at6native12_GLOBAL__N_125multi_tensor_apply_kernelINS1_28TensorListScalarListMetadataIhLi2EEENS1_25BinaryOpScalarListFunctorIhLi2ELi1ELi1EEEJNS1_13power_functorIhEEEEEvT_T0_DpT1_
	.p2align	8
	.type	_ZN2at6native12_GLOBAL__N_125multi_tensor_apply_kernelINS1_28TensorListScalarListMetadataIhLi2EEENS1_25BinaryOpScalarListFunctorIhLi2ELi1ELi1EEEJNS1_13power_functorIhEEEEEvT_T0_DpT1_,@function
_ZN2at6native12_GLOBAL__N_125multi_tensor_apply_kernelINS1_28TensorListScalarListMetadataIhLi2EEENS1_25BinaryOpScalarListFunctorIhLi2ELi1ELi1EEEJNS1_13power_functorIhEEEEEvT_T0_DpT1_: ; @_ZN2at6native12_GLOBAL__N_125multi_tensor_apply_kernelINS1_28TensorListScalarListMetadataIhLi2EEENS1_25BinaryOpScalarListFunctorIhLi2ELi1ELi1EEEJNS1_13power_functorIhEEEEEvT_T0_DpT1_
; %bb.0:
	v_mov_b32_e32 v1, s15
	s_mul_hi_u32 s3, s15, 3
	global_load_u8 v3, v1, s[0:1] offset:1600
	s_waitcnt vmcnt(0)
	v_add_co_u32 v1, s2, s0, v3
	s_delay_alu instid0(VALU_DEP_1)
	v_add_co_ci_u32_e64 v2, null, s1, 0, s2
	s_add_u32 s2, s0, s15
	s_mul_i32 s15, s15, 3
	s_addc_u32 s4, s1, 0
	global_load_u8 v1, v[1:2], off offset:1536
	s_add_u32 s2, s2, s15
	s_addc_u32 s3, s4, s3
	v_readfirstlane_b32 s5, v3
	s_load_b32 s2, s[2:3], 0x780
	s_delay_alu instid0(VALU_DEP_1)
	s_lshl_b32 s3, s5, 3
	s_clause 0x2
	s_load_b64 s[4:5], s[0:1], s3 offset:0x0
	s_load_b64 s[10:11], s[0:1], s3 offset:0x200
	;; [unrolled: 1-line block ×3, first 2 shown]
	s_waitcnt lgkmcnt(0)
	s_ashr_i32 s3, s2, 31
	s_delay_alu instid0(SALU_CYCLE_1) | instskip(NEXT) | instid1(SALU_CYCLE_1)
	s_lshl_b64 s[2:3], s[2:3], 16
	s_add_u32 s8, s4, s2
	s_addc_u32 s9, s5, s3
	s_add_u32 s7, s10, s2
	s_addc_u32 s16, s11, s3
	s_or_b64 s[4:5], s[12:13], s[8:9]
	s_delay_alu instid0(SALU_CYCLE_1) | instskip(NEXT) | instid1(SALU_CYCLE_1)
	s_or_b32 s4, s7, s4
	s_and_b32 s4, s4, 3
	s_sub_u32 s10, s12, s2
	s_subb_u32 s11, s13, s3
	s_cmp_eq_u32 s4, 0
	s_mov_b32 s2, -1
	s_waitcnt vmcnt(0)
	v_readfirstlane_b32 s17, v1
	s_cbranch_scc1 .LBB85_32
; %bb.1:
	v_cmp_lt_i64_e64 s2, s[10:11], 1
	s_delay_alu instid0(VALU_DEP_1)
	s_and_b32 vcc_lo, exec_lo, s2
	s_cbranch_vccnz .LBB85_31
; %bb.2:
	s_load_b32 s3, s[0:1], 0xc94
	v_and_b32_e64 v1, 0xff, s17
	v_cmp_gt_u64_e64 s4, 0x10000, s[10:11]
	s_mov_b64 s[14:15], 0
	s_delay_alu instid0(VALU_DEP_2) | instskip(SKIP_2) | instid1(VALU_DEP_2)
	v_cmp_ne_u16_e64 s2, 0, v1
	s_waitcnt lgkmcnt(0)
	s_and_b32 s18, s3, 0xffff
	s_and_b32 s3, s4, exec_lo
	s_cselect_b32 s13, s11, 0
	s_cselect_b32 s12, s10, 0x10000
	s_lshl_b32 s19, s18, 1
	s_mul_i32 s20, s18, 3
	s_lshl_b32 s21, s18, 2
	s_branch .LBB85_4
.LBB85_3:                               ;   in Loop: Header=BB85_4 Depth=1
	s_or_b32 exec_lo, exec_lo, s3
	s_add_u32 s14, s14, s21
	s_addc_u32 s15, s15, 0
	s_delay_alu instid0(SALU_CYCLE_1) | instskip(SKIP_1) | instid1(VALU_DEP_1)
	v_cmp_ge_i64_e64 s3, s[14:15], s[10:11]
	v_cmp_lt_u64_e64 s4, 0xffff, s[14:15]
	s_or_b32 s3, s3, s4
	s_delay_alu instid0(SALU_CYCLE_1)
	s_and_b32 vcc_lo, exec_lo, s3
	s_cbranch_vccnz .LBB85_31
.LBB85_4:                               ; =>This Loop Header: Depth=1
                                        ;     Child Loop BB85_14 Depth 2
                                        ;     Child Loop BB85_17 Depth 2
	;; [unrolled: 1-line block ×4, first 2 shown]
	v_add_co_u32 v1, s3, s14, v0
	s_delay_alu instid0(VALU_DEP_1) | instskip(SKIP_1) | instid1(VALU_DEP_2)
	v_add_co_ci_u32_e64 v2, null, s15, 0, s3
	v_mov_b32_e32 v12, 0
	v_cmp_gt_u64_e64 s3, s[12:13], v[1:2]
	s_delay_alu instid0(VALU_DEP_1)
	s_and_saveexec_b32 s4, s3
	s_cbranch_execz .LBB85_6
; %bb.5:                                ;   in Loop: Header=BB85_4 Depth=1
	v_add_co_u32 v3, vcc_lo, s8, v1
	v_add_co_ci_u32_e32 v4, vcc_lo, s9, v2, vcc_lo
	global_load_u8 v12, v[3:4], off
.LBB85_6:                               ;   in Loop: Header=BB85_4 Depth=1
	s_or_b32 exec_lo, exec_lo, s4
	v_add_co_u32 v3, vcc_lo, v1, s18
	v_add_co_ci_u32_e32 v4, vcc_lo, 0, v2, vcc_lo
	v_mov_b32_e32 v13, 0
	s_delay_alu instid0(VALU_DEP_2) | instskip(NEXT) | instid1(VALU_DEP_1)
	v_cmp_gt_u64_e64 s4, s[12:13], v[3:4]
	s_and_saveexec_b32 s5, s4
	s_cbranch_execz .LBB85_8
; %bb.7:                                ;   in Loop: Header=BB85_4 Depth=1
	v_add_co_u32 v5, vcc_lo, s8, v3
	v_add_co_ci_u32_e32 v6, vcc_lo, s9, v4, vcc_lo
	global_load_u8 v13, v[5:6], off
.LBB85_8:                               ;   in Loop: Header=BB85_4 Depth=1
	s_or_b32 exec_lo, exec_lo, s5
	v_add_co_u32 v5, vcc_lo, v1, s19
	v_add_co_ci_u32_e32 v6, vcc_lo, 0, v2, vcc_lo
	v_mov_b32_e32 v9, 0
	v_mov_b32_e32 v11, 0
	s_delay_alu instid0(VALU_DEP_3) | instskip(NEXT) | instid1(VALU_DEP_1)
	v_cmp_gt_u64_e64 s5, s[12:13], v[5:6]
	s_and_saveexec_b32 s6, s5
	s_cbranch_execz .LBB85_10
; %bb.9:                                ;   in Loop: Header=BB85_4 Depth=1
	v_add_co_u32 v7, vcc_lo, s8, v5
	v_add_co_ci_u32_e32 v8, vcc_lo, s9, v6, vcc_lo
	global_load_u8 v11, v[7:8], off
.LBB85_10:                              ;   in Loop: Header=BB85_4 Depth=1
	s_or_b32 exec_lo, exec_lo, s6
	v_add_co_u32 v7, vcc_lo, v1, s20
	v_add_co_ci_u32_e32 v8, vcc_lo, 0, v2, vcc_lo
	s_delay_alu instid0(VALU_DEP_1) | instskip(NEXT) | instid1(VALU_DEP_1)
	v_cmp_gt_u64_e64 s6, s[12:13], v[7:8]
	s_and_saveexec_b32 s22, s6
	s_cbranch_execz .LBB85_12
; %bb.11:                               ;   in Loop: Header=BB85_4 Depth=1
	v_add_co_u32 v9, vcc_lo, s8, v7
	v_add_co_ci_u32_e32 v10, vcc_lo, s9, v8, vcc_lo
	global_load_u8 v9, v[9:10], off
.LBB85_12:                              ;   in Loop: Header=BB85_4 Depth=1
	s_or_b32 exec_lo, exec_lo, s22
	v_mov_b32_e32 v10, 1
	s_and_not1_b32 vcc_lo, exec_lo, s2
	s_cbranch_vccnz .LBB85_15
; %bb.13:                               ;   in Loop: Header=BB85_4 Depth=1
	s_mov_b32 s22, s17
.LBB85_14:                              ;   Parent Loop BB85_4 Depth=1
                                        ; =>  This Inner Loop Header: Depth=2
	s_delay_alu instid0(SALU_CYCLE_1)
	s_bitcmp1_b32 s22, 0
	v_and_b32_e64 v14, 0xff, s22
	s_cselect_b32 vcc_lo, -1, 0
	s_bfe_u32 s22, s22, 0x70001
	s_waitcnt vmcnt(0)
	v_cndmask_b32_e32 v15, 1, v12, vcc_lo
	v_mul_lo_u16 v12, v12, v12
	v_cmp_lt_u16_e32 vcc_lo, 1, v14
	s_delay_alu instid0(VALU_DEP_3)
	v_mul_lo_u16 v10, v15, v10
	s_cbranch_vccnz .LBB85_14
.LBB85_15:                              ;   in Loop: Header=BB85_4 Depth=1
	v_mov_b32_e32 v14, 1
	s_waitcnt vmcnt(0)
	v_mov_b32_e32 v12, 1
	s_and_not1_b32 vcc_lo, exec_lo, s2
	s_cbranch_vccnz .LBB85_20
; %bb.16:                               ;   in Loop: Header=BB85_4 Depth=1
	v_mov_b32_e32 v12, 1
	s_mov_b32 s22, s17
.LBB85_17:                              ;   Parent Loop BB85_4 Depth=1
                                        ; =>  This Inner Loop Header: Depth=2
	s_delay_alu instid0(SALU_CYCLE_1)
	s_bitcmp1_b32 s22, 0
	v_and_b32_e64 v14, 0xff, s22
	s_cselect_b32 vcc_lo, -1, 0
	s_bfe_u32 s22, s22, 0x70001
	v_cndmask_b32_e32 v15, 1, v13, vcc_lo
	v_mul_lo_u16 v13, v13, v13
	v_cmp_lt_u16_e32 vcc_lo, 1, v14
	s_delay_alu instid0(VALU_DEP_3)
	v_mul_lo_u16 v12, v15, v12
	s_cbranch_vccnz .LBB85_17
; %bb.18:                               ;   in Loop: Header=BB85_4 Depth=1
	v_mov_b32_e32 v14, 1
	s_mov_b32 s22, s17
.LBB85_19:                              ;   Parent Loop BB85_4 Depth=1
                                        ; =>  This Inner Loop Header: Depth=2
	s_delay_alu instid0(SALU_CYCLE_1)
	s_bitcmp1_b32 s22, 0
	v_and_b32_e64 v13, 0xff, s22
	s_cselect_b32 vcc_lo, -1, 0
	s_bfe_u32 s22, s22, 0x70001
	v_cndmask_b32_e32 v15, 1, v11, vcc_lo
	v_mul_lo_u16 v11, v11, v11
	v_cmp_lt_u16_e32 vcc_lo, 1, v13
	s_delay_alu instid0(VALU_DEP_3)
	v_mul_lo_u16 v14, v15, v14
	s_cbranch_vccnz .LBB85_19
.LBB85_20:                              ;   in Loop: Header=BB85_4 Depth=1
	v_mov_b32_e32 v11, 1
	s_and_not1_b32 vcc_lo, exec_lo, s2
	s_cbranch_vccnz .LBB85_23
; %bb.21:                               ;   in Loop: Header=BB85_4 Depth=1
	s_mov_b32 s22, s17
.LBB85_22:                              ;   Parent Loop BB85_4 Depth=1
                                        ; =>  This Inner Loop Header: Depth=2
	s_delay_alu instid0(SALU_CYCLE_1)
	s_bitcmp1_b32 s22, 0
	v_and_b32_e64 v13, 0xff, s22
	s_cselect_b32 vcc_lo, -1, 0
	s_bfe_u32 s22, s22, 0x70001
	v_cndmask_b32_e32 v15, 1, v9, vcc_lo
	v_mul_lo_u16 v9, v9, v9
	v_cmp_lt_u16_e32 vcc_lo, 1, v13
	s_delay_alu instid0(VALU_DEP_3)
	v_mul_lo_u16 v11, v15, v11
	s_cbranch_vccnz .LBB85_22
.LBB85_23:                              ;   in Loop: Header=BB85_4 Depth=1
	s_and_saveexec_b32 s22, s3
	s_delay_alu instid0(SALU_CYCLE_1)
	s_xor_b32 s3, exec_lo, s22
	s_cbranch_execnz .LBB85_27
; %bb.24:                               ;   in Loop: Header=BB85_4 Depth=1
	s_or_b32 exec_lo, exec_lo, s3
	s_and_saveexec_b32 s3, s4
	s_cbranch_execnz .LBB85_28
.LBB85_25:                              ;   in Loop: Header=BB85_4 Depth=1
	s_or_b32 exec_lo, exec_lo, s3
	s_and_saveexec_b32 s3, s5
	s_cbranch_execnz .LBB85_29
.LBB85_26:                              ;   in Loop: Header=BB85_4 Depth=1
	s_or_b32 exec_lo, exec_lo, s3
	s_and_saveexec_b32 s3, s6
	s_cbranch_execz .LBB85_3
	s_branch .LBB85_30
.LBB85_27:                              ;   in Loop: Header=BB85_4 Depth=1
	v_add_co_u32 v1, vcc_lo, s7, v1
	v_add_co_ci_u32_e32 v2, vcc_lo, s16, v2, vcc_lo
	global_store_b8 v[1:2], v10, off
	s_or_b32 exec_lo, exec_lo, s3
	s_and_saveexec_b32 s3, s4
	s_cbranch_execz .LBB85_25
.LBB85_28:                              ;   in Loop: Header=BB85_4 Depth=1
	v_add_co_u32 v1, vcc_lo, s7, v3
	v_add_co_ci_u32_e32 v2, vcc_lo, s16, v4, vcc_lo
	global_store_b8 v[1:2], v12, off
	s_or_b32 exec_lo, exec_lo, s3
	s_and_saveexec_b32 s3, s5
	s_cbranch_execz .LBB85_26
.LBB85_29:                              ;   in Loop: Header=BB85_4 Depth=1
	v_add_co_u32 v1, vcc_lo, s7, v5
	v_add_co_ci_u32_e32 v2, vcc_lo, s16, v6, vcc_lo
	global_store_b8 v[1:2], v14, off
	s_or_b32 exec_lo, exec_lo, s3
	s_and_saveexec_b32 s3, s6
	s_cbranch_execz .LBB85_3
.LBB85_30:                              ;   in Loop: Header=BB85_4 Depth=1
	v_add_co_u32 v1, vcc_lo, s7, v7
	v_add_co_ci_u32_e32 v2, vcc_lo, s16, v8, vcc_lo
	global_store_b8 v[1:2], v11, off
	s_branch .LBB85_3
.LBB85_31:
	s_mov_b32 s2, 0
.LBB85_32:
	s_delay_alu instid0(SALU_CYCLE_1)
	s_and_not1_b32 vcc_lo, exec_lo, s2
	s_cbranch_vccnz .LBB85_46
; %bb.33:
	v_dual_mov_b32 v2, 0 :: v_dual_lshlrev_b32 v1, 2, v0
	s_mov_b32 s3, 0
	s_mov_b32 s2, exec_lo
	s_delay_alu instid0(VALU_DEP_1)
	v_cmpx_gt_i64_e64 s[10:11], v[1:2]
	s_cbranch_execz .LBB85_46
; %bb.34:
	s_load_b32 s1, s[0:1], 0xc94
	v_and_b32_e64 v3, 0xff, s17
	v_mov_b32_e32 v1, v2
	s_delay_alu instid0(VALU_DEP_2)
	v_cmp_ne_u16_e64 s0, 0, v3
	s_waitcnt lgkmcnt(0)
	s_and_b32 s4, s1, 0xffff
	s_branch .LBB85_36
.LBB85_35:                              ;   in Loop: Header=BB85_36 Depth=1
	v_add_co_u32 v0, vcc_lo, v0, s4
	v_add_co_ci_u32_e32 v1, vcc_lo, 0, v1, vcc_lo
	v_and_b32_e32 v7, 0xff, v7
	v_and_b32_e32 v9, 0xff, v5
	;; [unrolled: 1-line block ×3, first 2 shown]
	s_waitcnt vmcnt(0)
	v_lshlrev_b64 v[5:6], 2, v[0:1]
	v_add_co_u32 v2, s2, s7, v2
	v_lshlrev_b32_e32 v7, 16, v7
	v_lshlrev_b32_e32 v9, 8, v9
	v_add_co_ci_u32_e64 v3, s2, s16, v3, s2
	v_cmp_le_i64_e32 vcc_lo, s[10:11], v[5:6]
	v_cmp_lt_u64_e64 s1, 0xffff, v[5:6]
	v_lshl_or_b32 v7, v8, 24, v7
	s_delay_alu instid0(VALU_DEP_1) | instskip(NEXT) | instid1(VALU_DEP_3)
	v_or3_b32 v4, v7, v9, v4
	s_or_b32 s1, vcc_lo, s1
	s_delay_alu instid0(SALU_CYCLE_1) | instskip(NEXT) | instid1(SALU_CYCLE_1)
	s_and_b32 s1, exec_lo, s1
	s_or_b32 s3, s1, s3
	global_store_b32 v[2:3], v4, off
	s_and_not1_b32 exec_lo, exec_lo, s3
	s_cbranch_execz .LBB85_46
.LBB85_36:                              ; =>This Loop Header: Depth=1
                                        ;     Child Loop BB85_38 Depth 2
                                        ;     Child Loop BB85_40 Depth 2
	;; [unrolled: 1-line block ×4, first 2 shown]
	v_lshlrev_b64 v[2:3], 2, v[0:1]
	s_delay_alu instid0(VALU_DEP_1) | instskip(NEXT) | instid1(VALU_DEP_2)
	v_add_co_u32 v4, vcc_lo, s8, v2
	v_add_co_ci_u32_e32 v5, vcc_lo, s9, v3, vcc_lo
	s_and_not1_b32 vcc_lo, exec_lo, s0
	global_load_b32 v6, v[4:5], off
	v_dual_mov_b32 v5, 1 :: v_dual_mov_b32 v4, 1
	s_cbranch_vccnz .LBB85_41
; %bb.37:                               ;   in Loop: Header=BB85_36 Depth=1
	s_waitcnt vmcnt(0)
	v_dual_mov_b32 v4, 1 :: v_dual_mov_b32 v5, v6
	s_mov_b32 s1, s17
.LBB85_38:                              ;   Parent Loop BB85_36 Depth=1
                                        ; =>  This Inner Loop Header: Depth=2
	s_delay_alu instid0(SALU_CYCLE_1)
	s_bitcmp1_b32 s1, 0
	v_and_b32_e64 v7, 0xff, s1
	s_cselect_b32 vcc_lo, -1, 0
	s_bfe_u32 s1, s1, 0x70001
	v_cndmask_b32_e32 v8, 1, v5, vcc_lo
	v_mul_lo_u16 v5, v5, v5
	v_cmp_lt_u16_e32 vcc_lo, 1, v7
	s_delay_alu instid0(VALU_DEP_3)
	v_mul_lo_u16 v4, v8, v4
	s_cbranch_vccnz .LBB85_38
; %bb.39:                               ;   in Loop: Header=BB85_36 Depth=1
	v_lshrrev_b32_e32 v7, 8, v6
	v_mov_b32_e32 v5, 1
	s_mov_b32 s1, s17
.LBB85_40:                              ;   Parent Loop BB85_36 Depth=1
                                        ; =>  This Inner Loop Header: Depth=2
	s_delay_alu instid0(SALU_CYCLE_1)
	s_bitcmp1_b32 s1, 0
	v_and_b32_e64 v8, 0xff, s1
	s_cselect_b32 vcc_lo, -1, 0
	s_bfe_u32 s1, s1, 0x70001
	v_cndmask_b32_e32 v9, 1, v7, vcc_lo
	v_mul_lo_u16 v7, v7, v7
	v_cmp_lt_u16_e32 vcc_lo, 1, v8
	s_delay_alu instid0(VALU_DEP_3)
	v_mul_lo_u16 v5, v9, v5
	s_cbranch_vccnz .LBB85_40
.LBB85_41:                              ;   in Loop: Header=BB85_36 Depth=1
	v_dual_mov_b32 v8, 1 :: v_dual_mov_b32 v7, 1
	s_and_not1_b32 vcc_lo, exec_lo, s0
	s_cbranch_vccnz .LBB85_35
; %bb.42:                               ;   in Loop: Header=BB85_36 Depth=1
	s_waitcnt vmcnt(0)
	v_lshrrev_b32_e32 v8, 16, v6
	v_mov_b32_e32 v7, 1
	s_mov_b32 s1, s17
.LBB85_43:                              ;   Parent Loop BB85_36 Depth=1
                                        ; =>  This Inner Loop Header: Depth=2
	s_delay_alu instid0(SALU_CYCLE_1)
	s_bitcmp1_b32 s1, 0
	v_and_b32_e64 v9, 0xff, s1
	s_cselect_b32 vcc_lo, -1, 0
	s_bfe_u32 s1, s1, 0x70001
	v_cndmask_b32_e32 v10, 1, v8, vcc_lo
	v_mul_lo_u16 v8, v8, v8
	v_cmp_lt_u16_e32 vcc_lo, 1, v9
	s_delay_alu instid0(VALU_DEP_3)
	v_mul_lo_u16 v7, v10, v7
	s_cbranch_vccnz .LBB85_43
; %bb.44:                               ;   in Loop: Header=BB85_36 Depth=1
	v_lshrrev_b32_e32 v6, 24, v6
	v_mov_b32_e32 v8, 1
	s_mov_b32 s1, s17
.LBB85_45:                              ;   Parent Loop BB85_36 Depth=1
                                        ; =>  This Inner Loop Header: Depth=2
	s_delay_alu instid0(SALU_CYCLE_1)
	s_bitcmp1_b32 s1, 0
	v_and_b32_e64 v9, 0xff, s1
	s_cselect_b32 vcc_lo, -1, 0
	s_bfe_u32 s1, s1, 0x70001
	v_cndmask_b32_e32 v10, 1, v6, vcc_lo
	v_mul_lo_u16 v6, v6, v6
	v_cmp_lt_u16_e32 vcc_lo, 1, v9
	s_delay_alu instid0(VALU_DEP_3)
	v_mul_lo_u16 v8, v10, v8
	s_cbranch_vccnz .LBB85_45
	s_branch .LBB85_35
.LBB85_46:
	s_nop 0
	s_sendmsg sendmsg(MSG_DEALLOC_VGPRS)
	s_endpgm
	.section	.rodata,"a",@progbits
	.p2align	6, 0x0
	.amdhsa_kernel _ZN2at6native12_GLOBAL__N_125multi_tensor_apply_kernelINS1_28TensorListScalarListMetadataIhLi2EEENS1_25BinaryOpScalarListFunctorIhLi2ELi1ELi1EEEJNS1_13power_functorIhEEEEEvT_T0_DpT1_
		.amdhsa_group_segment_fixed_size 0
		.amdhsa_private_segment_fixed_size 0
		.amdhsa_kernarg_size 3464
		.amdhsa_user_sgpr_count 15
		.amdhsa_user_sgpr_dispatch_ptr 0
		.amdhsa_user_sgpr_queue_ptr 0
		.amdhsa_user_sgpr_kernarg_segment_ptr 1
		.amdhsa_user_sgpr_dispatch_id 0
		.amdhsa_user_sgpr_private_segment_size 0
		.amdhsa_wavefront_size32 1
		.amdhsa_uses_dynamic_stack 0
		.amdhsa_enable_private_segment 0
		.amdhsa_system_sgpr_workgroup_id_x 1
		.amdhsa_system_sgpr_workgroup_id_y 0
		.amdhsa_system_sgpr_workgroup_id_z 0
		.amdhsa_system_sgpr_workgroup_info 0
		.amdhsa_system_vgpr_workitem_id 0
		.amdhsa_next_free_vgpr 16
		.amdhsa_next_free_sgpr 23
		.amdhsa_reserve_vcc 1
		.amdhsa_float_round_mode_32 0
		.amdhsa_float_round_mode_16_64 0
		.amdhsa_float_denorm_mode_32 3
		.amdhsa_float_denorm_mode_16_64 3
		.amdhsa_dx10_clamp 1
		.amdhsa_ieee_mode 1
		.amdhsa_fp16_overflow 0
		.amdhsa_workgroup_processor_mode 1
		.amdhsa_memory_ordered 1
		.amdhsa_forward_progress 0
		.amdhsa_shared_vgpr_count 0
		.amdhsa_exception_fp_ieee_invalid_op 0
		.amdhsa_exception_fp_denorm_src 0
		.amdhsa_exception_fp_ieee_div_zero 0
		.amdhsa_exception_fp_ieee_overflow 0
		.amdhsa_exception_fp_ieee_underflow 0
		.amdhsa_exception_fp_ieee_inexact 0
		.amdhsa_exception_int_div_zero 0
	.end_amdhsa_kernel
	.section	.text._ZN2at6native12_GLOBAL__N_125multi_tensor_apply_kernelINS1_28TensorListScalarListMetadataIhLi2EEENS1_25BinaryOpScalarListFunctorIhLi2ELi1ELi1EEEJNS1_13power_functorIhEEEEEvT_T0_DpT1_,"axG",@progbits,_ZN2at6native12_GLOBAL__N_125multi_tensor_apply_kernelINS1_28TensorListScalarListMetadataIhLi2EEENS1_25BinaryOpScalarListFunctorIhLi2ELi1ELi1EEEJNS1_13power_functorIhEEEEEvT_T0_DpT1_,comdat
.Lfunc_end85:
	.size	_ZN2at6native12_GLOBAL__N_125multi_tensor_apply_kernelINS1_28TensorListScalarListMetadataIhLi2EEENS1_25BinaryOpScalarListFunctorIhLi2ELi1ELi1EEEJNS1_13power_functorIhEEEEEvT_T0_DpT1_, .Lfunc_end85-_ZN2at6native12_GLOBAL__N_125multi_tensor_apply_kernelINS1_28TensorListScalarListMetadataIhLi2EEENS1_25BinaryOpScalarListFunctorIhLi2ELi1ELi1EEEJNS1_13power_functorIhEEEEEvT_T0_DpT1_
                                        ; -- End function
	.section	.AMDGPU.csdata,"",@progbits
; Kernel info:
; codeLenInByte = 1740
; NumSgprs: 25
; NumVgprs: 16
; ScratchSize: 0
; MemoryBound: 0
; FloatMode: 240
; IeeeMode: 1
; LDSByteSize: 0 bytes/workgroup (compile time only)
; SGPRBlocks: 3
; VGPRBlocks: 1
; NumSGPRsForWavesPerEU: 25
; NumVGPRsForWavesPerEU: 16
; Occupancy: 16
; WaveLimiterHint : 0
; COMPUTE_PGM_RSRC2:SCRATCH_EN: 0
; COMPUTE_PGM_RSRC2:USER_SGPR: 15
; COMPUTE_PGM_RSRC2:TRAP_HANDLER: 0
; COMPUTE_PGM_RSRC2:TGID_X_EN: 1
; COMPUTE_PGM_RSRC2:TGID_Y_EN: 0
; COMPUTE_PGM_RSRC2:TGID_Z_EN: 0
; COMPUTE_PGM_RSRC2:TIDIG_COMP_CNT: 0
	.section	.text._ZN2at6native12_GLOBAL__N_125multi_tensor_apply_kernelINS1_28TensorListScalarListMetadataIaLi2EEENS1_25BinaryOpScalarListFunctorIaLi2ELi1ELi1EEEJNS1_13power_functorIaEEEEEvT_T0_DpT1_,"axG",@progbits,_ZN2at6native12_GLOBAL__N_125multi_tensor_apply_kernelINS1_28TensorListScalarListMetadataIaLi2EEENS1_25BinaryOpScalarListFunctorIaLi2ELi1ELi1EEEJNS1_13power_functorIaEEEEEvT_T0_DpT1_,comdat
	.globl	_ZN2at6native12_GLOBAL__N_125multi_tensor_apply_kernelINS1_28TensorListScalarListMetadataIaLi2EEENS1_25BinaryOpScalarListFunctorIaLi2ELi1ELi1EEEJNS1_13power_functorIaEEEEEvT_T0_DpT1_ ; -- Begin function _ZN2at6native12_GLOBAL__N_125multi_tensor_apply_kernelINS1_28TensorListScalarListMetadataIaLi2EEENS1_25BinaryOpScalarListFunctorIaLi2ELi1ELi1EEEJNS1_13power_functorIaEEEEEvT_T0_DpT1_
	.p2align	8
	.type	_ZN2at6native12_GLOBAL__N_125multi_tensor_apply_kernelINS1_28TensorListScalarListMetadataIaLi2EEENS1_25BinaryOpScalarListFunctorIaLi2ELi1ELi1EEEJNS1_13power_functorIaEEEEEvT_T0_DpT1_,@function
_ZN2at6native12_GLOBAL__N_125multi_tensor_apply_kernelINS1_28TensorListScalarListMetadataIaLi2EEENS1_25BinaryOpScalarListFunctorIaLi2ELi1ELi1EEEJNS1_13power_functorIaEEEEEvT_T0_DpT1_: ; @_ZN2at6native12_GLOBAL__N_125multi_tensor_apply_kernelINS1_28TensorListScalarListMetadataIaLi2EEENS1_25BinaryOpScalarListFunctorIaLi2ELi1ELi1EEEJNS1_13power_functorIaEEEEEvT_T0_DpT1_
; %bb.0:
	v_mov_b32_e32 v1, s15
	s_mul_hi_u32 s3, s15, 3
	global_load_u8 v3, v1, s[0:1] offset:1600
	s_waitcnt vmcnt(0)
	v_add_co_u32 v1, s2, s0, v3
	s_delay_alu instid0(VALU_DEP_1)
	v_add_co_ci_u32_e64 v2, null, s1, 0, s2
	s_add_u32 s2, s0, s15
	s_mul_i32 s15, s15, 3
	s_addc_u32 s4, s1, 0
	global_load_u8 v1, v[1:2], off offset:1536
	s_add_u32 s2, s2, s15
	s_addc_u32 s3, s4, s3
	v_readfirstlane_b32 s5, v3
	s_load_b32 s2, s[2:3], 0x780
	s_delay_alu instid0(VALU_DEP_1)
	s_lshl_b32 s3, s5, 3
	s_clause 0x2
	s_load_b64 s[4:5], s[0:1], s3 offset:0x0
	s_load_b64 s[6:7], s[0:1], s3 offset:0x200
	;; [unrolled: 1-line block ×3, first 2 shown]
	s_waitcnt lgkmcnt(0)
	s_ashr_i32 s3, s2, 31
	s_delay_alu instid0(SALU_CYCLE_1) | instskip(NEXT) | instid1(SALU_CYCLE_1)
	s_lshl_b64 s[2:3], s[2:3], 16
	s_add_u32 s8, s4, s2
	s_addc_u32 s9, s5, s3
	s_add_u32 s16, s6, s2
	s_addc_u32 s17, s7, s3
	s_or_b64 s[4:5], s[10:11], s[8:9]
	s_delay_alu instid0(SALU_CYCLE_1) | instskip(NEXT) | instid1(SALU_CYCLE_1)
	s_or_b32 s4, s16, s4
	s_and_b32 s4, s4, 3
	s_sub_u32 s10, s10, s2
	s_subb_u32 s11, s11, s3
	s_cmp_eq_u32 s4, 0
	s_mov_b32 s2, -1
	s_waitcnt vmcnt(0)
	v_readfirstlane_b32 s18, v1
	s_cbranch_scc1 .LBB86_77
; %bb.1:
	v_cmp_lt_i64_e64 s2, s[10:11], 1
	s_delay_alu instid0(VALU_DEP_1)
	s_and_b32 vcc_lo, exec_lo, s2
	s_cbranch_vccnz .LBB86_76
; %bb.2:
	s_load_b32 s3, s[0:1], 0xc94
	v_and_b32_e64 v2, 0xff, s18
	v_and_b32_e64 v1, s18, 1
	v_cmp_gt_u64_e64 s4, 0x10000, s[10:11]
	s_sext_i32_i8 s5, s18
	s_mov_b64 s[14:15], 0
	v_cmp_ne_u16_e64 s2, 0, v2
	v_cmp_eq_u16_e32 vcc_lo, 0, v1
	s_delay_alu instid0(VALU_DEP_2)
	v_cndmask_b32_e64 v9, 0, 1, s2
	s_waitcnt lgkmcnt(0)
	s_and_b32 s19, s3, 0xffff
	s_and_b32 s3, s4, exec_lo
	s_cselect_b32 s13, s11, 0
	s_cselect_b32 s12, s10, 0x10000
	s_lshl_b32 s20, s19, 1
	s_cmp_gt_i32 s5, -1
	s_mul_i32 s21, s19, 3
	s_cselect_b32 s22, -1, 0
	s_and_b32 s3, vcc_lo, exec_lo
	s_cselect_b32 s23, 1, 0xff
	s_lshl_b32 s24, s19, 2
	s_branch .LBB86_4
.LBB86_3:                               ;   in Loop: Header=BB86_4 Depth=1
	s_or_b32 exec_lo, exec_lo, s3
	s_add_u32 s14, s14, s24
	s_addc_u32 s15, s15, 0
	s_delay_alu instid0(SALU_CYCLE_1) | instskip(SKIP_1) | instid1(VALU_DEP_1)
	v_cmp_ge_i64_e64 s3, s[14:15], s[10:11]
	v_cmp_lt_u64_e64 s4, 0xffff, s[14:15]
	s_or_b32 s3, s3, s4
	s_delay_alu instid0(SALU_CYCLE_1)
	s_and_b32 vcc_lo, exec_lo, s3
	s_cbranch_vccnz .LBB86_76
.LBB86_4:                               ; =>This Loop Header: Depth=1
                                        ;     Child Loop BB86_15 Depth 2
                                        ;     Child Loop BB86_20 Depth 2
	;; [unrolled: 1-line block ×4, first 2 shown]
	v_add_co_u32 v1, s3, s14, v0
	s_delay_alu instid0(VALU_DEP_1) | instskip(SKIP_2) | instid1(VALU_DEP_2)
	v_add_co_ci_u32_e64 v2, null, s15, 0, s3
	s_waitcnt vmcnt(0)
	v_mov_b32_e32 v12, 0
	v_cmp_gt_u64_e64 s3, s[12:13], v[1:2]
	s_delay_alu instid0(VALU_DEP_1)
	s_and_saveexec_b32 s4, s3
	s_cbranch_execz .LBB86_6
; %bb.5:                                ;   in Loop: Header=BB86_4 Depth=1
	v_add_co_u32 v3, vcc_lo, s8, v1
	v_add_co_ci_u32_e32 v4, vcc_lo, s9, v2, vcc_lo
	global_load_u8 v12, v[3:4], off
.LBB86_6:                               ;   in Loop: Header=BB86_4 Depth=1
	s_or_b32 exec_lo, exec_lo, s4
	v_add_co_u32 v3, vcc_lo, v1, s19
	v_add_co_ci_u32_e32 v4, vcc_lo, 0, v2, vcc_lo
	v_mov_b32_e32 v14, 0
	s_delay_alu instid0(VALU_DEP_2) | instskip(NEXT) | instid1(VALU_DEP_1)
	v_cmp_gt_u64_e64 s4, s[12:13], v[3:4]
	s_and_saveexec_b32 s5, s4
	s_cbranch_execz .LBB86_8
; %bb.7:                                ;   in Loop: Header=BB86_4 Depth=1
	v_add_co_u32 v5, vcc_lo, s8, v3
	v_add_co_ci_u32_e32 v6, vcc_lo, s9, v4, vcc_lo
	global_load_u8 v14, v[5:6], off
.LBB86_8:                               ;   in Loop: Header=BB86_4 Depth=1
	s_or_b32 exec_lo, exec_lo, s5
	v_add_co_u32 v5, vcc_lo, v1, s20
	v_add_co_ci_u32_e32 v6, vcc_lo, 0, v2, vcc_lo
	v_dual_mov_b32 v10, 0 :: v_dual_mov_b32 v13, 0
	s_delay_alu instid0(VALU_DEP_2) | instskip(NEXT) | instid1(VALU_DEP_1)
	v_cmp_gt_u64_e64 s5, s[12:13], v[5:6]
	s_and_saveexec_b32 s6, s5
	s_cbranch_execz .LBB86_10
; %bb.9:                                ;   in Loop: Header=BB86_4 Depth=1
	v_add_co_u32 v7, vcc_lo, s8, v5
	v_add_co_ci_u32_e32 v8, vcc_lo, s9, v6, vcc_lo
	global_load_u8 v13, v[7:8], off
.LBB86_10:                              ;   in Loop: Header=BB86_4 Depth=1
	s_or_b32 exec_lo, exec_lo, s6
	v_add_co_u32 v7, vcc_lo, v1, s21
	v_add_co_ci_u32_e32 v8, vcc_lo, 0, v2, vcc_lo
	s_delay_alu instid0(VALU_DEP_1) | instskip(NEXT) | instid1(VALU_DEP_1)
	v_cmp_gt_u64_e64 s6, s[12:13], v[7:8]
	s_and_saveexec_b32 s7, s6
	s_cbranch_execz .LBB86_12
; %bb.11:                               ;   in Loop: Header=BB86_4 Depth=1
	v_add_co_u32 v10, vcc_lo, s8, v7
	v_add_co_ci_u32_e32 v11, vcc_lo, s9, v8, vcc_lo
	global_load_u8 v10, v[10:11], off
.LBB86_12:                              ;   in Loop: Header=BB86_4 Depth=1
	s_or_b32 exec_lo, exec_lo, s7
	v_cmp_ne_u32_e64 s7, 1, v9
	s_and_b32 vcc_lo, exec_lo, s22
	s_cbranch_vccz .LBB86_16
; %bb.13:                               ;   in Loop: Header=BB86_4 Depth=1
	s_delay_alu instid0(VALU_DEP_1)
	s_and_b32 vcc_lo, exec_lo, s7
	s_cbranch_vccnz .LBB86_21
; %bb.14:                               ;   in Loop: Header=BB86_4 Depth=1
	v_dual_mov_b32 v16, s18 :: v_dual_mov_b32 v11, 1
	s_waitcnt vmcnt(0)
	v_mov_b32_e32 v15, v12
	.p2align	6
.LBB86_15:                              ;   Parent Loop BB86_4 Depth=1
                                        ; =>  This Inner Loop Header: Depth=2
	s_delay_alu instid0(VALU_DEP_1) | instskip(SKIP_1) | instid1(VALU_DEP_2)
	v_lshrrev_b16 v17, 7, v16
	v_add_nc_u16 v18, v16, 1
	v_and_b32_e32 v17, 1, v17
	s_delay_alu instid0(VALU_DEP_2) | instskip(NEXT) | instid1(VALU_DEP_2)
	v_and_b32_e32 v18, 0xff, v18
	v_add_nc_u16 v17, v16, v17
	v_and_b32_e32 v16, 1, v16
	s_delay_alu instid0(VALU_DEP_2) | instskip(NEXT) | instid1(VALU_DEP_2)
	v_bfe_i32 v17, v17, 0, 8
	v_cmp_eq_u32_e32 vcc_lo, 1, v16
	s_delay_alu instid0(VALU_DEP_2) | instskip(SKIP_3) | instid1(VALU_DEP_3)
	v_ashrrev_i16 v17, 1, v17
	v_cndmask_b32_e32 v16, 1, v15, vcc_lo
	v_cmp_lt_u16_e32 vcc_lo, 2, v18
	v_mul_lo_u16 v15, v15, v15
	v_mul_lo_u16 v11, v16, v11
	v_mov_b32_e32 v16, v17
	s_cbranch_vccnz .LBB86_15
	s_branch .LBB86_22
.LBB86_16:                              ;   in Loop: Header=BB86_4 Depth=1
                                        ; implicit-def: $vgpr11
	s_branch .LBB86_23
.LBB86_17:                              ;   in Loop: Header=BB86_4 Depth=1
	s_and_not1_b32 vcc_lo, exec_lo, s22
	s_cbranch_vccnz .LBB86_30
.LBB86_18:                              ;   in Loop: Header=BB86_4 Depth=1
	s_and_not1_b32 vcc_lo, exec_lo, s2
	s_cbranch_vccnz .LBB86_35
; %bb.19:                               ;   in Loop: Header=BB86_4 Depth=1
	s_waitcnt vmcnt(0)
	v_dual_mov_b32 v16, s18 :: v_dual_mov_b32 v15, v14
	v_mov_b32_e32 v12, 1
	.p2align	6
.LBB86_20:                              ;   Parent Loop BB86_4 Depth=1
                                        ; =>  This Inner Loop Header: Depth=2
	s_delay_alu instid0(VALU_DEP_1) | instskip(SKIP_1) | instid1(VALU_DEP_2)
	v_lshrrev_b16 v17, 7, v16
	v_add_nc_u16 v18, v16, 1
	v_and_b32_e32 v17, 1, v17
	s_delay_alu instid0(VALU_DEP_2) | instskip(NEXT) | instid1(VALU_DEP_2)
	v_and_b32_e32 v18, 0xff, v18
	v_add_nc_u16 v17, v16, v17
	v_and_b32_e32 v16, 1, v16
	s_delay_alu instid0(VALU_DEP_2) | instskip(NEXT) | instid1(VALU_DEP_2)
	v_bfe_i32 v17, v17, 0, 8
	v_cmp_eq_u32_e32 vcc_lo, 1, v16
	s_delay_alu instid0(VALU_DEP_2) | instskip(SKIP_3) | instid1(VALU_DEP_3)
	v_ashrrev_i16 v17, 1, v17
	v_cndmask_b32_e32 v16, 1, v15, vcc_lo
	v_cmp_gt_u16_e32 vcc_lo, 3, v18
	v_mul_lo_u16 v15, v15, v15
	v_mul_lo_u16 v12, v16, v12
	v_mov_b32_e32 v16, v17
	s_cbranch_vccz .LBB86_20
	s_branch .LBB86_36
.LBB86_21:                              ;   in Loop: Header=BB86_4 Depth=1
	v_mov_b32_e32 v11, 1
.LBB86_22:                              ;   in Loop: Header=BB86_4 Depth=1
	s_cbranch_execnz .LBB86_17
.LBB86_23:                              ;   in Loop: Header=BB86_4 Depth=1
	s_waitcnt vmcnt(0)
	v_and_b32_e32 v12, 0xff, v12
	s_mov_b32 s7, exec_lo
	s_delay_alu instid0(VALU_DEP_1)
	v_cmpx_lt_i16_e32 0xfe, v12
	s_xor_b32 s7, exec_lo, s7
; %bb.24:                               ;   in Loop: Header=BB86_4 Depth=1
                                        ; implicit-def: $vgpr12
; %bb.25:                               ;   in Loop: Header=BB86_4 Depth=1
	s_delay_alu instid0(SALU_CYCLE_1)
	s_or_saveexec_b32 s7, s7
	v_mov_b32_e32 v11, s23
	s_xor_b32 exec_lo, exec_lo, s7
	s_cbranch_execz .LBB86_29
; %bb.26:                               ;   in Loop: Header=BB86_4 Depth=1
	v_mov_b32_e32 v11, 1
	s_mov_b32 s25, exec_lo
	v_cmpx_ne_u16_e32 1, v12
; %bb.27:                               ;   in Loop: Header=BB86_4 Depth=1
	v_mov_b32_e32 v11, 0
; %bb.28:                               ;   in Loop: Header=BB86_4 Depth=1
	s_or_b32 exec_lo, exec_lo, s25
.LBB86_29:                              ;   in Loop: Header=BB86_4 Depth=1
	s_delay_alu instid0(SALU_CYCLE_1) | instskip(NEXT) | instid1(SALU_CYCLE_1)
	s_or_b32 exec_lo, exec_lo, s7
	s_and_not1_b32 vcc_lo, exec_lo, s22
	s_cbranch_vccz .LBB86_18
.LBB86_30:                              ;   in Loop: Header=BB86_4 Depth=1
                                        ; implicit-def: $vgpr12
	s_branch .LBB86_37
.LBB86_31:                              ;   in Loop: Header=BB86_4 Depth=1
	s_and_not1_b32 vcc_lo, exec_lo, s22
	s_cbranch_vccnz .LBB86_44
.LBB86_32:                              ;   in Loop: Header=BB86_4 Depth=1
	s_and_not1_b32 vcc_lo, exec_lo, s2
	s_cbranch_vccnz .LBB86_49
; %bb.33:                               ;   in Loop: Header=BB86_4 Depth=1
	s_waitcnt vmcnt(0)
	v_dual_mov_b32 v16, s18 :: v_dual_mov_b32 v15, v13
	v_mov_b32_e32 v14, 1
	.p2align	6
.LBB86_34:                              ;   Parent Loop BB86_4 Depth=1
                                        ; =>  This Inner Loop Header: Depth=2
	s_delay_alu instid0(VALU_DEP_1) | instskip(SKIP_1) | instid1(VALU_DEP_2)
	v_lshrrev_b16 v17, 7, v16
	v_add_nc_u16 v18, v16, 1
	v_and_b32_e32 v17, 1, v17
	s_delay_alu instid0(VALU_DEP_2) | instskip(NEXT) | instid1(VALU_DEP_2)
	v_and_b32_e32 v18, 0xff, v18
	v_add_nc_u16 v17, v16, v17
	v_and_b32_e32 v16, 1, v16
	s_delay_alu instid0(VALU_DEP_2) | instskip(NEXT) | instid1(VALU_DEP_2)
	v_bfe_i32 v17, v17, 0, 8
	v_cmp_eq_u32_e32 vcc_lo, 1, v16
	s_delay_alu instid0(VALU_DEP_2) | instskip(SKIP_3) | instid1(VALU_DEP_3)
	v_ashrrev_i16 v17, 1, v17
	v_cndmask_b32_e32 v16, 1, v15, vcc_lo
	v_cmp_gt_u16_e32 vcc_lo, 3, v18
	v_mul_lo_u16 v15, v15, v15
	v_mul_lo_u16 v14, v16, v14
	v_mov_b32_e32 v16, v17
	s_cbranch_vccz .LBB86_34
	s_branch .LBB86_50
.LBB86_35:                              ;   in Loop: Header=BB86_4 Depth=1
	s_waitcnt vmcnt(0)
	v_mov_b32_e32 v12, 1
.LBB86_36:                              ;   in Loop: Header=BB86_4 Depth=1
	s_cbranch_execnz .LBB86_31
.LBB86_37:                              ;   in Loop: Header=BB86_4 Depth=1
	s_waitcnt vmcnt(0)
	v_and_b32_e32 v14, 0xff, v14
	s_mov_b32 s7, exec_lo
	s_delay_alu instid0(VALU_DEP_1)
	v_cmpx_lt_i16_e32 0xfe, v14
	s_xor_b32 s7, exec_lo, s7
; %bb.38:                               ;   in Loop: Header=BB86_4 Depth=1
                                        ; implicit-def: $vgpr14
; %bb.39:                               ;   in Loop: Header=BB86_4 Depth=1
	s_delay_alu instid0(SALU_CYCLE_1)
	s_or_saveexec_b32 s7, s7
	v_mov_b32_e32 v12, s23
	s_xor_b32 exec_lo, exec_lo, s7
	s_cbranch_execz .LBB86_43
; %bb.40:                               ;   in Loop: Header=BB86_4 Depth=1
	v_mov_b32_e32 v12, 1
	s_mov_b32 s25, exec_lo
	v_cmpx_ne_u16_e32 1, v14
; %bb.41:                               ;   in Loop: Header=BB86_4 Depth=1
	v_mov_b32_e32 v12, 0
; %bb.42:                               ;   in Loop: Header=BB86_4 Depth=1
	s_or_b32 exec_lo, exec_lo, s25
.LBB86_43:                              ;   in Loop: Header=BB86_4 Depth=1
	s_delay_alu instid0(SALU_CYCLE_1) | instskip(NEXT) | instid1(SALU_CYCLE_1)
	s_or_b32 exec_lo, exec_lo, s7
	s_and_not1_b32 vcc_lo, exec_lo, s22
	s_cbranch_vccz .LBB86_32
.LBB86_44:                              ;   in Loop: Header=BB86_4 Depth=1
                                        ; implicit-def: $vgpr14
	s_branch .LBB86_51
.LBB86_45:                              ;   in Loop: Header=BB86_4 Depth=1
	s_and_not1_b32 vcc_lo, exec_lo, s22
	s_cbranch_vccnz .LBB86_58
.LBB86_46:                              ;   in Loop: Header=BB86_4 Depth=1
	s_and_not1_b32 vcc_lo, exec_lo, s2
	s_cbranch_vccnz .LBB86_59
; %bb.47:                               ;   in Loop: Header=BB86_4 Depth=1
	s_waitcnt vmcnt(0)
	v_dual_mov_b32 v16, s18 :: v_dual_mov_b32 v13, 1
	v_mov_b32_e32 v15, v10
	.p2align	6
.LBB86_48:                              ;   Parent Loop BB86_4 Depth=1
                                        ; =>  This Inner Loop Header: Depth=2
	s_delay_alu instid0(VALU_DEP_1) | instskip(SKIP_1) | instid1(VALU_DEP_2)
	v_lshrrev_b16 v17, 7, v16
	v_add_nc_u16 v18, v16, 1
	v_and_b32_e32 v17, 1, v17
	s_delay_alu instid0(VALU_DEP_2) | instskip(NEXT) | instid1(VALU_DEP_2)
	v_and_b32_e32 v18, 0xff, v18
	v_add_nc_u16 v17, v16, v17
	v_and_b32_e32 v16, 1, v16
	s_delay_alu instid0(VALU_DEP_2) | instskip(NEXT) | instid1(VALU_DEP_2)
	v_bfe_i32 v17, v17, 0, 8
	v_cmp_eq_u32_e32 vcc_lo, 1, v16
	s_delay_alu instid0(VALU_DEP_2) | instskip(SKIP_3) | instid1(VALU_DEP_3)
	v_ashrrev_i16 v17, 1, v17
	v_cndmask_b32_e32 v16, 1, v15, vcc_lo
	v_cmp_gt_u16_e32 vcc_lo, 3, v18
	v_mul_lo_u16 v15, v15, v15
	v_mul_lo_u16 v13, v16, v13
	v_mov_b32_e32 v16, v17
	s_cbranch_vccz .LBB86_48
	s_branch .LBB86_60
.LBB86_49:                              ;   in Loop: Header=BB86_4 Depth=1
	s_waitcnt vmcnt(0)
	v_mov_b32_e32 v14, 1
.LBB86_50:                              ;   in Loop: Header=BB86_4 Depth=1
	s_cbranch_execnz .LBB86_45
.LBB86_51:                              ;   in Loop: Header=BB86_4 Depth=1
	s_waitcnt vmcnt(0)
	v_and_b32_e32 v13, 0xff, v13
	s_mov_b32 s7, exec_lo
	s_delay_alu instid0(VALU_DEP_1)
	v_cmpx_lt_i16_e32 0xfe, v13
	s_xor_b32 s7, exec_lo, s7
; %bb.52:                               ;   in Loop: Header=BB86_4 Depth=1
                                        ; implicit-def: $vgpr13
; %bb.53:                               ;   in Loop: Header=BB86_4 Depth=1
	s_delay_alu instid0(SALU_CYCLE_1)
	s_or_saveexec_b32 s7, s7
	v_mov_b32_e32 v14, s23
	s_xor_b32 exec_lo, exec_lo, s7
	s_cbranch_execz .LBB86_57
; %bb.54:                               ;   in Loop: Header=BB86_4 Depth=1
	v_mov_b32_e32 v14, 1
	s_mov_b32 s25, exec_lo
	v_cmpx_ne_u16_e32 1, v13
; %bb.55:                               ;   in Loop: Header=BB86_4 Depth=1
	v_mov_b32_e32 v14, 0
; %bb.56:                               ;   in Loop: Header=BB86_4 Depth=1
	s_or_b32 exec_lo, exec_lo, s25
.LBB86_57:                              ;   in Loop: Header=BB86_4 Depth=1
	s_delay_alu instid0(SALU_CYCLE_1) | instskip(NEXT) | instid1(SALU_CYCLE_1)
	s_or_b32 exec_lo, exec_lo, s7
	s_and_not1_b32 vcc_lo, exec_lo, s22
	s_cbranch_vccz .LBB86_46
.LBB86_58:                              ;   in Loop: Header=BB86_4 Depth=1
                                        ; implicit-def: $vgpr13
	s_branch .LBB86_61
.LBB86_59:                              ;   in Loop: Header=BB86_4 Depth=1
	s_waitcnt vmcnt(0)
	v_mov_b32_e32 v13, 1
.LBB86_60:                              ;   in Loop: Header=BB86_4 Depth=1
	s_cbranch_execnz .LBB86_68
.LBB86_61:                              ;   in Loop: Header=BB86_4 Depth=1
	s_waitcnt vmcnt(0)
	v_and_b32_e32 v10, 0xff, v10
	s_mov_b32 s7, exec_lo
	s_delay_alu instid0(VALU_DEP_1)
	v_cmpx_lt_i16_e32 0xfe, v10
	s_xor_b32 s7, exec_lo, s7
; %bb.62:                               ;   in Loop: Header=BB86_4 Depth=1
                                        ; implicit-def: $vgpr10
; %bb.63:                               ;   in Loop: Header=BB86_4 Depth=1
	s_delay_alu instid0(SALU_CYCLE_1)
	s_or_saveexec_b32 s7, s7
	v_mov_b32_e32 v13, s23
	s_xor_b32 exec_lo, exec_lo, s7
	s_cbranch_execz .LBB86_67
; %bb.64:                               ;   in Loop: Header=BB86_4 Depth=1
	v_mov_b32_e32 v13, 1
	s_mov_b32 s25, exec_lo
	v_cmpx_ne_u16_e32 1, v10
; %bb.65:                               ;   in Loop: Header=BB86_4 Depth=1
	v_mov_b32_e32 v13, 0
; %bb.66:                               ;   in Loop: Header=BB86_4 Depth=1
	s_or_b32 exec_lo, exec_lo, s25
.LBB86_67:                              ;   in Loop: Header=BB86_4 Depth=1
	s_delay_alu instid0(SALU_CYCLE_1)
	s_or_b32 exec_lo, exec_lo, s7
.LBB86_68:                              ;   in Loop: Header=BB86_4 Depth=1
	s_and_saveexec_b32 s7, s3
	s_delay_alu instid0(SALU_CYCLE_1)
	s_xor_b32 s3, exec_lo, s7
	s_cbranch_execnz .LBB86_72
; %bb.69:                               ;   in Loop: Header=BB86_4 Depth=1
	s_or_b32 exec_lo, exec_lo, s3
	s_and_saveexec_b32 s3, s4
	s_cbranch_execnz .LBB86_73
.LBB86_70:                              ;   in Loop: Header=BB86_4 Depth=1
	s_or_b32 exec_lo, exec_lo, s3
	s_and_saveexec_b32 s3, s5
	s_cbranch_execnz .LBB86_74
.LBB86_71:                              ;   in Loop: Header=BB86_4 Depth=1
	s_or_b32 exec_lo, exec_lo, s3
	s_and_saveexec_b32 s3, s6
	s_cbranch_execz .LBB86_3
	s_branch .LBB86_75
.LBB86_72:                              ;   in Loop: Header=BB86_4 Depth=1
	v_add_co_u32 v1, vcc_lo, s16, v1
	v_add_co_ci_u32_e32 v2, vcc_lo, s17, v2, vcc_lo
	global_store_b8 v[1:2], v11, off
	s_or_b32 exec_lo, exec_lo, s3
	s_and_saveexec_b32 s3, s4
	s_cbranch_execz .LBB86_70
.LBB86_73:                              ;   in Loop: Header=BB86_4 Depth=1
	v_add_co_u32 v1, vcc_lo, s16, v3
	v_add_co_ci_u32_e32 v2, vcc_lo, s17, v4, vcc_lo
	s_waitcnt vmcnt(0)
	global_store_b8 v[1:2], v12, off
	s_or_b32 exec_lo, exec_lo, s3
	s_and_saveexec_b32 s3, s5
	s_cbranch_execz .LBB86_71
.LBB86_74:                              ;   in Loop: Header=BB86_4 Depth=1
	v_add_co_u32 v1, vcc_lo, s16, v5
	v_add_co_ci_u32_e32 v2, vcc_lo, s17, v6, vcc_lo
	s_waitcnt vmcnt(0)
	global_store_b8 v[1:2], v14, off
	s_or_b32 exec_lo, exec_lo, s3
	s_and_saveexec_b32 s3, s6
	s_cbranch_execz .LBB86_3
.LBB86_75:                              ;   in Loop: Header=BB86_4 Depth=1
	v_add_co_u32 v1, vcc_lo, s16, v7
	v_add_co_ci_u32_e32 v2, vcc_lo, s17, v8, vcc_lo
	s_waitcnt vmcnt(0)
	global_store_b8 v[1:2], v13, off
	s_branch .LBB86_3
.LBB86_76:
	s_mov_b32 s2, 0
.LBB86_77:
	s_delay_alu instid0(SALU_CYCLE_1)
	s_and_not1_b32 vcc_lo, exec_lo, s2
	s_cbranch_vccnz .LBB86_137
; %bb.78:
	v_dual_mov_b32 v2, 0 :: v_dual_lshlrev_b32 v1, 2, v0
	s_mov_b32 s3, 0
	s_mov_b32 s2, exec_lo
	s_delay_alu instid0(VALU_DEP_1)
	v_cmpx_gt_i64_e64 s[10:11], v[1:2]
	s_cbranch_execz .LBB86_137
; %bb.79:
	s_load_b32 s1, s[0:1], 0xc94
	v_and_b32_e64 v4, 0xff, s18
	v_and_b32_e64 v3, s18, 1
	s_sext_i32_i8 s0, s18
	v_mov_b32_e32 v1, v2
	s_cmp_gt_i32 s0, -1
	v_cmp_ne_u16_e64 s0, 0, v4
	v_cmp_eq_u16_e32 vcc_lo, 0, v3
	s_cselect_b32 s4, -1, 0
	s_delay_alu instid0(VALU_DEP_2)
	v_cndmask_b32_e64 v4, 0, 1, s0
	s_and_b32 s2, vcc_lo, exec_lo
	s_cselect_b32 s5, 1, 0xff
	s_waitcnt lgkmcnt(0)
	s_and_b32 s6, s1, 0xffff
	s_branch .LBB86_83
.LBB86_80:                              ;   in Loop: Header=BB86_83 Depth=1
	s_or_b32 exec_lo, exec_lo, s2
.LBB86_81:                              ;   in Loop: Header=BB86_83 Depth=1
	s_delay_alu instid0(SALU_CYCLE_1)
	s_or_b32 exec_lo, exec_lo, s1
.LBB86_82:                              ;   in Loop: Header=BB86_83 Depth=1
	v_add_co_u32 v0, vcc_lo, v0, s6
	v_add_co_ci_u32_e32 v1, vcc_lo, 0, v1, vcc_lo
	v_and_b32_e32 v9, 0xff, v8
	v_and_b32_e32 v10, 0xff, v7
	v_and_b32_e32 v5, 0xff, v5
	s_delay_alu instid0(VALU_DEP_4)
	v_lshlrev_b64 v[7:8], 2, v[0:1]
	v_add_co_u32 v2, s2, s16, v2
	v_lshlrev_b32_e32 v9, 16, v9
	v_lshlrev_b32_e32 v10, 8, v10
	v_add_co_ci_u32_e64 v3, s2, s17, v3, s2
	v_cmp_le_i64_e32 vcc_lo, s[10:11], v[7:8]
	v_cmp_lt_u64_e64 s1, 0xffff, v[7:8]
	v_lshl_or_b32 v6, v6, 24, v9
	s_delay_alu instid0(VALU_DEP_1) | instskip(NEXT) | instid1(VALU_DEP_3)
	v_or3_b32 v5, v6, v10, v5
	s_or_b32 s1, vcc_lo, s1
	s_delay_alu instid0(SALU_CYCLE_1) | instskip(NEXT) | instid1(SALU_CYCLE_1)
	s_and_b32 s1, exec_lo, s1
	s_or_b32 s3, s1, s3
	global_store_b32 v[2:3], v5, off
	s_and_not1_b32 exec_lo, exec_lo, s3
	s_cbranch_execz .LBB86_137
.LBB86_83:                              ; =>This Loop Header: Depth=1
                                        ;     Child Loop BB86_91 Depth 2
                                        ;     Child Loop BB86_88 Depth 2
	;; [unrolled: 1-line block ×4, first 2 shown]
	v_lshlrev_b64 v[2:3], 2, v[0:1]
	v_cmp_ne_u32_e64 s1, 1, v4
	s_mov_b32 s2, -1
	s_delay_alu instid0(VALU_DEP_2) | instskip(NEXT) | instid1(VALU_DEP_3)
	v_add_co_u32 v5, vcc_lo, s8, v2
	v_add_co_ci_u32_e32 v6, vcc_lo, s9, v3, vcc_lo
	s_and_b32 vcc_lo, exec_lo, s4
	global_load_b32 v6, v[5:6], off
                                        ; implicit-def: $vgpr5
	s_cbranch_vccnz .LBB86_89
; %bb.84:                               ;   in Loop: Header=BB86_83 Depth=1
	s_and_not1_b32 vcc_lo, exec_lo, s2
	s_cbranch_vccz .LBB86_100
.LBB86_85:                              ;   in Loop: Header=BB86_83 Depth=1
	s_waitcnt vmcnt(0)
	v_lshrrev_b32_e32 v8, 8, v6
	s_and_not1_b32 vcc_lo, exec_lo, s4
	s_cbranch_vccnz .LBB86_107
.LBB86_86:                              ;   in Loop: Header=BB86_83 Depth=1
	s_and_not1_b32 vcc_lo, exec_lo, s0
	s_cbranch_vccnz .LBB86_93
; %bb.87:                               ;   in Loop: Header=BB86_83 Depth=1
	v_dual_mov_b32 v10, s18 :: v_dual_mov_b32 v7, 1
	v_mov_b32_e32 v9, v8
	.p2align	6
.LBB86_88:                              ;   Parent Loop BB86_83 Depth=1
                                        ; =>  This Inner Loop Header: Depth=2
	s_delay_alu instid0(VALU_DEP_1) | instskip(SKIP_1) | instid1(VALU_DEP_2)
	v_lshrrev_b16 v11, 7, v10
	v_add_nc_u16 v12, v10, 1
	v_and_b32_e32 v11, 1, v11
	s_delay_alu instid0(VALU_DEP_2) | instskip(NEXT) | instid1(VALU_DEP_2)
	v_and_b32_e32 v12, 0xff, v12
	v_add_nc_u16 v11, v10, v11
	v_and_b32_e32 v10, 1, v10
	s_delay_alu instid0(VALU_DEP_2) | instskip(NEXT) | instid1(VALU_DEP_2)
	v_bfe_i32 v11, v11, 0, 8
	v_cmp_eq_u32_e32 vcc_lo, 1, v10
	s_delay_alu instid0(VALU_DEP_2) | instskip(SKIP_3) | instid1(VALU_DEP_3)
	v_ashrrev_i16 v11, 1, v11
	v_cndmask_b32_e32 v10, 1, v9, vcc_lo
	v_cmp_gt_u16_e32 vcc_lo, 3, v12
	v_mul_lo_u16 v9, v9, v9
	v_mul_lo_u16 v7, v10, v7
	v_mov_b32_e32 v10, v11
	s_cbranch_vccz .LBB86_88
	s_branch .LBB86_94
.LBB86_89:                              ;   in Loop: Header=BB86_83 Depth=1
	s_and_b32 vcc_lo, exec_lo, s1
	s_cbranch_vccnz .LBB86_99
; %bb.90:                               ;   in Loop: Header=BB86_83 Depth=1
	v_dual_mov_b32 v8, s18 :: v_dual_mov_b32 v5, 1
	s_waitcnt vmcnt(0)
	v_mov_b32_e32 v7, v6
	.p2align	6
.LBB86_91:                              ;   Parent Loop BB86_83 Depth=1
                                        ; =>  This Inner Loop Header: Depth=2
	s_delay_alu instid0(VALU_DEP_1) | instskip(SKIP_1) | instid1(VALU_DEP_2)
	v_lshrrev_b16 v9, 7, v8
	v_add_nc_u16 v10, v8, 1
	v_and_b32_e32 v9, 1, v9
	s_delay_alu instid0(VALU_DEP_2) | instskip(NEXT) | instid1(VALU_DEP_2)
	v_and_b32_e32 v10, 0xff, v10
	v_add_nc_u16 v9, v8, v9
	v_and_b32_e32 v8, 1, v8
	s_delay_alu instid0(VALU_DEP_2) | instskip(NEXT) | instid1(VALU_DEP_2)
	v_bfe_i32 v9, v9, 0, 8
	v_cmp_eq_u32_e32 vcc_lo, 1, v8
	s_delay_alu instid0(VALU_DEP_2) | instskip(SKIP_3) | instid1(VALU_DEP_3)
	v_ashrrev_i16 v9, 1, v9
	v_cndmask_b32_e32 v8, 1, v7, vcc_lo
	v_cmp_lt_u16_e32 vcc_lo, 2, v10
	v_mul_lo_u16 v7, v7, v7
	v_mul_lo_u16 v5, v8, v5
	v_mov_b32_e32 v8, v9
	s_cbranch_vccnz .LBB86_91
; %bb.92:                               ;   in Loop: Header=BB86_83 Depth=1
	s_cbranch_execnz .LBB86_85
	s_branch .LBB86_100
.LBB86_93:                              ;   in Loop: Header=BB86_83 Depth=1
	v_mov_b32_e32 v7, 1
.LBB86_94:                              ;   in Loop: Header=BB86_83 Depth=1
	s_cbranch_execz .LBB86_108
; %bb.95:                               ;   in Loop: Header=BB86_83 Depth=1
	v_lshrrev_b32_e32 v9, 16, v6
	s_and_not1_b32 vcc_lo, exec_lo, s4
	s_cbranch_vccnz .LBB86_115
.LBB86_96:                              ;   in Loop: Header=BB86_83 Depth=1
	s_and_not1_b32 vcc_lo, exec_lo, s0
	s_cbranch_vccnz .LBB86_120
; %bb.97:                               ;   in Loop: Header=BB86_83 Depth=1
	v_dual_mov_b32 v11, s18 :: v_dual_mov_b32 v8, 1
	v_mov_b32_e32 v10, v9
	.p2align	6
.LBB86_98:                              ;   Parent Loop BB86_83 Depth=1
                                        ; =>  This Inner Loop Header: Depth=2
	s_delay_alu instid0(VALU_DEP_1) | instskip(SKIP_1) | instid1(VALU_DEP_2)
	v_lshrrev_b16 v12, 7, v11
	v_add_nc_u16 v13, v11, 1
	v_and_b32_e32 v12, 1, v12
	s_delay_alu instid0(VALU_DEP_2) | instskip(NEXT) | instid1(VALU_DEP_2)
	v_and_b32_e32 v13, 0xff, v13
	v_add_nc_u16 v12, v11, v12
	v_and_b32_e32 v11, 1, v11
	s_delay_alu instid0(VALU_DEP_2) | instskip(NEXT) | instid1(VALU_DEP_2)
	v_bfe_i32 v12, v12, 0, 8
	v_cmp_eq_u32_e32 vcc_lo, 1, v11
	s_delay_alu instid0(VALU_DEP_2) | instskip(SKIP_3) | instid1(VALU_DEP_3)
	v_ashrrev_i16 v12, 1, v12
	v_cndmask_b32_e32 v11, 1, v10, vcc_lo
	v_cmp_gt_u16_e32 vcc_lo, 3, v13
	v_mul_lo_u16 v10, v10, v10
	v_mul_lo_u16 v8, v11, v8
	v_mov_b32_e32 v11, v12
	s_cbranch_vccz .LBB86_98
	s_branch .LBB86_121
.LBB86_99:                              ;   in Loop: Header=BB86_83 Depth=1
	v_mov_b32_e32 v5, 1
	s_cbranch_execnz .LBB86_85
.LBB86_100:                             ;   in Loop: Header=BB86_83 Depth=1
	s_waitcnt vmcnt(0)
	v_and_b32_e32 v7, 0xff, v6
	s_mov_b32 s1, exec_lo
	s_delay_alu instid0(VALU_DEP_1)
	v_cmpx_lt_i16_e32 0xfe, v7
	s_xor_b32 s1, exec_lo, s1
; %bb.101:                              ;   in Loop: Header=BB86_83 Depth=1
                                        ; implicit-def: $vgpr7
; %bb.102:                              ;   in Loop: Header=BB86_83 Depth=1
	s_delay_alu instid0(SALU_CYCLE_1)
	s_or_saveexec_b32 s1, s1
	v_mov_b32_e32 v5, s5
	s_xor_b32 exec_lo, exec_lo, s1
	s_cbranch_execz .LBB86_106
; %bb.103:                              ;   in Loop: Header=BB86_83 Depth=1
	v_mov_b32_e32 v5, 1
	s_mov_b32 s2, exec_lo
	v_cmpx_ne_u16_e32 1, v7
; %bb.104:                              ;   in Loop: Header=BB86_83 Depth=1
	v_mov_b32_e32 v5, 0
; %bb.105:                              ;   in Loop: Header=BB86_83 Depth=1
	s_or_b32 exec_lo, exec_lo, s2
.LBB86_106:                             ;   in Loop: Header=BB86_83 Depth=1
	s_delay_alu instid0(SALU_CYCLE_1)
	s_or_b32 exec_lo, exec_lo, s1
	v_lshrrev_b32_e32 v8, 8, v6
	s_and_not1_b32 vcc_lo, exec_lo, s4
	s_cbranch_vccz .LBB86_86
.LBB86_107:                             ;   in Loop: Header=BB86_83 Depth=1
                                        ; implicit-def: $vgpr7
.LBB86_108:                             ;   in Loop: Header=BB86_83 Depth=1
	s_delay_alu instid0(VALU_DEP_1) | instskip(SKIP_1) | instid1(VALU_DEP_1)
	v_and_b32_e32 v8, 0xff, v8
	s_mov_b32 s1, exec_lo
	v_cmpx_lt_i16_e32 0xfe, v8
	s_xor_b32 s1, exec_lo, s1
; %bb.109:                              ;   in Loop: Header=BB86_83 Depth=1
                                        ; implicit-def: $vgpr8
; %bb.110:                              ;   in Loop: Header=BB86_83 Depth=1
	s_delay_alu instid0(SALU_CYCLE_1)
	s_or_saveexec_b32 s1, s1
	v_mov_b32_e32 v7, s5
	s_xor_b32 exec_lo, exec_lo, s1
	s_cbranch_execz .LBB86_114
; %bb.111:                              ;   in Loop: Header=BB86_83 Depth=1
	v_mov_b32_e32 v7, 1
	s_mov_b32 s2, exec_lo
	v_cmpx_ne_u16_e32 1, v8
; %bb.112:                              ;   in Loop: Header=BB86_83 Depth=1
	v_mov_b32_e32 v7, 0
; %bb.113:                              ;   in Loop: Header=BB86_83 Depth=1
	s_or_b32 exec_lo, exec_lo, s2
.LBB86_114:                             ;   in Loop: Header=BB86_83 Depth=1
	s_delay_alu instid0(SALU_CYCLE_1)
	s_or_b32 exec_lo, exec_lo, s1
	v_lshrrev_b32_e32 v9, 16, v6
	s_and_not1_b32 vcc_lo, exec_lo, s4
	s_cbranch_vccz .LBB86_96
.LBB86_115:                             ;   in Loop: Header=BB86_83 Depth=1
                                        ; implicit-def: $vgpr8
	s_branch .LBB86_122
.LBB86_116:                             ;   in Loop: Header=BB86_83 Depth=1
	v_lshrrev_b32_e32 v9, 24, v6
	s_and_not1_b32 vcc_lo, exec_lo, s4
	s_cbranch_vccnz .LBB86_129
.LBB86_117:                             ;   in Loop: Header=BB86_83 Depth=1
	s_and_not1_b32 vcc_lo, exec_lo, s0
	s_cbranch_vccnz .LBB86_130
; %bb.118:                              ;   in Loop: Header=BB86_83 Depth=1
	v_dual_mov_b32 v11, s18 :: v_dual_mov_b32 v6, 1
	v_mov_b32_e32 v10, v9
	.p2align	6
.LBB86_119:                             ;   Parent Loop BB86_83 Depth=1
                                        ; =>  This Inner Loop Header: Depth=2
	s_delay_alu instid0(VALU_DEP_1) | instskip(SKIP_1) | instid1(VALU_DEP_2)
	v_lshrrev_b16 v12, 7, v11
	v_add_nc_u16 v13, v11, 1
	v_and_b32_e32 v12, 1, v12
	s_delay_alu instid0(VALU_DEP_2) | instskip(NEXT) | instid1(VALU_DEP_2)
	v_and_b32_e32 v13, 0xff, v13
	v_add_nc_u16 v12, v11, v12
	v_and_b32_e32 v11, 1, v11
	s_delay_alu instid0(VALU_DEP_2) | instskip(NEXT) | instid1(VALU_DEP_2)
	v_bfe_i32 v12, v12, 0, 8
	v_cmp_eq_u32_e32 vcc_lo, 1, v11
	s_delay_alu instid0(VALU_DEP_2) | instskip(SKIP_3) | instid1(VALU_DEP_3)
	v_ashrrev_i16 v12, 1, v12
	v_cndmask_b32_e32 v11, 1, v10, vcc_lo
	v_cmp_gt_u16_e32 vcc_lo, 3, v13
	v_mul_lo_u16 v10, v10, v10
	v_mul_lo_u16 v6, v11, v6
	v_mov_b32_e32 v11, v12
	s_cbranch_vccz .LBB86_119
	s_branch .LBB86_131
.LBB86_120:                             ;   in Loop: Header=BB86_83 Depth=1
	v_mov_b32_e32 v8, 1
.LBB86_121:                             ;   in Loop: Header=BB86_83 Depth=1
	s_cbranch_execnz .LBB86_116
.LBB86_122:                             ;   in Loop: Header=BB86_83 Depth=1
	s_delay_alu instid0(VALU_DEP_1) | instskip(SKIP_1) | instid1(VALU_DEP_1)
	v_and_b32_e32 v9, 0xff, v9
	s_mov_b32 s1, exec_lo
	v_cmpx_lt_i16_e32 0xfe, v9
	s_xor_b32 s1, exec_lo, s1
; %bb.123:                              ;   in Loop: Header=BB86_83 Depth=1
                                        ; implicit-def: $vgpr9
; %bb.124:                              ;   in Loop: Header=BB86_83 Depth=1
	s_delay_alu instid0(SALU_CYCLE_1)
	s_or_saveexec_b32 s1, s1
	v_mov_b32_e32 v8, s5
	s_xor_b32 exec_lo, exec_lo, s1
	s_cbranch_execz .LBB86_128
; %bb.125:                              ;   in Loop: Header=BB86_83 Depth=1
	v_mov_b32_e32 v8, 1
	s_mov_b32 s2, exec_lo
	v_cmpx_ne_u16_e32 1, v9
; %bb.126:                              ;   in Loop: Header=BB86_83 Depth=1
	v_mov_b32_e32 v8, 0
; %bb.127:                              ;   in Loop: Header=BB86_83 Depth=1
	s_or_b32 exec_lo, exec_lo, s2
.LBB86_128:                             ;   in Loop: Header=BB86_83 Depth=1
	s_delay_alu instid0(SALU_CYCLE_1)
	s_or_b32 exec_lo, exec_lo, s1
	v_lshrrev_b32_e32 v9, 24, v6
	s_and_not1_b32 vcc_lo, exec_lo, s4
	s_cbranch_vccz .LBB86_117
.LBB86_129:                             ;   in Loop: Header=BB86_83 Depth=1
                                        ; implicit-def: $vgpr6
	s_branch .LBB86_132
.LBB86_130:                             ;   in Loop: Header=BB86_83 Depth=1
	v_mov_b32_e32 v6, 1
.LBB86_131:                             ;   in Loop: Header=BB86_83 Depth=1
	s_cbranch_execnz .LBB86_82
.LBB86_132:                             ;   in Loop: Header=BB86_83 Depth=1
	s_mov_b32 s1, exec_lo
	v_cmpx_lt_i16_e32 0xfe, v9
	s_xor_b32 s1, exec_lo, s1
; %bb.133:                              ;   in Loop: Header=BB86_83 Depth=1
                                        ; implicit-def: $vgpr9
; %bb.134:                              ;   in Loop: Header=BB86_83 Depth=1
	s_delay_alu instid0(SALU_CYCLE_1)
	s_or_saveexec_b32 s1, s1
	v_mov_b32_e32 v6, s5
	s_xor_b32 exec_lo, exec_lo, s1
	s_cbranch_execz .LBB86_81
; %bb.135:                              ;   in Loop: Header=BB86_83 Depth=1
	v_mov_b32_e32 v6, 1
	s_mov_b32 s2, exec_lo
	v_cmpx_ne_u16_e32 1, v9
	s_cbranch_execz .LBB86_80
; %bb.136:                              ;   in Loop: Header=BB86_83 Depth=1
	v_mov_b32_e32 v6, 0
	s_branch .LBB86_80
.LBB86_137:
	s_nop 0
	s_sendmsg sendmsg(MSG_DEALLOC_VGPRS)
	s_endpgm
	.section	.rodata,"a",@progbits
	.p2align	6, 0x0
	.amdhsa_kernel _ZN2at6native12_GLOBAL__N_125multi_tensor_apply_kernelINS1_28TensorListScalarListMetadataIaLi2EEENS1_25BinaryOpScalarListFunctorIaLi2ELi1ELi1EEEJNS1_13power_functorIaEEEEEvT_T0_DpT1_
		.amdhsa_group_segment_fixed_size 0
		.amdhsa_private_segment_fixed_size 0
		.amdhsa_kernarg_size 3464
		.amdhsa_user_sgpr_count 15
		.amdhsa_user_sgpr_dispatch_ptr 0
		.amdhsa_user_sgpr_queue_ptr 0
		.amdhsa_user_sgpr_kernarg_segment_ptr 1
		.amdhsa_user_sgpr_dispatch_id 0
		.amdhsa_user_sgpr_private_segment_size 0
		.amdhsa_wavefront_size32 1
		.amdhsa_uses_dynamic_stack 0
		.amdhsa_enable_private_segment 0
		.amdhsa_system_sgpr_workgroup_id_x 1
		.amdhsa_system_sgpr_workgroup_id_y 0
		.amdhsa_system_sgpr_workgroup_id_z 0
		.amdhsa_system_sgpr_workgroup_info 0
		.amdhsa_system_vgpr_workitem_id 0
		.amdhsa_next_free_vgpr 19
		.amdhsa_next_free_sgpr 26
		.amdhsa_reserve_vcc 1
		.amdhsa_float_round_mode_32 0
		.amdhsa_float_round_mode_16_64 0
		.amdhsa_float_denorm_mode_32 3
		.amdhsa_float_denorm_mode_16_64 3
		.amdhsa_dx10_clamp 1
		.amdhsa_ieee_mode 1
		.amdhsa_fp16_overflow 0
		.amdhsa_workgroup_processor_mode 1
		.amdhsa_memory_ordered 1
		.amdhsa_forward_progress 0
		.amdhsa_shared_vgpr_count 0
		.amdhsa_exception_fp_ieee_invalid_op 0
		.amdhsa_exception_fp_denorm_src 0
		.amdhsa_exception_fp_ieee_div_zero 0
		.amdhsa_exception_fp_ieee_overflow 0
		.amdhsa_exception_fp_ieee_underflow 0
		.amdhsa_exception_fp_ieee_inexact 0
		.amdhsa_exception_int_div_zero 0
	.end_amdhsa_kernel
	.section	.text._ZN2at6native12_GLOBAL__N_125multi_tensor_apply_kernelINS1_28TensorListScalarListMetadataIaLi2EEENS1_25BinaryOpScalarListFunctorIaLi2ELi1ELi1EEEJNS1_13power_functorIaEEEEEvT_T0_DpT1_,"axG",@progbits,_ZN2at6native12_GLOBAL__N_125multi_tensor_apply_kernelINS1_28TensorListScalarListMetadataIaLi2EEENS1_25BinaryOpScalarListFunctorIaLi2ELi1ELi1EEEJNS1_13power_functorIaEEEEEvT_T0_DpT1_,comdat
.Lfunc_end86:
	.size	_ZN2at6native12_GLOBAL__N_125multi_tensor_apply_kernelINS1_28TensorListScalarListMetadataIaLi2EEENS1_25BinaryOpScalarListFunctorIaLi2ELi1ELi1EEEJNS1_13power_functorIaEEEEEvT_T0_DpT1_, .Lfunc_end86-_ZN2at6native12_GLOBAL__N_125multi_tensor_apply_kernelINS1_28TensorListScalarListMetadataIaLi2EEENS1_25BinaryOpScalarListFunctorIaLi2ELi1ELi1EEEJNS1_13power_functorIaEEEEEvT_T0_DpT1_
                                        ; -- End function
	.section	.AMDGPU.csdata,"",@progbits
; Kernel info:
; codeLenInByte = 3144
; NumSgprs: 28
; NumVgprs: 19
; ScratchSize: 0
; MemoryBound: 0
; FloatMode: 240
; IeeeMode: 1
; LDSByteSize: 0 bytes/workgroup (compile time only)
; SGPRBlocks: 3
; VGPRBlocks: 2
; NumSGPRsForWavesPerEU: 28
; NumVGPRsForWavesPerEU: 19
; Occupancy: 16
; WaveLimiterHint : 0
; COMPUTE_PGM_RSRC2:SCRATCH_EN: 0
; COMPUTE_PGM_RSRC2:USER_SGPR: 15
; COMPUTE_PGM_RSRC2:TRAP_HANDLER: 0
; COMPUTE_PGM_RSRC2:TGID_X_EN: 1
; COMPUTE_PGM_RSRC2:TGID_Y_EN: 0
; COMPUTE_PGM_RSRC2:TGID_Z_EN: 0
; COMPUTE_PGM_RSRC2:TIDIG_COMP_CNT: 0
	.section	.text._ZN2at6native12_GLOBAL__N_125multi_tensor_apply_kernelINS1_28TensorListScalarListMetadataIiLi2EEENS1_25BinaryOpScalarListFunctorIiLi2ELi1ELi1EEEJNS1_13power_functorIiEEEEEvT_T0_DpT1_,"axG",@progbits,_ZN2at6native12_GLOBAL__N_125multi_tensor_apply_kernelINS1_28TensorListScalarListMetadataIiLi2EEENS1_25BinaryOpScalarListFunctorIiLi2ELi1ELi1EEEJNS1_13power_functorIiEEEEEvT_T0_DpT1_,comdat
	.globl	_ZN2at6native12_GLOBAL__N_125multi_tensor_apply_kernelINS1_28TensorListScalarListMetadataIiLi2EEENS1_25BinaryOpScalarListFunctorIiLi2ELi1ELi1EEEJNS1_13power_functorIiEEEEEvT_T0_DpT1_ ; -- Begin function _ZN2at6native12_GLOBAL__N_125multi_tensor_apply_kernelINS1_28TensorListScalarListMetadataIiLi2EEENS1_25BinaryOpScalarListFunctorIiLi2ELi1ELi1EEEJNS1_13power_functorIiEEEEEvT_T0_DpT1_
	.p2align	8
	.type	_ZN2at6native12_GLOBAL__N_125multi_tensor_apply_kernelINS1_28TensorListScalarListMetadataIiLi2EEENS1_25BinaryOpScalarListFunctorIiLi2ELi1ELi1EEEJNS1_13power_functorIiEEEEEvT_T0_DpT1_,@function
_ZN2at6native12_GLOBAL__N_125multi_tensor_apply_kernelINS1_28TensorListScalarListMetadataIiLi2EEENS1_25BinaryOpScalarListFunctorIiLi2ELi1ELi1EEEJNS1_13power_functorIiEEEEEvT_T0_DpT1_: ; @_ZN2at6native12_GLOBAL__N_125multi_tensor_apply_kernelINS1_28TensorListScalarListMetadataIiLi2EEENS1_25BinaryOpScalarListFunctorIiLi2ELi1ELi1EEEJNS1_13power_functorIiEEEEEvT_T0_DpT1_
; %bb.0:
	v_mov_b32_e32 v1, s15
	s_add_u32 s2, s0, s15
	s_mul_hi_u32 s3, s15, 3
	s_mul_i32 s15, s15, 3
	s_addc_u32 s4, s1, 0
	global_load_u8 v1, v1, s[0:1] offset:1792
	s_add_u32 s2, s2, s15
	s_addc_u32 s3, s4, s3
	s_load_b32 s2, s[2:3], 0x840
	s_waitcnt lgkmcnt(0)
	s_ashr_i32 s3, s2, 31
	s_waitcnt vmcnt(0)
	v_readfirstlane_b32 s6, v1
	s_delay_alu instid0(VALU_DEP_1)
	s_lshl_b32 s7, s6, 3
	s_clause 0x2
	s_load_b64 s[4:5], s[0:1], s7 offset:0x0
	s_load_b64 s[8:9], s[0:1], s7 offset:0x200
	;; [unrolled: 1-line block ×3, first 2 shown]
	s_add_u32 s17, s0, s7
	s_addc_u32 s18, s1, 0
	s_lshl_b64 s[12:13], s[2:3], 18
	s_waitcnt lgkmcnt(0)
	s_add_u32 s7, s4, s12
	s_addc_u32 s14, s5, s13
	s_and_b32 s4, s7, 15
	s_add_u32 s15, s8, s12
	s_addc_u32 s16, s9, s13
	s_and_b32 s5, s10, 3
	s_and_b32 s8, s15, 15
	s_or_b32 s4, s4, s5
	s_lshl_b32 s5, s6, 2
	s_or_b32 s4, s8, s4
	s_sub_u32 s8, s17, s5
	s_subb_u32 s9, s18, 0
	s_lshl_b64 s[2:3], s[2:3], 16
	s_load_b32 s17, s[8:9], 0x600
	s_mov_b32 s5, 0
	s_sub_u32 s8, s10, s2
	s_subb_u32 s9, s11, s3
	s_cmp_eq_u64 s[4:5], 0
	s_mov_b32 s2, -1
	s_cbranch_scc1 .LBB87_81
; %bb.1:
	v_cmp_lt_i64_e64 s2, s[8:9], 1
	s_delay_alu instid0(VALU_DEP_1)
	s_and_b32 vcc_lo, exec_lo, s2
	s_cbranch_vccnz .LBB87_80
; %bb.2:
	s_load_b32 s2, s[0:1], 0xd54
	v_cmp_gt_u64_e64 s3, 0x10000, s[8:9]
	s_mov_b64 s[12:13], 0
	s_waitcnt lgkmcnt(0)
	s_and_b32 s18, s2, 0xffff
	s_delay_alu instid0(VALU_DEP_1)
	s_and_b32 s2, s3, exec_lo
	s_cselect_b32 s11, s9, 0
	s_cselect_b32 s10, s8, 0x10000
	s_lshl_b32 s19, s18, 1
	s_cmp_gt_i32 s17, -1
	s_mul_i32 s20, s18, 3
	s_cselect_b32 s21, -1, 0
	s_cmp_lg_u32 s17, 0
	s_cselect_b32 s22, -1, 0
	s_bitcmp0_b32 s17, 0
	v_cndmask_b32_e64 v9, 0, 1, s22
	s_cselect_b32 s23, 1, -1
	s_lshl_b32 s24, s18, 2
	s_branch .LBB87_4
.LBB87_3:                               ;   in Loop: Header=BB87_4 Depth=1
	s_or_b32 exec_lo, exec_lo, s2
	s_add_u32 s12, s12, s24
	s_addc_u32 s13, s13, 0
	s_delay_alu instid0(SALU_CYCLE_1) | instskip(SKIP_1) | instid1(VALU_DEP_1)
	v_cmp_ge_i64_e64 s2, s[12:13], s[8:9]
	v_cmp_lt_u64_e64 s3, 0xffff, s[12:13]
	s_or_b32 s2, s2, s3
	s_delay_alu instid0(SALU_CYCLE_1)
	s_and_b32 vcc_lo, exec_lo, s2
	s_cbranch_vccnz .LBB87_80
.LBB87_4:                               ; =>This Loop Header: Depth=1
                                        ;     Child Loop BB87_15 Depth 2
                                        ;     Child Loop BB87_20 Depth 2
	;; [unrolled: 1-line block ×4, first 2 shown]
	v_add_co_u32 v7, s2, s12, v0
	s_delay_alu instid0(VALU_DEP_1) | instskip(SKIP_2) | instid1(VALU_DEP_2)
	v_add_co_ci_u32_e64 v8, null, s13, 0, s2
	s_waitcnt vmcnt(0)
	v_mov_b32_e32 v13, 0
	v_cmp_gt_u64_e64 s2, s[10:11], v[7:8]
	v_lshlrev_b64 v[1:2], 2, v[7:8]
	s_delay_alu instid0(VALU_DEP_2)
	s_and_saveexec_b32 s3, s2
	s_cbranch_execz .LBB87_6
; %bb.5:                                ;   in Loop: Header=BB87_4 Depth=1
	s_delay_alu instid0(VALU_DEP_1) | instskip(NEXT) | instid1(VALU_DEP_2)
	v_add_co_u32 v3, vcc_lo, s7, v1
	v_add_co_ci_u32_e32 v4, vcc_lo, s14, v2, vcc_lo
	global_load_b32 v13, v[3:4], off
.LBB87_6:                               ;   in Loop: Header=BB87_4 Depth=1
	s_or_b32 exec_lo, exec_lo, s3
	v_add_co_u32 v3, vcc_lo, v7, s18
	v_add_co_ci_u32_e32 v4, vcc_lo, 0, v8, vcc_lo
	v_mov_b32_e32 v14, 0
	s_delay_alu instid0(VALU_DEP_2) | instskip(SKIP_1) | instid1(VALU_DEP_2)
	v_cmp_gt_u64_e64 s3, s[10:11], v[3:4]
	v_lshlrev_b64 v[3:4], 2, v[3:4]
	s_and_saveexec_b32 s4, s3
	s_cbranch_execz .LBB87_8
; %bb.7:                                ;   in Loop: Header=BB87_4 Depth=1
	s_delay_alu instid0(VALU_DEP_1) | instskip(NEXT) | instid1(VALU_DEP_2)
	v_add_co_u32 v5, vcc_lo, s7, v3
	v_add_co_ci_u32_e32 v6, vcc_lo, s14, v4, vcc_lo
	global_load_b32 v14, v[5:6], off
.LBB87_8:                               ;   in Loop: Header=BB87_4 Depth=1
	s_or_b32 exec_lo, exec_lo, s4
	v_add_co_u32 v5, vcc_lo, v7, s19
	v_add_co_ci_u32_e32 v6, vcc_lo, 0, v8, vcc_lo
	v_mov_b32_e32 v10, 0
	v_mov_b32_e32 v12, 0
	s_delay_alu instid0(VALU_DEP_3) | instskip(SKIP_1) | instid1(VALU_DEP_2)
	v_cmp_gt_u64_e64 s4, s[10:11], v[5:6]
	v_lshlrev_b64 v[5:6], 2, v[5:6]
	s_and_saveexec_b32 s5, s4
	s_cbranch_execz .LBB87_10
; %bb.9:                                ;   in Loop: Header=BB87_4 Depth=1
	s_delay_alu instid0(VALU_DEP_1) | instskip(NEXT) | instid1(VALU_DEP_2)
	v_add_co_u32 v11, vcc_lo, s7, v5
	v_add_co_ci_u32_e32 v12, vcc_lo, s14, v6, vcc_lo
	global_load_b32 v12, v[11:12], off
.LBB87_10:                              ;   in Loop: Header=BB87_4 Depth=1
	s_or_b32 exec_lo, exec_lo, s5
	v_add_co_u32 v7, vcc_lo, v7, s20
	v_add_co_ci_u32_e32 v8, vcc_lo, 0, v8, vcc_lo
	s_delay_alu instid0(VALU_DEP_1) | instskip(SKIP_1) | instid1(VALU_DEP_2)
	v_cmp_gt_u64_e64 s5, s[10:11], v[7:8]
	v_lshlrev_b64 v[7:8], 2, v[7:8]
	s_and_saveexec_b32 s6, s5
	s_cbranch_execz .LBB87_12
; %bb.11:                               ;   in Loop: Header=BB87_4 Depth=1
	s_delay_alu instid0(VALU_DEP_1) | instskip(NEXT) | instid1(VALU_DEP_2)
	v_add_co_u32 v10, vcc_lo, s7, v7
	v_add_co_ci_u32_e32 v11, vcc_lo, s14, v8, vcc_lo
	global_load_b32 v10, v[10:11], off
.LBB87_12:                              ;   in Loop: Header=BB87_4 Depth=1
	s_or_b32 exec_lo, exec_lo, s6
	v_cmp_ne_u32_e64 s6, 1, v9
	s_and_b32 vcc_lo, exec_lo, s21
	s_cbranch_vccz .LBB87_32
; %bb.13:                               ;   in Loop: Header=BB87_4 Depth=1
	v_mov_b32_e32 v11, 1
	s_delay_alu instid0(VALU_DEP_2)
	s_and_b32 vcc_lo, exec_lo, s6
	s_cbranch_vccnz .LBB87_16
; %bb.14:                               ;   in Loop: Header=BB87_4 Depth=1
	v_mov_b32_e32 v11, 1
	s_waitcnt vmcnt(0)
	v_mov_b32_e32 v15, v13
	s_mov_b32 s6, s17
.LBB87_15:                              ;   Parent Loop BB87_4 Depth=1
                                        ; =>  This Inner Loop Header: Depth=2
	s_delay_alu instid0(SALU_CYCLE_1)
	s_bitcmp1_b32 s6, 0
	s_cselect_b32 vcc_lo, -1, 0
	s_lshr_b32 s25, s6, 1
	v_cndmask_b32_e32 v16, 1, v15, vcc_lo
	v_mul_lo_u32 v15, v15, v15
	s_cmp_gt_u32 s6, 1
	s_mov_b32 s6, s25
	s_delay_alu instid0(VALU_DEP_2)
	v_mul_lo_u32 v11, v16, v11
	s_cbranch_scc1 .LBB87_15
.LBB87_16:                              ;   in Loop: Header=BB87_4 Depth=1
	s_cbranch_execz .LBB87_33
; %bb.17:                               ;   in Loop: Header=BB87_4 Depth=1
	s_and_not1_b32 vcc_lo, exec_lo, s21
	s_cbranch_vccnz .LBB87_39
.LBB87_18:                              ;   in Loop: Header=BB87_4 Depth=1
	s_waitcnt vmcnt(0)
	v_mov_b32_e32 v13, 1
	s_and_not1_b32 vcc_lo, exec_lo, s22
	s_cbranch_vccnz .LBB87_21
; %bb.19:                               ;   in Loop: Header=BB87_4 Depth=1
	v_mov_b32_e32 v13, 1
	v_mov_b32_e32 v15, v14
	s_mov_b32 s6, s17
.LBB87_20:                              ;   Parent Loop BB87_4 Depth=1
                                        ; =>  This Inner Loop Header: Depth=2
	s_delay_alu instid0(SALU_CYCLE_1)
	s_bitcmp1_b32 s6, 0
	s_cselect_b32 vcc_lo, -1, 0
	s_lshr_b32 s25, s6, 1
	v_cndmask_b32_e32 v16, 1, v15, vcc_lo
	v_mul_lo_u32 v15, v15, v15
	s_cmp_lt_u32 s6, 2
	s_mov_b32 s6, s25
	s_delay_alu instid0(VALU_DEP_2)
	v_mul_lo_u32 v13, v16, v13
	s_cbranch_scc0 .LBB87_20
.LBB87_21:                              ;   in Loop: Header=BB87_4 Depth=1
	s_cbranch_execz .LBB87_40
; %bb.22:                               ;   in Loop: Header=BB87_4 Depth=1
	s_and_not1_b32 vcc_lo, exec_lo, s21
	s_cbranch_vccnz .LBB87_46
.LBB87_23:                              ;   in Loop: Header=BB87_4 Depth=1
	s_waitcnt vmcnt(0)
	v_mov_b32_e32 v14, 1
	s_and_not1_b32 vcc_lo, exec_lo, s22
	s_cbranch_vccnz .LBB87_26
; %bb.24:                               ;   in Loop: Header=BB87_4 Depth=1
	v_dual_mov_b32 v14, 1 :: v_dual_mov_b32 v15, v12
	s_mov_b32 s6, s17
.LBB87_25:                              ;   Parent Loop BB87_4 Depth=1
                                        ; =>  This Inner Loop Header: Depth=2
	s_delay_alu instid0(SALU_CYCLE_1)
	s_bitcmp1_b32 s6, 0
	s_cselect_b32 vcc_lo, -1, 0
	s_lshr_b32 s25, s6, 1
	v_cndmask_b32_e32 v16, 1, v15, vcc_lo
	v_mul_lo_u32 v15, v15, v15
	s_cmp_lt_u32 s6, 2
	s_mov_b32 s6, s25
	s_delay_alu instid0(VALU_DEP_2)
	v_mul_lo_u32 v14, v16, v14
	s_cbranch_scc0 .LBB87_25
.LBB87_26:                              ;   in Loop: Header=BB87_4 Depth=1
	s_cbranch_execz .LBB87_47
; %bb.27:                               ;   in Loop: Header=BB87_4 Depth=1
	s_and_not1_b32 vcc_lo, exec_lo, s21
	s_cbranch_vccnz .LBB87_53
.LBB87_28:                              ;   in Loop: Header=BB87_4 Depth=1
	s_waitcnt vmcnt(0)
	v_mov_b32_e32 v12, 1
	s_and_not1_b32 vcc_lo, exec_lo, s22
	s_cbranch_vccnz .LBB87_31
; %bb.29:                               ;   in Loop: Header=BB87_4 Depth=1
	v_dual_mov_b32 v12, 1 :: v_dual_mov_b32 v15, v10
	s_mov_b32 s6, s17
.LBB87_30:                              ;   Parent Loop BB87_4 Depth=1
                                        ; =>  This Inner Loop Header: Depth=2
	s_delay_alu instid0(SALU_CYCLE_1)
	s_bitcmp1_b32 s6, 0
	s_cselect_b32 vcc_lo, -1, 0
	s_lshr_b32 s25, s6, 1
	v_cndmask_b32_e32 v16, 1, v15, vcc_lo
	v_mul_lo_u32 v15, v15, v15
	s_cmp_lt_u32 s6, 2
	s_mov_b32 s6, s25
	s_delay_alu instid0(VALU_DEP_2)
	v_mul_lo_u32 v12, v16, v12
	s_cbranch_scc0 .LBB87_30
.LBB87_31:                              ;   in Loop: Header=BB87_4 Depth=1
	s_cbranch_execz .LBB87_54
	s_branch .LBB87_60
.LBB87_32:                              ;   in Loop: Header=BB87_4 Depth=1
                                        ; implicit-def: $vgpr11
.LBB87_33:                              ;   in Loop: Header=BB87_4 Depth=1
	s_mov_b32 s6, 0
	s_mov_b32 s25, 0
	s_mov_b32 s26, exec_lo
	s_waitcnt vmcnt(0)
	v_cmpx_lt_i32_e32 0, v13
	s_xor_b32 s26, exec_lo, s26
	s_cbranch_execnz .LBB87_68
; %bb.34:                               ;   in Loop: Header=BB87_4 Depth=1
	s_and_not1_saveexec_b32 s26, s26
	s_cbranch_execnz .LBB87_69
.LBB87_35:                              ;   in Loop: Header=BB87_4 Depth=1
	s_or_b32 exec_lo, exec_lo, s26
	s_and_saveexec_b32 s26, s25
	s_delay_alu instid0(SALU_CYCLE_1)
	s_xor_b32 s25, exec_lo, s26
	s_cbranch_execnz .LBB87_70
.LBB87_36:                              ;   in Loop: Header=BB87_4 Depth=1
	s_or_b32 exec_lo, exec_lo, s25
	s_and_saveexec_b32 s25, s6
.LBB87_37:                              ;   in Loop: Header=BB87_4 Depth=1
	v_mov_b32_e32 v13, s23
.LBB87_38:                              ;   in Loop: Header=BB87_4 Depth=1
	s_or_b32 exec_lo, exec_lo, s25
	s_delay_alu instid0(VALU_DEP_1)
	v_mov_b32_e32 v11, v13
	s_and_not1_b32 vcc_lo, exec_lo, s21
	s_cbranch_vccz .LBB87_18
.LBB87_39:                              ;   in Loop: Header=BB87_4 Depth=1
                                        ; implicit-def: $vgpr13
.LBB87_40:                              ;   in Loop: Header=BB87_4 Depth=1
	s_mov_b32 s6, 0
	s_mov_b32 s25, 0
	s_mov_b32 s26, exec_lo
	s_waitcnt vmcnt(0)
	v_cmpx_lt_i32_e32 0, v14
	s_xor_b32 s26, exec_lo, s26
	s_cbranch_execnz .LBB87_71
; %bb.41:                               ;   in Loop: Header=BB87_4 Depth=1
	s_and_not1_saveexec_b32 s26, s26
	s_cbranch_execnz .LBB87_72
.LBB87_42:                              ;   in Loop: Header=BB87_4 Depth=1
	s_or_b32 exec_lo, exec_lo, s26
	s_and_saveexec_b32 s26, s25
	s_delay_alu instid0(SALU_CYCLE_1)
	s_xor_b32 s25, exec_lo, s26
	s_cbranch_execnz .LBB87_73
.LBB87_43:                              ;   in Loop: Header=BB87_4 Depth=1
	s_or_b32 exec_lo, exec_lo, s25
	s_and_saveexec_b32 s25, s6
.LBB87_44:                              ;   in Loop: Header=BB87_4 Depth=1
	v_mov_b32_e32 v14, s23
.LBB87_45:                              ;   in Loop: Header=BB87_4 Depth=1
	s_or_b32 exec_lo, exec_lo, s25
	s_delay_alu instid0(VALU_DEP_1)
	v_mov_b32_e32 v13, v14
	s_and_not1_b32 vcc_lo, exec_lo, s21
	s_cbranch_vccz .LBB87_23
.LBB87_46:                              ;   in Loop: Header=BB87_4 Depth=1
                                        ; implicit-def: $vgpr14
.LBB87_47:                              ;   in Loop: Header=BB87_4 Depth=1
	s_mov_b32 s6, 0
	s_mov_b32 s25, 0
	s_mov_b32 s26, exec_lo
	s_waitcnt vmcnt(0)
	v_cmpx_lt_i32_e32 0, v12
	s_xor_b32 s26, exec_lo, s26
	s_cbranch_execnz .LBB87_74
; %bb.48:                               ;   in Loop: Header=BB87_4 Depth=1
	s_and_not1_saveexec_b32 s26, s26
	s_cbranch_execnz .LBB87_75
.LBB87_49:                              ;   in Loop: Header=BB87_4 Depth=1
	s_or_b32 exec_lo, exec_lo, s26
	s_and_saveexec_b32 s26, s25
	s_delay_alu instid0(SALU_CYCLE_1)
	s_xor_b32 s25, exec_lo, s26
	s_cbranch_execnz .LBB87_76
.LBB87_50:                              ;   in Loop: Header=BB87_4 Depth=1
	s_or_b32 exec_lo, exec_lo, s25
	s_and_saveexec_b32 s25, s6
.LBB87_51:                              ;   in Loop: Header=BB87_4 Depth=1
	v_mov_b32_e32 v12, s23
.LBB87_52:                              ;   in Loop: Header=BB87_4 Depth=1
	s_or_b32 exec_lo, exec_lo, s25
	s_delay_alu instid0(VALU_DEP_1)
	v_mov_b32_e32 v14, v12
	s_and_not1_b32 vcc_lo, exec_lo, s21
	s_cbranch_vccz .LBB87_28
.LBB87_53:                              ;   in Loop: Header=BB87_4 Depth=1
                                        ; implicit-def: $vgpr12
.LBB87_54:                              ;   in Loop: Header=BB87_4 Depth=1
	s_mov_b32 s6, 0
	s_mov_b32 s25, 0
	s_mov_b32 s26, exec_lo
	s_waitcnt vmcnt(0)
	v_cmpx_lt_i32_e32 0, v10
	s_xor_b32 s26, exec_lo, s26
	s_cbranch_execnz .LBB87_77
; %bb.55:                               ;   in Loop: Header=BB87_4 Depth=1
	s_and_not1_saveexec_b32 s26, s26
	s_cbranch_execnz .LBB87_78
.LBB87_56:                              ;   in Loop: Header=BB87_4 Depth=1
	s_or_b32 exec_lo, exec_lo, s26
	s_and_saveexec_b32 s26, s25
	s_delay_alu instid0(SALU_CYCLE_1)
	s_xor_b32 s25, exec_lo, s26
	s_cbranch_execnz .LBB87_79
.LBB87_57:                              ;   in Loop: Header=BB87_4 Depth=1
	s_or_b32 exec_lo, exec_lo, s25
	s_and_saveexec_b32 s25, s6
.LBB87_58:                              ;   in Loop: Header=BB87_4 Depth=1
	v_mov_b32_e32 v10, s23
.LBB87_59:                              ;   in Loop: Header=BB87_4 Depth=1
	s_or_b32 exec_lo, exec_lo, s25
	s_delay_alu instid0(VALU_DEP_1)
	v_mov_b32_e32 v12, v10
.LBB87_60:                              ;   in Loop: Header=BB87_4 Depth=1
	s_and_saveexec_b32 s6, s2
	s_delay_alu instid0(SALU_CYCLE_1)
	s_xor_b32 s2, exec_lo, s6
	s_cbranch_execnz .LBB87_64
; %bb.61:                               ;   in Loop: Header=BB87_4 Depth=1
	s_or_b32 exec_lo, exec_lo, s2
	s_and_saveexec_b32 s2, s3
	s_cbranch_execnz .LBB87_65
.LBB87_62:                              ;   in Loop: Header=BB87_4 Depth=1
	s_or_b32 exec_lo, exec_lo, s2
	s_and_saveexec_b32 s2, s4
	s_cbranch_execnz .LBB87_66
.LBB87_63:                              ;   in Loop: Header=BB87_4 Depth=1
	s_or_b32 exec_lo, exec_lo, s2
	s_and_saveexec_b32 s2, s5
	s_cbranch_execz .LBB87_3
	s_branch .LBB87_67
.LBB87_64:                              ;   in Loop: Header=BB87_4 Depth=1
	v_add_co_u32 v1, vcc_lo, s15, v1
	v_add_co_ci_u32_e32 v2, vcc_lo, s16, v2, vcc_lo
	global_store_b32 v[1:2], v11, off
	s_or_b32 exec_lo, exec_lo, s2
	s_and_saveexec_b32 s2, s3
	s_cbranch_execz .LBB87_62
.LBB87_65:                              ;   in Loop: Header=BB87_4 Depth=1
	v_add_co_u32 v1, vcc_lo, s15, v3
	v_add_co_ci_u32_e32 v2, vcc_lo, s16, v4, vcc_lo
	s_waitcnt vmcnt(0)
	global_store_b32 v[1:2], v13, off
	s_or_b32 exec_lo, exec_lo, s2
	s_and_saveexec_b32 s2, s4
	s_cbranch_execz .LBB87_63
.LBB87_66:                              ;   in Loop: Header=BB87_4 Depth=1
	v_add_co_u32 v1, vcc_lo, s15, v5
	v_add_co_ci_u32_e32 v2, vcc_lo, s16, v6, vcc_lo
	s_waitcnt vmcnt(0)
	global_store_b32 v[1:2], v14, off
	s_or_b32 exec_lo, exec_lo, s2
	s_and_saveexec_b32 s2, s5
	s_cbranch_execz .LBB87_3
.LBB87_67:                              ;   in Loop: Header=BB87_4 Depth=1
	v_add_co_u32 v1, vcc_lo, s15, v7
	v_add_co_ci_u32_e32 v2, vcc_lo, s16, v8, vcc_lo
	s_waitcnt vmcnt(0)
	global_store_b32 v[1:2], v12, off
	s_branch .LBB87_3
.LBB87_68:                              ;   in Loop: Header=BB87_4 Depth=1
	v_cmp_ne_u32_e32 vcc_lo, 1, v13
	s_and_b32 s25, vcc_lo, exec_lo
	s_and_not1_saveexec_b32 s26, s26
	s_cbranch_execz .LBB87_35
.LBB87_69:                              ;   in Loop: Header=BB87_4 Depth=1
	v_cmp_ne_u32_e32 vcc_lo, -1, v13
	s_and_not1_b32 s25, s25, exec_lo
	s_mov_b32 s6, exec_lo
                                        ; implicit-def: $vgpr13
	s_and_b32 s27, vcc_lo, exec_lo
	s_delay_alu instid0(SALU_CYCLE_1) | instskip(SKIP_2) | instid1(SALU_CYCLE_1)
	s_or_b32 s25, s25, s27
	s_or_b32 exec_lo, exec_lo, s26
	s_and_saveexec_b32 s26, s25
	s_xor_b32 s25, exec_lo, s26
	s_cbranch_execz .LBB87_36
.LBB87_70:                              ;   in Loop: Header=BB87_4 Depth=1
	v_mov_b32_e32 v13, 0
	s_and_not1_b32 s6, s6, exec_lo
	s_or_b32 exec_lo, exec_lo, s25
	s_and_saveexec_b32 s25, s6
	s_cbranch_execnz .LBB87_37
	s_branch .LBB87_38
.LBB87_71:                              ;   in Loop: Header=BB87_4 Depth=1
	v_cmp_ne_u32_e32 vcc_lo, 1, v14
	s_and_b32 s25, vcc_lo, exec_lo
	s_and_not1_saveexec_b32 s26, s26
	s_cbranch_execz .LBB87_42
.LBB87_72:                              ;   in Loop: Header=BB87_4 Depth=1
	v_cmp_ne_u32_e32 vcc_lo, -1, v14
	s_and_not1_b32 s25, s25, exec_lo
	s_mov_b32 s6, exec_lo
                                        ; implicit-def: $vgpr14
	s_and_b32 s27, vcc_lo, exec_lo
	s_delay_alu instid0(SALU_CYCLE_1) | instskip(SKIP_2) | instid1(SALU_CYCLE_1)
	s_or_b32 s25, s25, s27
	s_or_b32 exec_lo, exec_lo, s26
	s_and_saveexec_b32 s26, s25
	s_xor_b32 s25, exec_lo, s26
	s_cbranch_execz .LBB87_43
.LBB87_73:                              ;   in Loop: Header=BB87_4 Depth=1
	v_mov_b32_e32 v14, 0
	s_and_not1_b32 s6, s6, exec_lo
	s_or_b32 exec_lo, exec_lo, s25
	s_and_saveexec_b32 s25, s6
	s_cbranch_execnz .LBB87_44
	s_branch .LBB87_45
.LBB87_74:                              ;   in Loop: Header=BB87_4 Depth=1
	v_cmp_ne_u32_e32 vcc_lo, 1, v12
	s_and_b32 s25, vcc_lo, exec_lo
	s_and_not1_saveexec_b32 s26, s26
	s_cbranch_execz .LBB87_49
.LBB87_75:                              ;   in Loop: Header=BB87_4 Depth=1
	v_cmp_ne_u32_e32 vcc_lo, -1, v12
	s_and_not1_b32 s25, s25, exec_lo
	s_mov_b32 s6, exec_lo
                                        ; implicit-def: $vgpr12
	s_and_b32 s27, vcc_lo, exec_lo
	s_delay_alu instid0(SALU_CYCLE_1) | instskip(SKIP_2) | instid1(SALU_CYCLE_1)
	s_or_b32 s25, s25, s27
	s_or_b32 exec_lo, exec_lo, s26
	s_and_saveexec_b32 s26, s25
	s_xor_b32 s25, exec_lo, s26
	s_cbranch_execz .LBB87_50
.LBB87_76:                              ;   in Loop: Header=BB87_4 Depth=1
	v_mov_b32_e32 v12, 0
	s_and_not1_b32 s6, s6, exec_lo
	s_or_b32 exec_lo, exec_lo, s25
	s_and_saveexec_b32 s25, s6
	s_cbranch_execnz .LBB87_51
	s_branch .LBB87_52
.LBB87_77:                              ;   in Loop: Header=BB87_4 Depth=1
	v_cmp_ne_u32_e32 vcc_lo, 1, v10
	s_and_b32 s25, vcc_lo, exec_lo
	s_and_not1_saveexec_b32 s26, s26
	s_cbranch_execz .LBB87_56
.LBB87_78:                              ;   in Loop: Header=BB87_4 Depth=1
	v_cmp_ne_u32_e32 vcc_lo, -1, v10
	s_and_not1_b32 s25, s25, exec_lo
	s_mov_b32 s6, exec_lo
                                        ; implicit-def: $vgpr10
	s_and_b32 s27, vcc_lo, exec_lo
	s_delay_alu instid0(SALU_CYCLE_1) | instskip(SKIP_2) | instid1(SALU_CYCLE_1)
	s_or_b32 s25, s25, s27
	s_or_b32 exec_lo, exec_lo, s26
	s_and_saveexec_b32 s26, s25
	s_xor_b32 s25, exec_lo, s26
	s_cbranch_execz .LBB87_57
.LBB87_79:                              ;   in Loop: Header=BB87_4 Depth=1
	v_mov_b32_e32 v10, 0
	s_and_not1_b32 s6, s6, exec_lo
	s_or_b32 exec_lo, exec_lo, s25
	s_and_saveexec_b32 s25, s6
	s_cbranch_execnz .LBB87_58
	s_branch .LBB87_59
.LBB87_80:
	s_mov_b32 s2, 0
.LBB87_81:
	s_delay_alu instid0(SALU_CYCLE_1)
	s_and_not1_b32 vcc_lo, exec_lo, s2
	s_cbranch_vccnz .LBB87_145
; %bb.82:
	v_dual_mov_b32 v2, 0 :: v_dual_lshlrev_b32 v1, 2, v0
	s_mov_b32 s2, 0
	s_mov_b32 s3, exec_lo
	s_delay_alu instid0(VALU_DEP_1)
	v_cmpx_gt_i64_e64 s[8:9], v[1:2]
	s_cbranch_execz .LBB87_145
; %bb.83:
	s_load_b32 s0, s[0:1], 0xd54
	s_waitcnt lgkmcnt(0)
	s_cmp_gt_i32 s17, -1
	v_mov_b32_e32 v1, v2
	s_cselect_b32 s1, -1, 0
	s_cmp_lg_u32 s17, 0
	s_cselect_b32 s3, -1, 0
	s_bitcmp0_b32 s17, 0
	s_waitcnt vmcnt(0)
	v_cndmask_b32_e64 v12, 0, 1, s3
	s_cselect_b32 s4, 1, -1
	s_and_b32 s5, s0, 0xffff
	s_branch .LBB87_86
.LBB87_84:                              ;   in Loop: Header=BB87_86 Depth=1
	s_or_b32 exec_lo, exec_lo, s6
	s_delay_alu instid0(VALU_DEP_1)
	v_mov_b32_e32 v9, v5
.LBB87_85:                              ;   in Loop: Header=BB87_86 Depth=1
	v_add_co_u32 v0, vcc_lo, v0, s5
	v_add_co_ci_u32_e32 v1, vcc_lo, 0, v1, vcc_lo
	s_waitcnt vmcnt(0)
	s_delay_alu instid0(VALU_DEP_1) | instskip(NEXT) | instid1(VALU_DEP_1)
	v_lshlrev_b64 v[2:3], 2, v[0:1]
	v_cmp_le_i64_e32 vcc_lo, s[8:9], v[2:3]
	v_cmp_lt_u64_e64 s0, 0xffff, v[2:3]
	s_delay_alu instid0(VALU_DEP_1) | instskip(SKIP_3) | instid1(SALU_CYCLE_1)
	s_or_b32 s0, vcc_lo, s0
	v_add_co_u32 v2, vcc_lo, s15, v10
	v_add_co_ci_u32_e32 v3, vcc_lo, s16, v11, vcc_lo
	s_and_b32 s0, exec_lo, s0
	s_or_b32 s2, s0, s2
	global_store_b128 v[2:3], v[6:9], off
	s_and_not1_b32 exec_lo, exec_lo, s2
	s_cbranch_execz .LBB87_145
.LBB87_86:                              ; =>This Loop Header: Depth=1
                                        ;     Child Loop BB87_105 Depth 2
                                        ;     Child Loop BB87_91 Depth 2
	;; [unrolled: 1-line block ×4, first 2 shown]
	v_lshlrev_b64 v[10:11], 4, v[0:1]
	v_cmp_ne_u32_e64 s0, 1, v12
	s_mov_b32 s6, -1
                                        ; implicit-def: $vgpr6
	s_delay_alu instid0(VALU_DEP_2) | instskip(NEXT) | instid1(VALU_DEP_3)
	v_add_co_u32 v2, vcc_lo, s7, v10
	v_add_co_ci_u32_e32 v3, vcc_lo, s14, v11, vcc_lo
	s_and_b32 vcc_lo, exec_lo, s1
	global_load_b128 v[2:5], v[2:3], off
	s_cbranch_vccnz .LBB87_103
; %bb.87:                               ;   in Loop: Header=BB87_86 Depth=1
	s_and_not1_b32 vcc_lo, exec_lo, s6
	s_cbranch_vccz .LBB87_107
.LBB87_88:                              ;   in Loop: Header=BB87_86 Depth=1
	s_and_not1_b32 vcc_lo, exec_lo, s1
	s_cbranch_vccnz .LBB87_113
.LBB87_89:                              ;   in Loop: Header=BB87_86 Depth=1
	v_mov_b32_e32 v7, 1
	s_and_not1_b32 vcc_lo, exec_lo, s3
	s_cbranch_vccnz .LBB87_92
; %bb.90:                               ;   in Loop: Header=BB87_86 Depth=1
	s_waitcnt vmcnt(0)
	v_dual_mov_b32 v7, 1 :: v_dual_mov_b32 v2, v3
	s_mov_b32 s0, s17
.LBB87_91:                              ;   Parent Loop BB87_86 Depth=1
                                        ; =>  This Inner Loop Header: Depth=2
	s_delay_alu instid0(SALU_CYCLE_1)
	s_bitcmp1_b32 s0, 0
	s_cselect_b32 vcc_lo, -1, 0
	s_lshr_b32 s6, s0, 1
	v_cndmask_b32_e32 v8, 1, v2, vcc_lo
	v_mul_lo_u32 v2, v2, v2
	s_cmp_lt_u32 s0, 2
	s_mov_b32 s0, s6
	s_delay_alu instid0(VALU_DEP_2)
	v_mul_lo_u32 v7, v8, v7
	s_cbranch_scc0 .LBB87_91
.LBB87_92:                              ;   in Loop: Header=BB87_86 Depth=1
	s_cbranch_execz .LBB87_114
; %bb.93:                               ;   in Loop: Header=BB87_86 Depth=1
	s_and_not1_b32 vcc_lo, exec_lo, s1
	s_cbranch_vccnz .LBB87_120
.LBB87_94:                              ;   in Loop: Header=BB87_86 Depth=1
	v_mov_b32_e32 v8, 1
	s_and_not1_b32 vcc_lo, exec_lo, s3
	s_cbranch_vccnz .LBB87_97
; %bb.95:                               ;   in Loop: Header=BB87_86 Depth=1
	v_mov_b32_e32 v8, 1
	s_waitcnt vmcnt(0)
	v_mov_b32_e32 v2, v4
	s_mov_b32 s0, s17
.LBB87_96:                              ;   Parent Loop BB87_86 Depth=1
                                        ; =>  This Inner Loop Header: Depth=2
	s_delay_alu instid0(SALU_CYCLE_1)
	s_bitcmp1_b32 s0, 0
	s_cselect_b32 vcc_lo, -1, 0
	s_lshr_b32 s6, s0, 1
	v_cndmask_b32_e32 v3, 1, v2, vcc_lo
	v_mul_lo_u32 v2, v2, v2
	s_cmp_lt_u32 s0, 2
	s_mov_b32 s0, s6
	s_delay_alu instid0(VALU_DEP_2)
	v_mul_lo_u32 v8, v3, v8
	s_cbranch_scc0 .LBB87_96
.LBB87_97:                              ;   in Loop: Header=BB87_86 Depth=1
	s_cbranch_execz .LBB87_121
; %bb.98:                               ;   in Loop: Header=BB87_86 Depth=1
	s_and_not1_b32 vcc_lo, exec_lo, s1
	s_cbranch_vccnz .LBB87_127
.LBB87_99:                              ;   in Loop: Header=BB87_86 Depth=1
	v_mov_b32_e32 v9, 1
	s_and_not1_b32 vcc_lo, exec_lo, s3
	s_cbranch_vccnz .LBB87_102
; %bb.100:                              ;   in Loop: Header=BB87_86 Depth=1
	s_waitcnt vmcnt(0)
	v_dual_mov_b32 v9, 1 :: v_dual_mov_b32 v2, v5
	s_mov_b32 s0, s17
.LBB87_101:                             ;   Parent Loop BB87_86 Depth=1
                                        ; =>  This Inner Loop Header: Depth=2
	s_delay_alu instid0(SALU_CYCLE_1)
	s_bitcmp1_b32 s0, 0
	s_cselect_b32 vcc_lo, -1, 0
	s_lshr_b32 s6, s0, 1
	v_cndmask_b32_e32 v3, 1, v2, vcc_lo
	v_mul_lo_u32 v2, v2, v2
	s_cmp_lt_u32 s0, 2
	s_mov_b32 s0, s6
	s_delay_alu instid0(VALU_DEP_2)
	v_mul_lo_u32 v9, v3, v9
	s_cbranch_scc0 .LBB87_101
.LBB87_102:                             ;   in Loop: Header=BB87_86 Depth=1
	s_cbranch_execnz .LBB87_85
	s_branch .LBB87_128
.LBB87_103:                             ;   in Loop: Header=BB87_86 Depth=1
	v_mov_b32_e32 v6, 1
	s_and_b32 vcc_lo, exec_lo, s0
	s_cbranch_vccnz .LBB87_106
; %bb.104:                              ;   in Loop: Header=BB87_86 Depth=1
	s_waitcnt vmcnt(0)
	v_dual_mov_b32 v6, 1 :: v_dual_mov_b32 v7, v2
	s_mov_b32 s0, s17
.LBB87_105:                             ;   Parent Loop BB87_86 Depth=1
                                        ; =>  This Inner Loop Header: Depth=2
	s_delay_alu instid0(SALU_CYCLE_1)
	s_bitcmp1_b32 s0, 0
	s_cselect_b32 vcc_lo, -1, 0
	s_lshr_b32 s6, s0, 1
	v_cndmask_b32_e32 v8, 1, v7, vcc_lo
	v_mul_lo_u32 v7, v7, v7
	s_cmp_gt_u32 s0, 1
	s_mov_b32 s0, s6
	s_delay_alu instid0(VALU_DEP_2)
	v_mul_lo_u32 v6, v8, v6
	s_cbranch_scc1 .LBB87_105
.LBB87_106:                             ;   in Loop: Header=BB87_86 Depth=1
	s_cbranch_execnz .LBB87_88
.LBB87_107:                             ;   in Loop: Header=BB87_86 Depth=1
	s_mov_b32 s0, 0
	s_mov_b32 s6, 0
	s_mov_b32 s10, exec_lo
	s_waitcnt vmcnt(0)
	v_cmpx_lt_i32_e32 0, v2
	s_xor_b32 s10, exec_lo, s10
	s_cbranch_execnz .LBB87_132
; %bb.108:                              ;   in Loop: Header=BB87_86 Depth=1
	s_and_not1_saveexec_b32 s10, s10
	s_cbranch_execnz .LBB87_133
.LBB87_109:                             ;   in Loop: Header=BB87_86 Depth=1
	s_or_b32 exec_lo, exec_lo, s10
	s_and_saveexec_b32 s10, s6
	s_delay_alu instid0(SALU_CYCLE_1)
	s_xor_b32 s6, exec_lo, s10
	s_cbranch_execnz .LBB87_134
.LBB87_110:                             ;   in Loop: Header=BB87_86 Depth=1
	s_or_b32 exec_lo, exec_lo, s6
	s_and_saveexec_b32 s6, s0
.LBB87_111:                             ;   in Loop: Header=BB87_86 Depth=1
	v_mov_b32_e32 v2, s4
.LBB87_112:                             ;   in Loop: Header=BB87_86 Depth=1
	s_or_b32 exec_lo, exec_lo, s6
	s_delay_alu instid0(VALU_DEP_1)
	v_mov_b32_e32 v6, v2
	s_and_not1_b32 vcc_lo, exec_lo, s1
	s_cbranch_vccz .LBB87_89
.LBB87_113:                             ;   in Loop: Header=BB87_86 Depth=1
.LBB87_114:                             ;   in Loop: Header=BB87_86 Depth=1
	s_mov_b32 s0, 0
	s_mov_b32 s6, 0
	s_mov_b32 s10, exec_lo
	s_waitcnt vmcnt(0)
	v_cmpx_lt_i32_e32 0, v3
	s_xor_b32 s10, exec_lo, s10
	s_cbranch_execnz .LBB87_135
; %bb.115:                              ;   in Loop: Header=BB87_86 Depth=1
	s_and_not1_saveexec_b32 s10, s10
	s_cbranch_execnz .LBB87_136
.LBB87_116:                             ;   in Loop: Header=BB87_86 Depth=1
	s_or_b32 exec_lo, exec_lo, s10
	s_and_saveexec_b32 s10, s6
	s_delay_alu instid0(SALU_CYCLE_1)
	s_xor_b32 s6, exec_lo, s10
	s_cbranch_execnz .LBB87_137
.LBB87_117:                             ;   in Loop: Header=BB87_86 Depth=1
	s_or_b32 exec_lo, exec_lo, s6
	s_and_saveexec_b32 s6, s0
.LBB87_118:                             ;   in Loop: Header=BB87_86 Depth=1
	v_mov_b32_e32 v3, s4
.LBB87_119:                             ;   in Loop: Header=BB87_86 Depth=1
	s_or_b32 exec_lo, exec_lo, s6
	s_delay_alu instid0(VALU_DEP_1)
	v_mov_b32_e32 v7, v3
	s_and_not1_b32 vcc_lo, exec_lo, s1
	s_cbranch_vccz .LBB87_94
.LBB87_120:                             ;   in Loop: Header=BB87_86 Depth=1
.LBB87_121:                             ;   in Loop: Header=BB87_86 Depth=1
	s_mov_b32 s0, 0
	s_mov_b32 s6, 0
	s_mov_b32 s10, exec_lo
	s_waitcnt vmcnt(0)
	v_cmpx_lt_i32_e32 0, v4
	s_xor_b32 s10, exec_lo, s10
	s_cbranch_execnz .LBB87_138
; %bb.122:                              ;   in Loop: Header=BB87_86 Depth=1
	s_and_not1_saveexec_b32 s10, s10
	s_cbranch_execnz .LBB87_139
.LBB87_123:                             ;   in Loop: Header=BB87_86 Depth=1
	s_or_b32 exec_lo, exec_lo, s10
	s_and_saveexec_b32 s10, s6
	s_delay_alu instid0(SALU_CYCLE_1)
	s_xor_b32 s6, exec_lo, s10
	s_cbranch_execnz .LBB87_140
.LBB87_124:                             ;   in Loop: Header=BB87_86 Depth=1
	s_or_b32 exec_lo, exec_lo, s6
	s_and_saveexec_b32 s6, s0
.LBB87_125:                             ;   in Loop: Header=BB87_86 Depth=1
	v_mov_b32_e32 v4, s4
.LBB87_126:                             ;   in Loop: Header=BB87_86 Depth=1
	s_or_b32 exec_lo, exec_lo, s6
	s_delay_alu instid0(VALU_DEP_1)
	v_mov_b32_e32 v8, v4
	s_and_not1_b32 vcc_lo, exec_lo, s1
	s_cbranch_vccz .LBB87_99
.LBB87_127:                             ;   in Loop: Header=BB87_86 Depth=1
.LBB87_128:                             ;   in Loop: Header=BB87_86 Depth=1
	s_mov_b32 s0, 0
	s_mov_b32 s6, 0
	s_mov_b32 s10, exec_lo
	s_waitcnt vmcnt(0)
	v_cmpx_lt_i32_e32 0, v5
	s_xor_b32 s10, exec_lo, s10
	s_cbranch_execnz .LBB87_141
; %bb.129:                              ;   in Loop: Header=BB87_86 Depth=1
	s_and_not1_saveexec_b32 s10, s10
	s_cbranch_execnz .LBB87_142
.LBB87_130:                             ;   in Loop: Header=BB87_86 Depth=1
	s_or_b32 exec_lo, exec_lo, s10
	s_and_saveexec_b32 s10, s6
	s_delay_alu instid0(SALU_CYCLE_1)
	s_xor_b32 s6, exec_lo, s10
	s_cbranch_execnz .LBB87_143
.LBB87_131:                             ;   in Loop: Header=BB87_86 Depth=1
	s_or_b32 exec_lo, exec_lo, s6
	s_and_saveexec_b32 s6, s0
	s_cbranch_execz .LBB87_84
	s_branch .LBB87_144
.LBB87_132:                             ;   in Loop: Header=BB87_86 Depth=1
	v_cmp_ne_u32_e32 vcc_lo, 1, v2
	s_and_b32 s6, vcc_lo, exec_lo
	s_and_not1_saveexec_b32 s10, s10
	s_cbranch_execz .LBB87_109
.LBB87_133:                             ;   in Loop: Header=BB87_86 Depth=1
	v_cmp_ne_u32_e32 vcc_lo, -1, v2
	s_and_not1_b32 s6, s6, exec_lo
	s_mov_b32 s0, exec_lo
	s_and_b32 s11, vcc_lo, exec_lo
	s_delay_alu instid0(SALU_CYCLE_1) | instskip(SKIP_2) | instid1(SALU_CYCLE_1)
	s_or_b32 s6, s6, s11
	s_or_b32 exec_lo, exec_lo, s10
	s_and_saveexec_b32 s10, s6
	s_xor_b32 s6, exec_lo, s10
	s_cbranch_execz .LBB87_110
.LBB87_134:                             ;   in Loop: Header=BB87_86 Depth=1
	v_mov_b32_e32 v2, 0
	s_and_not1_b32 s0, s0, exec_lo
	s_or_b32 exec_lo, exec_lo, s6
	s_and_saveexec_b32 s6, s0
	s_cbranch_execnz .LBB87_111
	s_branch .LBB87_112
.LBB87_135:                             ;   in Loop: Header=BB87_86 Depth=1
	v_cmp_ne_u32_e32 vcc_lo, 1, v3
	s_and_b32 s6, vcc_lo, exec_lo
	s_and_not1_saveexec_b32 s10, s10
	s_cbranch_execz .LBB87_116
.LBB87_136:                             ;   in Loop: Header=BB87_86 Depth=1
	v_cmp_ne_u32_e32 vcc_lo, -1, v3
	s_and_not1_b32 s6, s6, exec_lo
	s_mov_b32 s0, exec_lo
	s_and_b32 s11, vcc_lo, exec_lo
	s_delay_alu instid0(SALU_CYCLE_1) | instskip(SKIP_2) | instid1(SALU_CYCLE_1)
	s_or_b32 s6, s6, s11
	s_or_b32 exec_lo, exec_lo, s10
	s_and_saveexec_b32 s10, s6
	s_xor_b32 s6, exec_lo, s10
	s_cbranch_execz .LBB87_117
.LBB87_137:                             ;   in Loop: Header=BB87_86 Depth=1
	v_mov_b32_e32 v3, 0
	s_and_not1_b32 s0, s0, exec_lo
	s_or_b32 exec_lo, exec_lo, s6
	s_and_saveexec_b32 s6, s0
	s_cbranch_execnz .LBB87_118
	s_branch .LBB87_119
.LBB87_138:                             ;   in Loop: Header=BB87_86 Depth=1
	v_cmp_ne_u32_e32 vcc_lo, 1, v4
	s_and_b32 s6, vcc_lo, exec_lo
	s_and_not1_saveexec_b32 s10, s10
	s_cbranch_execz .LBB87_123
.LBB87_139:                             ;   in Loop: Header=BB87_86 Depth=1
	v_cmp_ne_u32_e32 vcc_lo, -1, v4
	s_and_not1_b32 s6, s6, exec_lo
	s_mov_b32 s0, exec_lo
	s_and_b32 s11, vcc_lo, exec_lo
	s_delay_alu instid0(SALU_CYCLE_1) | instskip(SKIP_2) | instid1(SALU_CYCLE_1)
	s_or_b32 s6, s6, s11
	s_or_b32 exec_lo, exec_lo, s10
	s_and_saveexec_b32 s10, s6
	s_xor_b32 s6, exec_lo, s10
	s_cbranch_execz .LBB87_124
.LBB87_140:                             ;   in Loop: Header=BB87_86 Depth=1
	v_mov_b32_e32 v4, 0
	s_and_not1_b32 s0, s0, exec_lo
	s_or_b32 exec_lo, exec_lo, s6
	s_and_saveexec_b32 s6, s0
	s_cbranch_execnz .LBB87_125
	s_branch .LBB87_126
.LBB87_141:                             ;   in Loop: Header=BB87_86 Depth=1
	v_cmp_ne_u32_e32 vcc_lo, 1, v5
	s_and_b32 s6, vcc_lo, exec_lo
	s_and_not1_saveexec_b32 s10, s10
	s_cbranch_execz .LBB87_130
.LBB87_142:                             ;   in Loop: Header=BB87_86 Depth=1
	v_cmp_ne_u32_e32 vcc_lo, -1, v5
	s_and_not1_b32 s6, s6, exec_lo
	s_mov_b32 s0, exec_lo
                                        ; implicit-def: $vgpr5
	s_and_b32 s11, vcc_lo, exec_lo
	s_delay_alu instid0(SALU_CYCLE_1) | instskip(SKIP_2) | instid1(SALU_CYCLE_1)
	s_or_b32 s6, s6, s11
	s_or_b32 exec_lo, exec_lo, s10
	s_and_saveexec_b32 s10, s6
	s_xor_b32 s6, exec_lo, s10
	s_cbranch_execz .LBB87_131
.LBB87_143:                             ;   in Loop: Header=BB87_86 Depth=1
	v_mov_b32_e32 v5, 0
	s_and_not1_b32 s0, s0, exec_lo
	s_or_b32 exec_lo, exec_lo, s6
	s_and_saveexec_b32 s6, s0
	s_cbranch_execz .LBB87_84
.LBB87_144:                             ;   in Loop: Header=BB87_86 Depth=1
	v_mov_b32_e32 v5, s4
	s_branch .LBB87_84
.LBB87_145:
	s_nop 0
	s_sendmsg sendmsg(MSG_DEALLOC_VGPRS)
	s_endpgm
	.section	.rodata,"a",@progbits
	.p2align	6, 0x0
	.amdhsa_kernel _ZN2at6native12_GLOBAL__N_125multi_tensor_apply_kernelINS1_28TensorListScalarListMetadataIiLi2EEENS1_25BinaryOpScalarListFunctorIiLi2ELi1ELi1EEEJNS1_13power_functorIiEEEEEvT_T0_DpT1_
		.amdhsa_group_segment_fixed_size 0
		.amdhsa_private_segment_fixed_size 0
		.amdhsa_kernarg_size 3656
		.amdhsa_user_sgpr_count 15
		.amdhsa_user_sgpr_dispatch_ptr 0
		.amdhsa_user_sgpr_queue_ptr 0
		.amdhsa_user_sgpr_kernarg_segment_ptr 1
		.amdhsa_user_sgpr_dispatch_id 0
		.amdhsa_user_sgpr_private_segment_size 0
		.amdhsa_wavefront_size32 1
		.amdhsa_uses_dynamic_stack 0
		.amdhsa_enable_private_segment 0
		.amdhsa_system_sgpr_workgroup_id_x 1
		.amdhsa_system_sgpr_workgroup_id_y 0
		.amdhsa_system_sgpr_workgroup_id_z 0
		.amdhsa_system_sgpr_workgroup_info 0
		.amdhsa_system_vgpr_workitem_id 0
		.amdhsa_next_free_vgpr 17
		.amdhsa_next_free_sgpr 28
		.amdhsa_reserve_vcc 1
		.amdhsa_float_round_mode_32 0
		.amdhsa_float_round_mode_16_64 0
		.amdhsa_float_denorm_mode_32 3
		.amdhsa_float_denorm_mode_16_64 3
		.amdhsa_dx10_clamp 1
		.amdhsa_ieee_mode 1
		.amdhsa_fp16_overflow 0
		.amdhsa_workgroup_processor_mode 1
		.amdhsa_memory_ordered 1
		.amdhsa_forward_progress 0
		.amdhsa_shared_vgpr_count 0
		.amdhsa_exception_fp_ieee_invalid_op 0
		.amdhsa_exception_fp_denorm_src 0
		.amdhsa_exception_fp_ieee_div_zero 0
		.amdhsa_exception_fp_ieee_overflow 0
		.amdhsa_exception_fp_ieee_underflow 0
		.amdhsa_exception_fp_ieee_inexact 0
		.amdhsa_exception_int_div_zero 0
	.end_amdhsa_kernel
	.section	.text._ZN2at6native12_GLOBAL__N_125multi_tensor_apply_kernelINS1_28TensorListScalarListMetadataIiLi2EEENS1_25BinaryOpScalarListFunctorIiLi2ELi1ELi1EEEJNS1_13power_functorIiEEEEEvT_T0_DpT1_,"axG",@progbits,_ZN2at6native12_GLOBAL__N_125multi_tensor_apply_kernelINS1_28TensorListScalarListMetadataIiLi2EEENS1_25BinaryOpScalarListFunctorIiLi2ELi1ELi1EEEJNS1_13power_functorIiEEEEEvT_T0_DpT1_,comdat
.Lfunc_end87:
	.size	_ZN2at6native12_GLOBAL__N_125multi_tensor_apply_kernelINS1_28TensorListScalarListMetadataIiLi2EEENS1_25BinaryOpScalarListFunctorIiLi2ELi1ELi1EEEJNS1_13power_functorIiEEEEEvT_T0_DpT1_, .Lfunc_end87-_ZN2at6native12_GLOBAL__N_125multi_tensor_apply_kernelINS1_28TensorListScalarListMetadataIiLi2EEENS1_25BinaryOpScalarListFunctorIiLi2ELi1ELi1EEEJNS1_13power_functorIiEEEEEvT_T0_DpT1_
                                        ; -- End function
	.section	.AMDGPU.csdata,"",@progbits
; Kernel info:
; codeLenInByte = 3216
; NumSgprs: 30
; NumVgprs: 17
; ScratchSize: 0
; MemoryBound: 1
; FloatMode: 240
; IeeeMode: 1
; LDSByteSize: 0 bytes/workgroup (compile time only)
; SGPRBlocks: 3
; VGPRBlocks: 2
; NumSGPRsForWavesPerEU: 30
; NumVGPRsForWavesPerEU: 17
; Occupancy: 16
; WaveLimiterHint : 0
; COMPUTE_PGM_RSRC2:SCRATCH_EN: 0
; COMPUTE_PGM_RSRC2:USER_SGPR: 15
; COMPUTE_PGM_RSRC2:TRAP_HANDLER: 0
; COMPUTE_PGM_RSRC2:TGID_X_EN: 1
; COMPUTE_PGM_RSRC2:TGID_Y_EN: 0
; COMPUTE_PGM_RSRC2:TGID_Z_EN: 0
; COMPUTE_PGM_RSRC2:TIDIG_COMP_CNT: 0
	.section	.text._ZN2at6native12_GLOBAL__N_125multi_tensor_apply_kernelINS1_28TensorListScalarListMetadataIlLi2EEENS1_25BinaryOpScalarListFunctorIlLi2ELi1ELi1EEEJNS1_13power_functorIlEEEEEvT_T0_DpT1_,"axG",@progbits,_ZN2at6native12_GLOBAL__N_125multi_tensor_apply_kernelINS1_28TensorListScalarListMetadataIlLi2EEENS1_25BinaryOpScalarListFunctorIlLi2ELi1ELi1EEEJNS1_13power_functorIlEEEEEvT_T0_DpT1_,comdat
	.globl	_ZN2at6native12_GLOBAL__N_125multi_tensor_apply_kernelINS1_28TensorListScalarListMetadataIlLi2EEENS1_25BinaryOpScalarListFunctorIlLi2ELi1ELi1EEEJNS1_13power_functorIlEEEEEvT_T0_DpT1_ ; -- Begin function _ZN2at6native12_GLOBAL__N_125multi_tensor_apply_kernelINS1_28TensorListScalarListMetadataIlLi2EEENS1_25BinaryOpScalarListFunctorIlLi2ELi1ELi1EEEJNS1_13power_functorIlEEEEEvT_T0_DpT1_
	.p2align	8
	.type	_ZN2at6native12_GLOBAL__N_125multi_tensor_apply_kernelINS1_28TensorListScalarListMetadataIlLi2EEENS1_25BinaryOpScalarListFunctorIlLi2ELi1ELi1EEEJNS1_13power_functorIlEEEEEvT_T0_DpT1_,@function
_ZN2at6native12_GLOBAL__N_125multi_tensor_apply_kernelINS1_28TensorListScalarListMetadataIlLi2EEENS1_25BinaryOpScalarListFunctorIlLi2ELi1ELi1EEEJNS1_13power_functorIlEEEEEvT_T0_DpT1_: ; @_ZN2at6native12_GLOBAL__N_125multi_tensor_apply_kernelINS1_28TensorListScalarListMetadataIlLi2EEENS1_25BinaryOpScalarListFunctorIlLi2ELi1ELi1EEEJNS1_13power_functorIlEEEEEvT_T0_DpT1_
; %bb.0:
	v_mov_b32_e32 v1, s15
	s_add_u32 s2, s0, s15
	s_mul_hi_u32 s3, s15, 3
	s_mul_i32 s15, s15, 3
	s_addc_u32 s4, s1, 0
	global_load_u8 v1, v1, s[0:1] offset:2048
	s_add_u32 s2, s2, s15
	s_addc_u32 s3, s4, s3
	s_mov_b32 s13, 0
	s_load_b32 s2, s[2:3], 0x940
	s_mov_b32 s17, s13
	s_waitcnt vmcnt(0)
	v_readfirstlane_b32 s3, v1
	s_delay_alu instid0(VALU_DEP_1)
	s_lshl_b32 s3, s3, 3
	s_clause 0x3
	s_load_b64 s[4:5], s[0:1], s3 offset:0x0
	s_load_b64 s[8:9], s[0:1], s3 offset:0x600
	s_load_b64 s[6:7], s[0:1], s3 offset:0x200
	s_load_b64 s[10:11], s[0:1], s3 offset:0x400
	s_waitcnt lgkmcnt(0)
	s_ashr_i32 s3, s2, 31
	s_delay_alu instid0(SALU_CYCLE_1) | instskip(NEXT) | instid1(SALU_CYCLE_1)
	s_lshl_b64 s[14:15], s[2:3], 19
	s_add_u32 s18, s4, s14
	s_addc_u32 s19, s5, s15
	s_and_b32 s12, s18, 31
	s_add_u32 s20, s6, s14
	s_addc_u32 s21, s7, s15
	s_and_b32 s16, s10, 3
	s_and_b32 s4, s20, 31
	s_mov_b32 s5, s13
	s_or_b64 s[6:7], s[12:13], s[16:17]
	s_lshl_b64 s[2:3], s[2:3], 16
	s_or_b64 s[4:5], s[4:5], s[6:7]
	s_sub_u32 s10, s10, s2
	s_subb_u32 s11, s11, s3
	s_cmp_eq_u64 s[4:5], 0
	s_mov_b32 s2, -1
	s_cbranch_scc1 .LBB88_85
; %bb.1:
	v_cmp_lt_i64_e64 s2, s[10:11], 1
	s_delay_alu instid0(VALU_DEP_1)
	s_and_b32 vcc_lo, exec_lo, s2
	s_cbranch_vccnz .LBB88_84
; %bb.2:
	s_load_b32 s2, s[0:1], 0xe54
	v_cmp_gt_u64_e64 s4, 0x10000, s[10:11]
	s_mov_b32 s3, 0
	v_cmp_gt_i64_e64 s24, s[8:9], -1
	s_mov_b64 s[12:13], 0
	s_waitcnt lgkmcnt(0)
	s_and_b32 s22, s2, 0xffff
	s_and_b32 s2, s4, exec_lo
	s_cselect_b32 s15, s11, 0
	s_cselect_b32 s14, s10, 0x10000
	s_lshl_b32 s23, s22, 1
	s_cmp_lg_u64 s[8:9], 0
	s_mul_i32 s26, s22, 3
	s_cselect_b32 s25, -1, 0
	s_and_b32 s2, s8, 1
	v_cndmask_b32_e64 v23, 0, 1, s25
	s_cmp_eq_u64 s[2:3], 0
	s_cselect_b32 s17, 0, -1
	s_cselect_b32 s16, 1, -1
	s_lshl_b32 s27, s22, 2
	s_branch .LBB88_4
.LBB88_3:                               ;   in Loop: Header=BB88_4 Depth=1
	s_or_b32 exec_lo, exec_lo, s2
	s_add_u32 s12, s12, s27
	s_addc_u32 s13, s13, 0
	s_delay_alu instid0(SALU_CYCLE_1) | instskip(SKIP_1) | instid1(VALU_DEP_1)
	v_cmp_ge_i64_e64 s2, s[12:13], s[10:11]
	v_cmp_lt_u64_e64 s3, 0xffff, s[12:13]
	s_or_b32 s2, s2, s3
	s_delay_alu instid0(SALU_CYCLE_1)
	s_and_b32 vcc_lo, exec_lo, s2
	s_cbranch_vccnz .LBB88_84
.LBB88_4:                               ; =>This Loop Header: Depth=1
                                        ;     Child Loop BB88_15 Depth 2
                                        ;     Child Loop BB88_20 Depth 2
	;; [unrolled: 1-line block ×4, first 2 shown]
	v_add_co_u32 v7, s2, s12, v0
	s_delay_alu instid0(VALU_DEP_1) | instskip(SKIP_3) | instid1(VALU_DEP_2)
	v_add_co_ci_u32_e64 v8, null, s13, 0, s2
	s_waitcnt vmcnt(0)
	v_mov_b32_e32 v17, 0
	v_mov_b32_e32 v18, 0
	;; [unrolled: 1-line block ×3, first 2 shown]
	v_cmp_gt_u64_e64 s2, s[14:15], v[7:8]
	v_lshlrev_b64 v[1:2], 3, v[7:8]
	s_delay_alu instid0(VALU_DEP_4) | instskip(NEXT) | instid1(VALU_DEP_3)
	v_mov_b32_e32 v16, v18
	s_and_saveexec_b32 s3, s2
	s_cbranch_execz .LBB88_6
; %bb.5:                                ;   in Loop: Header=BB88_4 Depth=1
	s_delay_alu instid0(VALU_DEP_2) | instskip(NEXT) | instid1(VALU_DEP_3)
	v_add_co_u32 v3, vcc_lo, s18, v1
	v_add_co_ci_u32_e32 v4, vcc_lo, s19, v2, vcc_lo
	global_load_b64 v[15:16], v[3:4], off
.LBB88_6:                               ;   in Loop: Header=BB88_4 Depth=1
	s_or_b32 exec_lo, exec_lo, s3
	v_add_co_u32 v3, vcc_lo, v7, s22
	v_add_co_ci_u32_e32 v4, vcc_lo, 0, v8, vcc_lo
	s_delay_alu instid0(VALU_DEP_1) | instskip(SKIP_1) | instid1(VALU_DEP_2)
	v_cmp_gt_u64_e64 s3, s[14:15], v[3:4]
	v_lshlrev_b64 v[3:4], 3, v[3:4]
	s_and_saveexec_b32 s4, s3
	s_cbranch_execz .LBB88_8
; %bb.7:                                ;   in Loop: Header=BB88_4 Depth=1
	s_delay_alu instid0(VALU_DEP_1) | instskip(NEXT) | instid1(VALU_DEP_2)
	v_add_co_u32 v5, vcc_lo, s18, v3
	v_add_co_ci_u32_e32 v6, vcc_lo, s19, v4, vcc_lo
	global_load_b64 v[17:18], v[5:6], off
.LBB88_8:                               ;   in Loop: Header=BB88_4 Depth=1
	s_or_b32 exec_lo, exec_lo, s4
	v_add_co_u32 v5, vcc_lo, v7, s23
	v_add_co_ci_u32_e32 v6, vcc_lo, 0, v8, vcc_lo
	v_mov_b32_e32 v9, 0
	v_mov_b32_e32 v10, 0
	s_delay_alu instid0(VALU_DEP_3) | instskip(SKIP_1) | instid1(VALU_DEP_3)
	v_cmp_gt_u64_e64 s4, s[14:15], v[5:6]
	v_lshlrev_b64 v[5:6], 3, v[5:6]
	v_dual_mov_b32 v14, v10 :: v_dual_mov_b32 v13, v9
	s_delay_alu instid0(VALU_DEP_3)
	s_and_saveexec_b32 s5, s4
	s_cbranch_execz .LBB88_10
; %bb.9:                                ;   in Loop: Header=BB88_4 Depth=1
	s_delay_alu instid0(VALU_DEP_2) | instskip(NEXT) | instid1(VALU_DEP_3)
	v_add_co_u32 v11, vcc_lo, s18, v5
	v_add_co_ci_u32_e32 v12, vcc_lo, s19, v6, vcc_lo
	global_load_b64 v[13:14], v[11:12], off
.LBB88_10:                              ;   in Loop: Header=BB88_4 Depth=1
	s_or_b32 exec_lo, exec_lo, s5
	v_add_co_u32 v7, vcc_lo, v7, s26
	v_add_co_ci_u32_e32 v8, vcc_lo, 0, v8, vcc_lo
	s_delay_alu instid0(VALU_DEP_1) | instskip(SKIP_1) | instid1(VALU_DEP_2)
	v_cmp_gt_u64_e64 s5, s[14:15], v[7:8]
	v_lshlrev_b64 v[7:8], 3, v[7:8]
	s_and_saveexec_b32 s6, s5
	s_cbranch_execz .LBB88_12
; %bb.11:                               ;   in Loop: Header=BB88_4 Depth=1
	s_delay_alu instid0(VALU_DEP_1) | instskip(NEXT) | instid1(VALU_DEP_2)
	v_add_co_u32 v9, vcc_lo, s18, v7
	v_add_co_ci_u32_e32 v10, vcc_lo, s19, v8, vcc_lo
	global_load_b64 v[9:10], v[9:10], off
.LBB88_12:                              ;   in Loop: Header=BB88_4 Depth=1
	s_or_b32 exec_lo, exec_lo, s6
	v_cmp_ne_u32_e64 s6, 1, v23
	s_and_b32 vcc_lo, exec_lo, s24
	s_cbranch_vccz .LBB88_16
; %bb.13:                               ;   in Loop: Header=BB88_4 Depth=1
	s_delay_alu instid0(VALU_DEP_1)
	s_and_b32 vcc_lo, exec_lo, s6
	s_cbranch_vccnz .LBB88_21
; %bb.14:                               ;   in Loop: Header=BB88_4 Depth=1
	s_waitcnt vmcnt(0)
	v_dual_mov_b32 v19, 1 :: v_dual_mov_b32 v22, v16
	v_dual_mov_b32 v20, 0 :: v_dual_mov_b32 v21, v15
	s_mov_b64 s[6:7], s[8:9]
	.p2align	6
.LBB88_15:                              ;   Parent Loop BB88_4 Depth=1
                                        ; =>  This Inner Loop Header: Depth=2
	s_delay_alu instid0(SALU_CYCLE_1) | instskip(NEXT) | instid1(VALU_DEP_1)
	s_bitcmp1_b32 s6, 0
	v_mul_lo_u32 v26, v21, v22
	s_cselect_b32 vcc_lo, -1, 0
	v_mad_u64_u32 v[24:25], null, v21, v21, 0
	v_dual_cndmask_b32 v27, 1, v21 :: v_dual_cndmask_b32 v22, 0, v22
	v_cmp_gt_u64_e64 s28, s[6:7], 1
	s_lshr_b64 s[6:7], s[6:7], 1
	s_delay_alu instid0(VALU_DEP_2)
	v_mul_lo_u32 v20, v27, v20
	v_mad_u64_u32 v[11:12], null, v27, v19, 0
	v_mul_lo_u32 v19, v22, v19
	v_add3_u32 v25, v25, v26, v26
	v_mov_b32_e32 v21, v24
	s_and_b32 vcc_lo, exec_lo, s28
	s_delay_alu instid0(VALU_DEP_2) | instskip(NEXT) | instid1(VALU_DEP_4)
	v_mov_b32_e32 v22, v25
	v_add3_u32 v12, v12, v20, v19
	s_delay_alu instid0(VALU_DEP_1)
	v_dual_mov_b32 v20, v12 :: v_dual_mov_b32 v19, v11
	s_cbranch_vccnz .LBB88_15
	s_branch .LBB88_22
.LBB88_16:                              ;   in Loop: Header=BB88_4 Depth=1
                                        ; implicit-def: $vgpr11_vgpr12
	s_branch .LBB88_23
.LBB88_17:                              ;   in Loop: Header=BB88_4 Depth=1
	s_and_not1_b32 vcc_lo, exec_lo, s24
	s_cbranch_vccnz .LBB88_29
.LBB88_18:                              ;   in Loop: Header=BB88_4 Depth=1
	s_and_not1_b32 vcc_lo, exec_lo, s25
	s_cbranch_vccnz .LBB88_37
; %bb.19:                               ;   in Loop: Header=BB88_4 Depth=1
	s_waitcnt vmcnt(0)
	v_dual_mov_b32 v19, 1 :: v_dual_mov_b32 v22, v18
	v_dual_mov_b32 v20, 0 :: v_dual_mov_b32 v21, v17
	s_mov_b64 s[6:7], s[8:9]
	.p2align	6
.LBB88_20:                              ;   Parent Loop BB88_4 Depth=1
                                        ; =>  This Inner Loop Header: Depth=2
	s_delay_alu instid0(SALU_CYCLE_1) | instskip(NEXT) | instid1(VALU_DEP_1)
	s_bitcmp1_b32 s6, 0
	v_mul_lo_u32 v26, v21, v22
	s_cselect_b32 vcc_lo, -1, 0
	v_mad_u64_u32 v[24:25], null, v21, v21, 0
	v_dual_cndmask_b32 v27, 1, v21 :: v_dual_cndmask_b32 v22, 0, v22
	v_cmp_lt_u64_e64 s28, s[6:7], 2
	s_lshr_b64 s[6:7], s[6:7], 1
	s_delay_alu instid0(VALU_DEP_2)
	v_mul_lo_u32 v20, v27, v20
	v_mad_u64_u32 v[15:16], null, v27, v19, 0
	v_mul_lo_u32 v19, v22, v19
	v_add3_u32 v25, v25, v26, v26
	v_mov_b32_e32 v21, v24
	s_and_b32 vcc_lo, exec_lo, s28
	s_delay_alu instid0(VALU_DEP_2) | instskip(NEXT) | instid1(VALU_DEP_4)
	v_mov_b32_e32 v22, v25
	v_add3_u32 v16, v16, v20, v19
	s_delay_alu instid0(VALU_DEP_1)
	v_dual_mov_b32 v20, v16 :: v_dual_mov_b32 v19, v15
	s_cbranch_vccz .LBB88_20
	s_branch .LBB88_38
.LBB88_21:                              ;   in Loop: Header=BB88_4 Depth=1
	v_mov_b32_e32 v11, 1
	v_mov_b32_e32 v12, 0
.LBB88_22:                              ;   in Loop: Header=BB88_4 Depth=1
	s_cbranch_execnz .LBB88_17
.LBB88_23:                              ;   in Loop: Header=BB88_4 Depth=1
	s_mov_b32 s6, 0
	s_mov_b32 s7, 0
	s_mov_b32 s28, exec_lo
	s_waitcnt vmcnt(0)
	v_cmpx_lt_i64_e32 0, v[15:16]
	s_xor_b32 s28, exec_lo, s28
	s_cbranch_execnz .LBB88_34
; %bb.24:                               ;   in Loop: Header=BB88_4 Depth=1
	s_and_not1_saveexec_b32 s28, s28
	s_cbranch_execnz .LBB88_35
.LBB88_25:                              ;   in Loop: Header=BB88_4 Depth=1
	s_or_b32 exec_lo, exec_lo, s28
	s_and_saveexec_b32 s28, s7
	s_delay_alu instid0(SALU_CYCLE_1)
	s_xor_b32 s7, exec_lo, s28
	s_cbranch_execnz .LBB88_36
.LBB88_26:                              ;   in Loop: Header=BB88_4 Depth=1
	s_or_b32 exec_lo, exec_lo, s7
	s_and_saveexec_b32 s7, s6
.LBB88_27:                              ;   in Loop: Header=BB88_4 Depth=1
	v_dual_mov_b32 v15, s16 :: v_dual_mov_b32 v16, s17
.LBB88_28:                              ;   in Loop: Header=BB88_4 Depth=1
	s_or_b32 exec_lo, exec_lo, s7
	s_delay_alu instid0(VALU_DEP_1)
	v_dual_mov_b32 v11, v15 :: v_dual_mov_b32 v12, v16
	s_and_not1_b32 vcc_lo, exec_lo, s24
	s_cbranch_vccz .LBB88_18
.LBB88_29:                              ;   in Loop: Header=BB88_4 Depth=1
                                        ; implicit-def: $vgpr15_vgpr16
	s_branch .LBB88_39
.LBB88_30:                              ;   in Loop: Header=BB88_4 Depth=1
	s_and_not1_b32 vcc_lo, exec_lo, s24
	s_cbranch_vccnz .LBB88_45
.LBB88_31:                              ;   in Loop: Header=BB88_4 Depth=1
	s_and_not1_b32 vcc_lo, exec_lo, s25
	s_cbranch_vccnz .LBB88_53
; %bb.32:                               ;   in Loop: Header=BB88_4 Depth=1
	s_waitcnt vmcnt(0)
	v_dual_mov_b32 v19, 1 :: v_dual_mov_b32 v22, v14
	v_dual_mov_b32 v20, 0 :: v_dual_mov_b32 v21, v13
	s_mov_b64 s[6:7], s[8:9]
	.p2align	6
.LBB88_33:                              ;   Parent Loop BB88_4 Depth=1
                                        ; =>  This Inner Loop Header: Depth=2
	s_delay_alu instid0(SALU_CYCLE_1) | instskip(NEXT) | instid1(VALU_DEP_1)
	s_bitcmp1_b32 s6, 0
	v_mul_lo_u32 v26, v21, v22
	s_cselect_b32 vcc_lo, -1, 0
	v_mad_u64_u32 v[24:25], null, v21, v21, 0
	v_dual_cndmask_b32 v27, 1, v21 :: v_dual_cndmask_b32 v22, 0, v22
	v_cmp_lt_u64_e64 s28, s[6:7], 2
	s_lshr_b64 s[6:7], s[6:7], 1
	s_delay_alu instid0(VALU_DEP_2)
	v_mul_lo_u32 v20, v27, v20
	v_mad_u64_u32 v[17:18], null, v27, v19, 0
	v_mul_lo_u32 v19, v22, v19
	v_add3_u32 v25, v25, v26, v26
	v_mov_b32_e32 v21, v24
	s_and_b32 vcc_lo, exec_lo, s28
	s_delay_alu instid0(VALU_DEP_2) | instskip(NEXT) | instid1(VALU_DEP_4)
	v_mov_b32_e32 v22, v25
	v_add3_u32 v18, v18, v20, v19
	s_delay_alu instid0(VALU_DEP_1)
	v_dual_mov_b32 v20, v18 :: v_dual_mov_b32 v19, v17
	s_cbranch_vccz .LBB88_33
	s_branch .LBB88_54
.LBB88_34:                              ;   in Loop: Header=BB88_4 Depth=1
	v_cmp_ne_u64_e32 vcc_lo, 1, v[15:16]
	s_and_b32 s7, vcc_lo, exec_lo
	s_and_not1_saveexec_b32 s28, s28
	s_cbranch_execz .LBB88_25
.LBB88_35:                              ;   in Loop: Header=BB88_4 Depth=1
	v_cmp_ne_u64_e32 vcc_lo, -1, v[15:16]
	s_and_not1_b32 s7, s7, exec_lo
	s_mov_b32 s6, exec_lo
                                        ; implicit-def: $vgpr15_vgpr16
	s_and_b32 s29, vcc_lo, exec_lo
	s_delay_alu instid0(SALU_CYCLE_1) | instskip(SKIP_2) | instid1(SALU_CYCLE_1)
	s_or_b32 s7, s7, s29
	s_or_b32 exec_lo, exec_lo, s28
	s_and_saveexec_b32 s28, s7
	s_xor_b32 s7, exec_lo, s28
	s_cbranch_execz .LBB88_26
.LBB88_36:                              ;   in Loop: Header=BB88_4 Depth=1
	v_mov_b32_e32 v15, 0
	v_mov_b32_e32 v16, 0
	s_and_not1_b32 s6, s6, exec_lo
	s_or_b32 exec_lo, exec_lo, s7
	s_and_saveexec_b32 s7, s6
	s_cbranch_execnz .LBB88_27
	s_branch .LBB88_28
.LBB88_37:                              ;   in Loop: Header=BB88_4 Depth=1
	s_waitcnt vmcnt(0)
	v_mov_b32_e32 v15, 1
	v_mov_b32_e32 v16, 0
.LBB88_38:                              ;   in Loop: Header=BB88_4 Depth=1
	s_cbranch_execnz .LBB88_30
.LBB88_39:                              ;   in Loop: Header=BB88_4 Depth=1
	s_mov_b32 s6, 0
	s_mov_b32 s7, 0
	s_mov_b32 s28, exec_lo
	s_waitcnt vmcnt(0)
	v_cmpx_lt_i64_e32 0, v[17:18]
	s_xor_b32 s28, exec_lo, s28
	s_cbranch_execnz .LBB88_50
; %bb.40:                               ;   in Loop: Header=BB88_4 Depth=1
	s_and_not1_saveexec_b32 s28, s28
	s_cbranch_execnz .LBB88_51
.LBB88_41:                              ;   in Loop: Header=BB88_4 Depth=1
	s_or_b32 exec_lo, exec_lo, s28
	s_and_saveexec_b32 s28, s7
	s_delay_alu instid0(SALU_CYCLE_1)
	s_xor_b32 s7, exec_lo, s28
	s_cbranch_execnz .LBB88_52
.LBB88_42:                              ;   in Loop: Header=BB88_4 Depth=1
	s_or_b32 exec_lo, exec_lo, s7
	s_and_saveexec_b32 s7, s6
.LBB88_43:                              ;   in Loop: Header=BB88_4 Depth=1
	v_dual_mov_b32 v18, s17 :: v_dual_mov_b32 v17, s16
.LBB88_44:                              ;   in Loop: Header=BB88_4 Depth=1
	s_or_b32 exec_lo, exec_lo, s7
	s_delay_alu instid0(VALU_DEP_1)
	v_dual_mov_b32 v15, v17 :: v_dual_mov_b32 v16, v18
	s_and_not1_b32 vcc_lo, exec_lo, s24
	s_cbranch_vccz .LBB88_31
.LBB88_45:                              ;   in Loop: Header=BB88_4 Depth=1
                                        ; implicit-def: $vgpr17_vgpr18
	s_branch .LBB88_55
.LBB88_46:                              ;   in Loop: Header=BB88_4 Depth=1
	s_and_not1_b32 vcc_lo, exec_lo, s24
	s_cbranch_vccnz .LBB88_61
.LBB88_47:                              ;   in Loop: Header=BB88_4 Depth=1
	s_and_not1_b32 vcc_lo, exec_lo, s25
	s_cbranch_vccnz .LBB88_65
; %bb.48:                               ;   in Loop: Header=BB88_4 Depth=1
	s_waitcnt vmcnt(0)
	v_dual_mov_b32 v19, 1 :: v_dual_mov_b32 v22, v10
	v_dual_mov_b32 v20, 0 :: v_dual_mov_b32 v21, v9
	s_mov_b64 s[6:7], s[8:9]
	.p2align	6
.LBB88_49:                              ;   Parent Loop BB88_4 Depth=1
                                        ; =>  This Inner Loop Header: Depth=2
	s_delay_alu instid0(SALU_CYCLE_1) | instskip(NEXT) | instid1(VALU_DEP_1)
	s_bitcmp1_b32 s6, 0
	v_mul_lo_u32 v26, v21, v22
	s_cselect_b32 vcc_lo, -1, 0
	v_mad_u64_u32 v[24:25], null, v21, v21, 0
	v_dual_cndmask_b32 v27, 1, v21 :: v_dual_cndmask_b32 v22, 0, v22
	v_cmp_lt_u64_e64 s28, s[6:7], 2
	s_lshr_b64 s[6:7], s[6:7], 1
	s_delay_alu instid0(VALU_DEP_2)
	v_mul_lo_u32 v20, v27, v20
	v_mad_u64_u32 v[13:14], null, v27, v19, 0
	v_mul_lo_u32 v19, v22, v19
	v_add3_u32 v25, v25, v26, v26
	v_mov_b32_e32 v21, v24
	s_and_b32 vcc_lo, exec_lo, s28
	s_delay_alu instid0(VALU_DEP_2) | instskip(NEXT) | instid1(VALU_DEP_4)
	v_mov_b32_e32 v22, v25
	v_add3_u32 v14, v14, v20, v19
	s_delay_alu instid0(VALU_DEP_1)
	v_dual_mov_b32 v20, v14 :: v_dual_mov_b32 v19, v13
	s_cbranch_vccz .LBB88_49
	s_branch .LBB88_66
.LBB88_50:                              ;   in Loop: Header=BB88_4 Depth=1
	v_cmp_ne_u64_e32 vcc_lo, 1, v[17:18]
	s_and_b32 s7, vcc_lo, exec_lo
	s_and_not1_saveexec_b32 s28, s28
	s_cbranch_execz .LBB88_41
.LBB88_51:                              ;   in Loop: Header=BB88_4 Depth=1
	v_cmp_ne_u64_e32 vcc_lo, -1, v[17:18]
	s_and_not1_b32 s7, s7, exec_lo
	s_mov_b32 s6, exec_lo
                                        ; implicit-def: $vgpr17_vgpr18
	s_and_b32 s29, vcc_lo, exec_lo
	s_delay_alu instid0(SALU_CYCLE_1) | instskip(SKIP_2) | instid1(SALU_CYCLE_1)
	s_or_b32 s7, s7, s29
	s_or_b32 exec_lo, exec_lo, s28
	s_and_saveexec_b32 s28, s7
	s_xor_b32 s7, exec_lo, s28
	s_cbranch_execz .LBB88_42
.LBB88_52:                              ;   in Loop: Header=BB88_4 Depth=1
	v_mov_b32_e32 v17, 0
	v_mov_b32_e32 v18, 0
	s_and_not1_b32 s6, s6, exec_lo
	s_or_b32 exec_lo, exec_lo, s7
	s_and_saveexec_b32 s7, s6
	s_cbranch_execnz .LBB88_43
	s_branch .LBB88_44
.LBB88_53:                              ;   in Loop: Header=BB88_4 Depth=1
	s_waitcnt vmcnt(0)
	v_mov_b32_e32 v17, 1
	v_mov_b32_e32 v18, 0
.LBB88_54:                              ;   in Loop: Header=BB88_4 Depth=1
	s_cbranch_execnz .LBB88_46
.LBB88_55:                              ;   in Loop: Header=BB88_4 Depth=1
	s_mov_b32 s6, 0
	s_mov_b32 s7, 0
	s_mov_b32 s28, exec_lo
	s_waitcnt vmcnt(0)
	v_cmpx_lt_i64_e32 0, v[13:14]
	s_xor_b32 s28, exec_lo, s28
	s_cbranch_execnz .LBB88_62
; %bb.56:                               ;   in Loop: Header=BB88_4 Depth=1
	s_and_not1_saveexec_b32 s28, s28
	s_cbranch_execnz .LBB88_63
.LBB88_57:                              ;   in Loop: Header=BB88_4 Depth=1
	s_or_b32 exec_lo, exec_lo, s28
	s_and_saveexec_b32 s28, s7
	s_delay_alu instid0(SALU_CYCLE_1)
	s_xor_b32 s7, exec_lo, s28
	s_cbranch_execnz .LBB88_64
.LBB88_58:                              ;   in Loop: Header=BB88_4 Depth=1
	s_or_b32 exec_lo, exec_lo, s7
	s_and_saveexec_b32 s7, s6
.LBB88_59:                              ;   in Loop: Header=BB88_4 Depth=1
	v_dual_mov_b32 v13, s16 :: v_dual_mov_b32 v14, s17
.LBB88_60:                              ;   in Loop: Header=BB88_4 Depth=1
	s_or_b32 exec_lo, exec_lo, s7
	s_delay_alu instid0(VALU_DEP_1)
	v_dual_mov_b32 v18, v14 :: v_dual_mov_b32 v17, v13
	s_and_not1_b32 vcc_lo, exec_lo, s24
	s_cbranch_vccz .LBB88_47
.LBB88_61:                              ;   in Loop: Header=BB88_4 Depth=1
                                        ; implicit-def: $vgpr13_vgpr14
	s_branch .LBB88_67
.LBB88_62:                              ;   in Loop: Header=BB88_4 Depth=1
	v_cmp_ne_u64_e32 vcc_lo, 1, v[13:14]
	s_and_b32 s7, vcc_lo, exec_lo
	s_and_not1_saveexec_b32 s28, s28
	s_cbranch_execz .LBB88_57
.LBB88_63:                              ;   in Loop: Header=BB88_4 Depth=1
	v_cmp_ne_u64_e32 vcc_lo, -1, v[13:14]
	s_and_not1_b32 s7, s7, exec_lo
	s_mov_b32 s6, exec_lo
                                        ; implicit-def: $vgpr13_vgpr14
	s_and_b32 s29, vcc_lo, exec_lo
	s_delay_alu instid0(SALU_CYCLE_1) | instskip(SKIP_2) | instid1(SALU_CYCLE_1)
	s_or_b32 s7, s7, s29
	s_or_b32 exec_lo, exec_lo, s28
	s_and_saveexec_b32 s28, s7
	s_xor_b32 s7, exec_lo, s28
	s_cbranch_execz .LBB88_58
.LBB88_64:                              ;   in Loop: Header=BB88_4 Depth=1
	v_mov_b32_e32 v13, 0
	v_mov_b32_e32 v14, 0
	s_and_not1_b32 s6, s6, exec_lo
	s_or_b32 exec_lo, exec_lo, s7
	s_and_saveexec_b32 s7, s6
	s_cbranch_execnz .LBB88_59
	s_branch .LBB88_60
.LBB88_65:                              ;   in Loop: Header=BB88_4 Depth=1
	s_waitcnt vmcnt(0)
	v_mov_b32_e32 v13, 1
	v_mov_b32_e32 v14, 0
.LBB88_66:                              ;   in Loop: Header=BB88_4 Depth=1
	s_cbranch_execnz .LBB88_73
.LBB88_67:                              ;   in Loop: Header=BB88_4 Depth=1
	s_mov_b32 s6, 0
	s_mov_b32 s7, 0
	s_mov_b32 s28, exec_lo
	s_waitcnt vmcnt(0)
	v_cmpx_lt_i64_e32 0, v[9:10]
	s_xor_b32 s28, exec_lo, s28
	s_cbranch_execnz .LBB88_81
; %bb.68:                               ;   in Loop: Header=BB88_4 Depth=1
	s_and_not1_saveexec_b32 s28, s28
	s_cbranch_execnz .LBB88_82
.LBB88_69:                              ;   in Loop: Header=BB88_4 Depth=1
	s_or_b32 exec_lo, exec_lo, s28
	s_and_saveexec_b32 s28, s7
	s_delay_alu instid0(SALU_CYCLE_1)
	s_xor_b32 s7, exec_lo, s28
	s_cbranch_execnz .LBB88_83
.LBB88_70:                              ;   in Loop: Header=BB88_4 Depth=1
	s_or_b32 exec_lo, exec_lo, s7
	s_and_saveexec_b32 s7, s6
.LBB88_71:                              ;   in Loop: Header=BB88_4 Depth=1
	v_dual_mov_b32 v9, s16 :: v_dual_mov_b32 v10, s17
.LBB88_72:                              ;   in Loop: Header=BB88_4 Depth=1
	s_or_b32 exec_lo, exec_lo, s7
	s_delay_alu instid0(VALU_DEP_1)
	v_dual_mov_b32 v14, v10 :: v_dual_mov_b32 v13, v9
.LBB88_73:                              ;   in Loop: Header=BB88_4 Depth=1
	s_and_saveexec_b32 s6, s2
	s_delay_alu instid0(SALU_CYCLE_1)
	s_xor_b32 s2, exec_lo, s6
	s_cbranch_execnz .LBB88_77
; %bb.74:                               ;   in Loop: Header=BB88_4 Depth=1
	s_or_b32 exec_lo, exec_lo, s2
	s_and_saveexec_b32 s2, s3
	s_cbranch_execnz .LBB88_78
.LBB88_75:                              ;   in Loop: Header=BB88_4 Depth=1
	s_or_b32 exec_lo, exec_lo, s2
	s_and_saveexec_b32 s2, s4
	s_cbranch_execnz .LBB88_79
.LBB88_76:                              ;   in Loop: Header=BB88_4 Depth=1
	s_or_b32 exec_lo, exec_lo, s2
	s_and_saveexec_b32 s2, s5
	s_cbranch_execz .LBB88_3
	s_branch .LBB88_80
.LBB88_77:                              ;   in Loop: Header=BB88_4 Depth=1
	v_add_co_u32 v1, vcc_lo, s20, v1
	v_add_co_ci_u32_e32 v2, vcc_lo, s21, v2, vcc_lo
	global_store_b64 v[1:2], v[11:12], off
	s_or_b32 exec_lo, exec_lo, s2
	s_and_saveexec_b32 s2, s3
	s_cbranch_execz .LBB88_75
.LBB88_78:                              ;   in Loop: Header=BB88_4 Depth=1
	v_add_co_u32 v1, vcc_lo, s20, v3
	v_add_co_ci_u32_e32 v2, vcc_lo, s21, v4, vcc_lo
	s_waitcnt vmcnt(0)
	global_store_b64 v[1:2], v[15:16], off
	s_or_b32 exec_lo, exec_lo, s2
	s_and_saveexec_b32 s2, s4
	s_cbranch_execz .LBB88_76
.LBB88_79:                              ;   in Loop: Header=BB88_4 Depth=1
	v_add_co_u32 v1, vcc_lo, s20, v5
	v_add_co_ci_u32_e32 v2, vcc_lo, s21, v6, vcc_lo
	s_waitcnt vmcnt(0)
	global_store_b64 v[1:2], v[17:18], off
	s_or_b32 exec_lo, exec_lo, s2
	s_and_saveexec_b32 s2, s5
	s_cbranch_execz .LBB88_3
.LBB88_80:                              ;   in Loop: Header=BB88_4 Depth=1
	v_add_co_u32 v1, vcc_lo, s20, v7
	v_add_co_ci_u32_e32 v2, vcc_lo, s21, v8, vcc_lo
	s_waitcnt vmcnt(0)
	global_store_b64 v[1:2], v[13:14], off
	s_branch .LBB88_3
.LBB88_81:                              ;   in Loop: Header=BB88_4 Depth=1
	v_cmp_ne_u64_e32 vcc_lo, 1, v[9:10]
	s_and_b32 s7, vcc_lo, exec_lo
	s_and_not1_saveexec_b32 s28, s28
	s_cbranch_execz .LBB88_69
.LBB88_82:                              ;   in Loop: Header=BB88_4 Depth=1
	v_cmp_ne_u64_e32 vcc_lo, -1, v[9:10]
	s_and_not1_b32 s7, s7, exec_lo
	s_mov_b32 s6, exec_lo
                                        ; implicit-def: $vgpr9_vgpr10
	s_and_b32 s29, vcc_lo, exec_lo
	s_delay_alu instid0(SALU_CYCLE_1) | instskip(SKIP_2) | instid1(SALU_CYCLE_1)
	s_or_b32 s7, s7, s29
	s_or_b32 exec_lo, exec_lo, s28
	s_and_saveexec_b32 s28, s7
	s_xor_b32 s7, exec_lo, s28
	s_cbranch_execz .LBB88_70
.LBB88_83:                              ;   in Loop: Header=BB88_4 Depth=1
	v_mov_b32_e32 v9, 0
	v_mov_b32_e32 v10, 0
	s_and_not1_b32 s6, s6, exec_lo
	s_or_b32 exec_lo, exec_lo, s7
	s_and_saveexec_b32 s7, s6
	s_cbranch_execnz .LBB88_71
	s_branch .LBB88_72
.LBB88_84:
	s_mov_b32 s2, 0
.LBB88_85:
	s_delay_alu instid0(SALU_CYCLE_1)
	s_and_not1_b32 vcc_lo, exec_lo, s2
	s_cbranch_vccnz .LBB88_153
; %bb.86:
	v_dual_mov_b32 v2, 0 :: v_dual_lshlrev_b32 v1, 2, v0
	s_mov_b32 s3, 0
	s_mov_b32 s2, exec_lo
	s_delay_alu instid0(VALU_DEP_1)
	v_cmpx_gt_i64_e64 s[10:11], v[1:2]
	s_cbranch_execz .LBB88_153
; %bb.87:
	s_load_b32 s0, s[0:1], 0xe54
	s_cmp_lg_u64 s[8:9], 0
	v_mov_b32_e32 v1, v2
	s_cselect_b32 s6, -1, 0
	s_and_b32 s2, s8, 1
	s_waitcnt vmcnt(0)
	v_cndmask_b32_e64 v18, 0, 1, s6
	s_cmp_eq_u64 s[2:3], 0
	v_cmp_gt_i64_e64 s2, s[8:9], -1
	s_cselect_b32 s5, 0, -1
	s_cselect_b32 s4, 1, -1
	s_waitcnt lgkmcnt(0)
	s_and_b32 s7, s0, 0xffff
	s_branch .LBB88_90
.LBB88_88:                              ;   in Loop: Header=BB88_90 Depth=1
	s_or_b32 exec_lo, exec_lo, s1
	s_delay_alu instid0(VALU_DEP_1)
	v_dual_mov_b32 v13, v5 :: v_dual_mov_b32 v12, v4
.LBB88_89:                              ;   in Loop: Header=BB88_90 Depth=1
	v_add_co_u32 v0, vcc_lo, v0, s7
	v_add_co_ci_u32_e32 v1, vcc_lo, 0, v1, vcc_lo
	s_waitcnt vmcnt(1)
	s_delay_alu instid0(VALU_DEP_1) | instskip(NEXT) | instid1(VALU_DEP_1)
	v_lshlrev_b64 v[2:3], 2, v[0:1]
	v_cmp_le_i64_e32 vcc_lo, s[10:11], v[2:3]
	v_cmp_lt_u64_e64 s0, 0xffff, v[2:3]
	v_add_co_u32 v2, s1, s20, v14
	s_delay_alu instid0(VALU_DEP_1)
	v_add_co_ci_u32_e64 v3, s1, s21, v15, s1
	s_waitcnt vmcnt(0)
	s_clause 0x1
	global_store_b128 v[2:3], v[6:9], off
	global_store_b128 v[2:3], v[10:13], off offset:16
	s_or_b32 s0, vcc_lo, s0
	s_delay_alu instid0(SALU_CYCLE_1) | instskip(NEXT) | instid1(SALU_CYCLE_1)
	s_and_b32 s0, exec_lo, s0
	s_or_b32 s3, s0, s3
	s_delay_alu instid0(SALU_CYCLE_1)
	s_and_not1_b32 exec_lo, exec_lo, s3
	s_cbranch_execz .LBB88_153
.LBB88_90:                              ; =>This Loop Header: Depth=1
                                        ;     Child Loop BB88_98 Depth 2
                                        ;     Child Loop BB88_95 Depth 2
	;; [unrolled: 1-line block ×4, first 2 shown]
	v_lshlrev_b64 v[14:15], 5, v[0:1]
	v_cmp_ne_u32_e64 s0, 1, v18
	s_mov_b32 s1, -1
	s_delay_alu instid0(VALU_DEP_2) | instskip(NEXT) | instid1(VALU_DEP_3)
	v_add_co_u32 v6, vcc_lo, s18, v14
	v_add_co_ci_u32_e32 v7, vcc_lo, s19, v15, vcc_lo
	s_and_b32 vcc_lo, exec_lo, s2
	s_clause 0x1
	global_load_b128 v[2:5], v[6:7], off offset:16
	global_load_b128 v[8:11], v[6:7], off
                                        ; implicit-def: $vgpr6_vgpr7
	s_cbranch_vccnz .LBB88_96
; %bb.91:                               ;   in Loop: Header=BB88_90 Depth=1
	s_and_not1_b32 vcc_lo, exec_lo, s1
	s_cbranch_vccz .LBB88_107
.LBB88_92:                              ;   in Loop: Header=BB88_90 Depth=1
	s_and_not1_b32 vcc_lo, exec_lo, s2
	s_cbranch_vccnz .LBB88_113
.LBB88_93:                              ;   in Loop: Header=BB88_90 Depth=1
	s_and_not1_b32 vcc_lo, exec_lo, s6
	s_cbranch_vccnz .LBB88_100
; %bb.94:                               ;   in Loop: Header=BB88_90 Depth=1
	s_waitcnt vmcnt(0)
	v_dual_mov_b32 v12, 1 :: v_dual_mov_b32 v17, v11
	v_dual_mov_b32 v13, 0 :: v_dual_mov_b32 v16, v10
	s_mov_b64 s[0:1], s[8:9]
	.p2align	6
.LBB88_95:                              ;   Parent Loop BB88_90 Depth=1
                                        ; =>  This Inner Loop Header: Depth=2
	s_delay_alu instid0(SALU_CYCLE_1) | instskip(NEXT) | instid1(VALU_DEP_1)
	s_bitcmp1_b32 s0, 0
	v_mul_lo_u32 v21, v16, v17
	s_cselect_b32 vcc_lo, -1, 0
	v_mad_u64_u32 v[19:20], null, v16, v16, 0
	v_dual_cndmask_b32 v22, 1, v16 :: v_dual_cndmask_b32 v17, 0, v17
	v_cmp_lt_u64_e64 s12, s[0:1], 2
	s_lshr_b64 s[0:1], s[0:1], 1
	s_delay_alu instid0(VALU_DEP_2)
	v_mul_lo_u32 v13, v22, v13
	v_mad_u64_u32 v[8:9], null, v22, v12, 0
	v_mul_lo_u32 v12, v17, v12
	v_add3_u32 v20, v20, v21, v21
	v_mov_b32_e32 v16, v19
	s_and_b32 vcc_lo, exec_lo, s12
	s_delay_alu instid0(VALU_DEP_2) | instskip(NEXT) | instid1(VALU_DEP_4)
	v_mov_b32_e32 v17, v20
	v_add3_u32 v9, v9, v13, v12
	s_delay_alu instid0(VALU_DEP_1)
	v_dual_mov_b32 v13, v9 :: v_dual_mov_b32 v12, v8
	s_cbranch_vccz .LBB88_95
	s_branch .LBB88_101
.LBB88_96:                              ;   in Loop: Header=BB88_90 Depth=1
	s_and_b32 vcc_lo, exec_lo, s0
	s_cbranch_vccnz .LBB88_106
; %bb.97:                               ;   in Loop: Header=BB88_90 Depth=1
	s_waitcnt vmcnt(0)
	v_dual_mov_b32 v12, 1 :: v_dual_mov_b32 v17, v9
	v_dual_mov_b32 v13, 0 :: v_dual_mov_b32 v16, v8
	s_mov_b64 s[0:1], s[8:9]
	.p2align	6
.LBB88_98:                              ;   Parent Loop BB88_90 Depth=1
                                        ; =>  This Inner Loop Header: Depth=2
	s_delay_alu instid0(SALU_CYCLE_1) | instskip(NEXT) | instid1(VALU_DEP_1)
	s_bitcmp1_b32 s0, 0
	v_mul_lo_u32 v21, v16, v17
	s_cselect_b32 vcc_lo, -1, 0
	v_mad_u64_u32 v[19:20], null, v16, v16, 0
	v_dual_cndmask_b32 v22, 1, v16 :: v_dual_cndmask_b32 v17, 0, v17
	v_cmp_gt_u64_e64 s12, s[0:1], 1
	s_lshr_b64 s[0:1], s[0:1], 1
	s_delay_alu instid0(VALU_DEP_2)
	v_mul_lo_u32 v13, v22, v13
	v_mad_u64_u32 v[6:7], null, v22, v12, 0
	v_mul_lo_u32 v12, v17, v12
	v_add3_u32 v20, v20, v21, v21
	v_mov_b32_e32 v16, v19
	s_and_b32 vcc_lo, exec_lo, s12
	s_delay_alu instid0(VALU_DEP_2) | instskip(NEXT) | instid1(VALU_DEP_4)
	v_mov_b32_e32 v17, v20
	v_add3_u32 v7, v7, v13, v12
	s_delay_alu instid0(VALU_DEP_1)
	v_dual_mov_b32 v13, v7 :: v_dual_mov_b32 v12, v6
	s_cbranch_vccnz .LBB88_98
; %bb.99:                               ;   in Loop: Header=BB88_90 Depth=1
	s_cbranch_execnz .LBB88_92
	s_branch .LBB88_107
.LBB88_100:                             ;   in Loop: Header=BB88_90 Depth=1
	s_waitcnt vmcnt(0)
	v_mov_b32_e32 v8, 1
	v_mov_b32_e32 v9, 0
.LBB88_101:                             ;   in Loop: Header=BB88_90 Depth=1
	s_cbranch_execz .LBB88_114
; %bb.102:                              ;   in Loop: Header=BB88_90 Depth=1
	s_and_not1_b32 vcc_lo, exec_lo, s2
	s_cbranch_vccnz .LBB88_120
.LBB88_103:                             ;   in Loop: Header=BB88_90 Depth=1
	s_and_not1_b32 vcc_lo, exec_lo, s6
	s_cbranch_vccnz .LBB88_131
; %bb.104:                              ;   in Loop: Header=BB88_90 Depth=1
	s_waitcnt vmcnt(1)
	v_dual_mov_b32 v12, 1 :: v_dual_mov_b32 v17, v3
	v_dual_mov_b32 v13, 0 :: v_dual_mov_b32 v16, v2
	s_mov_b64 s[0:1], s[8:9]
	.p2align	6
.LBB88_105:                             ;   Parent Loop BB88_90 Depth=1
                                        ; =>  This Inner Loop Header: Depth=2
	s_delay_alu instid0(SALU_CYCLE_1) | instskip(NEXT) | instid1(VALU_DEP_1)
	s_bitcmp1_b32 s0, 0
	v_mul_lo_u32 v21, v16, v17
	s_cselect_b32 vcc_lo, -1, 0
	v_mad_u64_u32 v[19:20], null, v16, v16, 0
	v_dual_cndmask_b32 v22, 1, v16 :: v_dual_cndmask_b32 v17, 0, v17
	v_cmp_lt_u64_e64 s12, s[0:1], 2
	s_lshr_b64 s[0:1], s[0:1], 1
	s_delay_alu instid0(VALU_DEP_2)
	v_mul_lo_u32 v13, v22, v13
	s_waitcnt vmcnt(0)
	v_mad_u64_u32 v[10:11], null, v22, v12, 0
	v_mul_lo_u32 v12, v17, v12
	v_add3_u32 v20, v20, v21, v21
	v_mov_b32_e32 v16, v19
	s_and_b32 vcc_lo, exec_lo, s12
	s_delay_alu instid0(VALU_DEP_2) | instskip(NEXT) | instid1(VALU_DEP_4)
	v_mov_b32_e32 v17, v20
	v_add3_u32 v11, v11, v13, v12
	s_delay_alu instid0(VALU_DEP_1)
	v_dual_mov_b32 v13, v11 :: v_dual_mov_b32 v12, v10
	s_cbranch_vccz .LBB88_105
	s_branch .LBB88_132
.LBB88_106:                             ;   in Loop: Header=BB88_90 Depth=1
	v_mov_b32_e32 v6, 1
	v_mov_b32_e32 v7, 0
	s_cbranch_execnz .LBB88_92
.LBB88_107:                             ;   in Loop: Header=BB88_90 Depth=1
	s_mov_b32 s0, 0
	s_mov_b32 s1, 0
	s_mov_b32 s12, exec_lo
	s_waitcnt vmcnt(0)
	v_cmpx_lt_i64_e32 0, v[8:9]
	s_xor_b32 s12, exec_lo, s12
	s_cbranch_execnz .LBB88_125
; %bb.108:                              ;   in Loop: Header=BB88_90 Depth=1
	s_and_not1_saveexec_b32 s12, s12
	s_cbranch_execnz .LBB88_126
.LBB88_109:                             ;   in Loop: Header=BB88_90 Depth=1
	s_or_b32 exec_lo, exec_lo, s12
	s_and_saveexec_b32 s12, s1
	s_delay_alu instid0(SALU_CYCLE_1)
	s_xor_b32 s1, exec_lo, s12
	s_cbranch_execnz .LBB88_127
.LBB88_110:                             ;   in Loop: Header=BB88_90 Depth=1
	s_or_b32 exec_lo, exec_lo, s1
	s_and_saveexec_b32 s1, s0
.LBB88_111:                             ;   in Loop: Header=BB88_90 Depth=1
	v_dual_mov_b32 v9, s5 :: v_dual_mov_b32 v8, s4
.LBB88_112:                             ;   in Loop: Header=BB88_90 Depth=1
	s_or_b32 exec_lo, exec_lo, s1
	s_delay_alu instid0(VALU_DEP_1)
	v_dual_mov_b32 v6, v8 :: v_dual_mov_b32 v7, v9
	s_and_not1_b32 vcc_lo, exec_lo, s2
	s_cbranch_vccz .LBB88_93
.LBB88_113:                             ;   in Loop: Header=BB88_90 Depth=1
.LBB88_114:                             ;   in Loop: Header=BB88_90 Depth=1
	s_mov_b32 s0, 0
	s_mov_b32 s1, 0
	s_mov_b32 s12, exec_lo
	s_waitcnt vmcnt(0)
	v_cmpx_lt_i64_e32 0, v[10:11]
	s_xor_b32 s12, exec_lo, s12
	s_cbranch_execnz .LBB88_128
; %bb.115:                              ;   in Loop: Header=BB88_90 Depth=1
	s_and_not1_saveexec_b32 s12, s12
	s_cbranch_execnz .LBB88_129
.LBB88_116:                             ;   in Loop: Header=BB88_90 Depth=1
	s_or_b32 exec_lo, exec_lo, s12
	s_and_saveexec_b32 s12, s1
	s_delay_alu instid0(SALU_CYCLE_1)
	s_xor_b32 s1, exec_lo, s12
	s_cbranch_execnz .LBB88_130
.LBB88_117:                             ;   in Loop: Header=BB88_90 Depth=1
	s_or_b32 exec_lo, exec_lo, s1
	s_and_saveexec_b32 s1, s0
.LBB88_118:                             ;   in Loop: Header=BB88_90 Depth=1
	v_dual_mov_b32 v11, s5 :: v_dual_mov_b32 v10, s4
.LBB88_119:                             ;   in Loop: Header=BB88_90 Depth=1
	s_or_b32 exec_lo, exec_lo, s1
	s_delay_alu instid0(VALU_DEP_1)
	v_dual_mov_b32 v8, v10 :: v_dual_mov_b32 v9, v11
	s_and_not1_b32 vcc_lo, exec_lo, s2
	s_cbranch_vccz .LBB88_103
.LBB88_120:                             ;   in Loop: Header=BB88_90 Depth=1
                                        ; implicit-def: $vgpr10_vgpr11
	s_branch .LBB88_133
.LBB88_121:                             ;   in Loop: Header=BB88_90 Depth=1
	s_and_not1_b32 vcc_lo, exec_lo, s2
	s_cbranch_vccnz .LBB88_139
.LBB88_122:                             ;   in Loop: Header=BB88_90 Depth=1
	s_and_not1_b32 vcc_lo, exec_lo, s6
	s_cbranch_vccnz .LBB88_143
; %bb.123:                              ;   in Loop: Header=BB88_90 Depth=1
	s_waitcnt vmcnt(1)
	v_dual_mov_b32 v2, 1 :: v_dual_mov_b32 v17, v5
	v_dual_mov_b32 v3, 0 :: v_dual_mov_b32 v16, v4
	s_mov_b64 s[0:1], s[8:9]
	.p2align	6
.LBB88_124:                             ;   Parent Loop BB88_90 Depth=1
                                        ; =>  This Inner Loop Header: Depth=2
	s_delay_alu instid0(SALU_CYCLE_1) | instskip(NEXT) | instid1(VALU_DEP_1)
	s_bitcmp1_b32 s0, 0
	v_mul_lo_u32 v21, v16, v17
	s_cselect_b32 vcc_lo, -1, 0
	v_mad_u64_u32 v[19:20], null, v16, v16, 0
	v_dual_cndmask_b32 v22, 1, v16 :: v_dual_cndmask_b32 v17, 0, v17
	v_cmp_lt_u64_e64 s12, s[0:1], 2
	s_lshr_b64 s[0:1], s[0:1], 1
	s_delay_alu instid0(VALU_DEP_2)
	v_mul_lo_u32 v3, v22, v3
	v_mad_u64_u32 v[12:13], null, v22, v2, 0
	v_mul_lo_u32 v2, v17, v2
	v_add3_u32 v20, v20, v21, v21
	v_mov_b32_e32 v16, v19
	s_and_b32 vcc_lo, exec_lo, s12
	s_delay_alu instid0(VALU_DEP_2) | instskip(NEXT) | instid1(VALU_DEP_4)
	v_mov_b32_e32 v17, v20
	v_add3_u32 v13, v13, v3, v2
	s_delay_alu instid0(VALU_DEP_1)
	v_dual_mov_b32 v2, v12 :: v_dual_mov_b32 v3, v13
	s_cbranch_vccz .LBB88_124
	s_branch .LBB88_144
.LBB88_125:                             ;   in Loop: Header=BB88_90 Depth=1
	v_cmp_ne_u64_e32 vcc_lo, 1, v[8:9]
	s_and_b32 s1, vcc_lo, exec_lo
	s_and_not1_saveexec_b32 s12, s12
	s_cbranch_execz .LBB88_109
.LBB88_126:                             ;   in Loop: Header=BB88_90 Depth=1
	v_cmp_ne_u64_e32 vcc_lo, -1, v[8:9]
	s_and_not1_b32 s1, s1, exec_lo
	s_mov_b32 s0, exec_lo
	s_and_b32 s13, vcc_lo, exec_lo
	s_delay_alu instid0(SALU_CYCLE_1) | instskip(SKIP_2) | instid1(SALU_CYCLE_1)
	s_or_b32 s1, s1, s13
	s_or_b32 exec_lo, exec_lo, s12
	s_and_saveexec_b32 s12, s1
	s_xor_b32 s1, exec_lo, s12
	s_cbranch_execz .LBB88_110
.LBB88_127:                             ;   in Loop: Header=BB88_90 Depth=1
	v_mov_b32_e32 v8, 0
	v_mov_b32_e32 v9, 0
	s_and_not1_b32 s0, s0, exec_lo
	s_or_b32 exec_lo, exec_lo, s1
	s_and_saveexec_b32 s1, s0
	s_cbranch_execnz .LBB88_111
	s_branch .LBB88_112
.LBB88_128:                             ;   in Loop: Header=BB88_90 Depth=1
	v_cmp_ne_u64_e32 vcc_lo, 1, v[10:11]
	s_and_b32 s1, vcc_lo, exec_lo
	s_and_not1_saveexec_b32 s12, s12
	s_cbranch_execz .LBB88_116
.LBB88_129:                             ;   in Loop: Header=BB88_90 Depth=1
	v_cmp_ne_u64_e32 vcc_lo, -1, v[10:11]
	s_and_not1_b32 s1, s1, exec_lo
	s_mov_b32 s0, exec_lo
                                        ; implicit-def: $vgpr10_vgpr11
	s_and_b32 s13, vcc_lo, exec_lo
	s_delay_alu instid0(SALU_CYCLE_1) | instskip(SKIP_2) | instid1(SALU_CYCLE_1)
	s_or_b32 s1, s1, s13
	s_or_b32 exec_lo, exec_lo, s12
	s_and_saveexec_b32 s12, s1
	s_xor_b32 s1, exec_lo, s12
	s_cbranch_execz .LBB88_117
.LBB88_130:                             ;   in Loop: Header=BB88_90 Depth=1
	v_mov_b32_e32 v10, 0
	v_mov_b32_e32 v11, 0
	s_and_not1_b32 s0, s0, exec_lo
	s_or_b32 exec_lo, exec_lo, s1
	s_and_saveexec_b32 s1, s0
	s_cbranch_execnz .LBB88_118
	s_branch .LBB88_119
.LBB88_131:                             ;   in Loop: Header=BB88_90 Depth=1
	s_waitcnt vmcnt(0)
	v_mov_b32_e32 v10, 1
	v_mov_b32_e32 v11, 0
.LBB88_132:                             ;   in Loop: Header=BB88_90 Depth=1
	s_cbranch_execnz .LBB88_121
.LBB88_133:                             ;   in Loop: Header=BB88_90 Depth=1
	s_mov_b32 s0, 0
	s_mov_b32 s1, 0
	s_mov_b32 s12, exec_lo
	s_waitcnt vmcnt(1)
	v_cmpx_lt_i64_e32 0, v[2:3]
	s_xor_b32 s12, exec_lo, s12
	s_cbranch_execnz .LBB88_140
; %bb.134:                              ;   in Loop: Header=BB88_90 Depth=1
	s_and_not1_saveexec_b32 s12, s12
	s_cbranch_execnz .LBB88_141
.LBB88_135:                             ;   in Loop: Header=BB88_90 Depth=1
	s_or_b32 exec_lo, exec_lo, s12
	s_and_saveexec_b32 s12, s1
	s_delay_alu instid0(SALU_CYCLE_1)
	s_xor_b32 s1, exec_lo, s12
	s_cbranch_execnz .LBB88_142
.LBB88_136:                             ;   in Loop: Header=BB88_90 Depth=1
	s_or_b32 exec_lo, exec_lo, s1
	s_and_saveexec_b32 s1, s0
.LBB88_137:                             ;   in Loop: Header=BB88_90 Depth=1
	v_dual_mov_b32 v2, s4 :: v_dual_mov_b32 v3, s5
.LBB88_138:                             ;   in Loop: Header=BB88_90 Depth=1
	s_or_b32 exec_lo, exec_lo, s1
	s_waitcnt vmcnt(0)
	s_delay_alu instid0(VALU_DEP_1)
	v_dual_mov_b32 v11, v3 :: v_dual_mov_b32 v10, v2
	s_and_not1_b32 vcc_lo, exec_lo, s2
	s_cbranch_vccz .LBB88_122
.LBB88_139:                             ;   in Loop: Header=BB88_90 Depth=1
	s_branch .LBB88_145
.LBB88_140:                             ;   in Loop: Header=BB88_90 Depth=1
	v_cmp_ne_u64_e32 vcc_lo, 1, v[2:3]
	s_and_b32 s1, vcc_lo, exec_lo
	s_and_not1_saveexec_b32 s12, s12
	s_cbranch_execz .LBB88_135
.LBB88_141:                             ;   in Loop: Header=BB88_90 Depth=1
	v_cmp_ne_u64_e32 vcc_lo, -1, v[2:3]
	s_and_not1_b32 s1, s1, exec_lo
	s_mov_b32 s0, exec_lo
	s_and_b32 s13, vcc_lo, exec_lo
	s_delay_alu instid0(SALU_CYCLE_1) | instskip(SKIP_2) | instid1(SALU_CYCLE_1)
	s_or_b32 s1, s1, s13
	s_or_b32 exec_lo, exec_lo, s12
	s_and_saveexec_b32 s12, s1
	s_xor_b32 s1, exec_lo, s12
	s_cbranch_execz .LBB88_136
.LBB88_142:                             ;   in Loop: Header=BB88_90 Depth=1
	v_mov_b32_e32 v2, 0
	v_mov_b32_e32 v3, 0
	s_and_not1_b32 s0, s0, exec_lo
	s_or_b32 exec_lo, exec_lo, s1
	s_and_saveexec_b32 s1, s0
	s_cbranch_execnz .LBB88_137
	s_branch .LBB88_138
.LBB88_143:                             ;   in Loop: Header=BB88_90 Depth=1
	v_mov_b32_e32 v12, 1
	v_mov_b32_e32 v13, 0
.LBB88_144:                             ;   in Loop: Header=BB88_90 Depth=1
	s_cbranch_execnz .LBB88_89
.LBB88_145:                             ;   in Loop: Header=BB88_90 Depth=1
	s_mov_b32 s0, 0
	s_mov_b32 s1, 0
	s_mov_b32 s12, exec_lo
	s_waitcnt vmcnt(1)
	v_cmpx_lt_i64_e32 0, v[4:5]
	s_xor_b32 s12, exec_lo, s12
	s_cbranch_execnz .LBB88_149
; %bb.146:                              ;   in Loop: Header=BB88_90 Depth=1
	s_and_not1_saveexec_b32 s12, s12
	s_cbranch_execnz .LBB88_150
.LBB88_147:                             ;   in Loop: Header=BB88_90 Depth=1
	s_or_b32 exec_lo, exec_lo, s12
	s_and_saveexec_b32 s12, s1
	s_delay_alu instid0(SALU_CYCLE_1)
	s_xor_b32 s1, exec_lo, s12
	s_cbranch_execnz .LBB88_151
.LBB88_148:                             ;   in Loop: Header=BB88_90 Depth=1
	s_or_b32 exec_lo, exec_lo, s1
	s_and_saveexec_b32 s1, s0
	s_cbranch_execz .LBB88_88
	s_branch .LBB88_152
.LBB88_149:                             ;   in Loop: Header=BB88_90 Depth=1
	v_cmp_ne_u64_e32 vcc_lo, 1, v[4:5]
	s_and_b32 s1, vcc_lo, exec_lo
	s_and_not1_saveexec_b32 s12, s12
	s_cbranch_execz .LBB88_147
.LBB88_150:                             ;   in Loop: Header=BB88_90 Depth=1
	v_cmp_ne_u64_e32 vcc_lo, -1, v[4:5]
	s_and_not1_b32 s1, s1, exec_lo
	s_mov_b32 s0, exec_lo
                                        ; implicit-def: $vgpr4_vgpr5
	s_and_b32 s13, vcc_lo, exec_lo
	s_delay_alu instid0(SALU_CYCLE_1) | instskip(SKIP_2) | instid1(SALU_CYCLE_1)
	s_or_b32 s1, s1, s13
	s_or_b32 exec_lo, exec_lo, s12
	s_and_saveexec_b32 s12, s1
	s_xor_b32 s1, exec_lo, s12
	s_cbranch_execz .LBB88_148
.LBB88_151:                             ;   in Loop: Header=BB88_90 Depth=1
	v_mov_b32_e32 v4, 0
	v_mov_b32_e32 v5, 0
	s_and_not1_b32 s0, s0, exec_lo
	s_or_b32 exec_lo, exec_lo, s1
	s_and_saveexec_b32 s1, s0
	s_cbranch_execz .LBB88_88
.LBB88_152:                             ;   in Loop: Header=BB88_90 Depth=1
	v_dual_mov_b32 v4, s4 :: v_dual_mov_b32 v5, s5
	s_branch .LBB88_88
.LBB88_153:
	s_nop 0
	s_sendmsg sendmsg(MSG_DEALLOC_VGPRS)
	s_endpgm
	.section	.rodata,"a",@progbits
	.p2align	6, 0x0
	.amdhsa_kernel _ZN2at6native12_GLOBAL__N_125multi_tensor_apply_kernelINS1_28TensorListScalarListMetadataIlLi2EEENS1_25BinaryOpScalarListFunctorIlLi2ELi1ELi1EEEJNS1_13power_functorIlEEEEEvT_T0_DpT1_
		.amdhsa_group_segment_fixed_size 0
		.amdhsa_private_segment_fixed_size 0
		.amdhsa_kernarg_size 3912
		.amdhsa_user_sgpr_count 15
		.amdhsa_user_sgpr_dispatch_ptr 0
		.amdhsa_user_sgpr_queue_ptr 0
		.amdhsa_user_sgpr_kernarg_segment_ptr 1
		.amdhsa_user_sgpr_dispatch_id 0
		.amdhsa_user_sgpr_private_segment_size 0
		.amdhsa_wavefront_size32 1
		.amdhsa_uses_dynamic_stack 0
		.amdhsa_enable_private_segment 0
		.amdhsa_system_sgpr_workgroup_id_x 1
		.amdhsa_system_sgpr_workgroup_id_y 0
		.amdhsa_system_sgpr_workgroup_id_z 0
		.amdhsa_system_sgpr_workgroup_info 0
		.amdhsa_system_vgpr_workitem_id 0
		.amdhsa_next_free_vgpr 28
		.amdhsa_next_free_sgpr 30
		.amdhsa_reserve_vcc 1
		.amdhsa_float_round_mode_32 0
		.amdhsa_float_round_mode_16_64 0
		.amdhsa_float_denorm_mode_32 3
		.amdhsa_float_denorm_mode_16_64 3
		.amdhsa_dx10_clamp 1
		.amdhsa_ieee_mode 1
		.amdhsa_fp16_overflow 0
		.amdhsa_workgroup_processor_mode 1
		.amdhsa_memory_ordered 1
		.amdhsa_forward_progress 0
		.amdhsa_shared_vgpr_count 0
		.amdhsa_exception_fp_ieee_invalid_op 0
		.amdhsa_exception_fp_denorm_src 0
		.amdhsa_exception_fp_ieee_div_zero 0
		.amdhsa_exception_fp_ieee_overflow 0
		.amdhsa_exception_fp_ieee_underflow 0
		.amdhsa_exception_fp_ieee_inexact 0
		.amdhsa_exception_int_div_zero 0
	.end_amdhsa_kernel
	.section	.text._ZN2at6native12_GLOBAL__N_125multi_tensor_apply_kernelINS1_28TensorListScalarListMetadataIlLi2EEENS1_25BinaryOpScalarListFunctorIlLi2ELi1ELi1EEEJNS1_13power_functorIlEEEEEvT_T0_DpT1_,"axG",@progbits,_ZN2at6native12_GLOBAL__N_125multi_tensor_apply_kernelINS1_28TensorListScalarListMetadataIlLi2EEENS1_25BinaryOpScalarListFunctorIlLi2ELi1ELi1EEEJNS1_13power_functorIlEEEEEvT_T0_DpT1_,comdat
.Lfunc_end88:
	.size	_ZN2at6native12_GLOBAL__N_125multi_tensor_apply_kernelINS1_28TensorListScalarListMetadataIlLi2EEENS1_25BinaryOpScalarListFunctorIlLi2ELi1ELi1EEEJNS1_13power_functorIlEEEEEvT_T0_DpT1_, .Lfunc_end88-_ZN2at6native12_GLOBAL__N_125multi_tensor_apply_kernelINS1_28TensorListScalarListMetadataIlLi2EEENS1_25BinaryOpScalarListFunctorIlLi2ELi1ELi1EEEJNS1_13power_functorIlEEEEEvT_T0_DpT1_
                                        ; -- End function
	.section	.AMDGPU.csdata,"",@progbits
; Kernel info:
; codeLenInByte = 4128
; NumSgprs: 32
; NumVgprs: 28
; ScratchSize: 0
; MemoryBound: 1
; FloatMode: 240
; IeeeMode: 1
; LDSByteSize: 0 bytes/workgroup (compile time only)
; SGPRBlocks: 3
; VGPRBlocks: 3
; NumSGPRsForWavesPerEU: 32
; NumVGPRsForWavesPerEU: 28
; Occupancy: 16
; WaveLimiterHint : 1
; COMPUTE_PGM_RSRC2:SCRATCH_EN: 0
; COMPUTE_PGM_RSRC2:USER_SGPR: 15
; COMPUTE_PGM_RSRC2:TRAP_HANDLER: 0
; COMPUTE_PGM_RSRC2:TGID_X_EN: 1
; COMPUTE_PGM_RSRC2:TGID_Y_EN: 0
; COMPUTE_PGM_RSRC2:TGID_Z_EN: 0
; COMPUTE_PGM_RSRC2:TIDIG_COMP_CNT: 0
	.section	.text._ZN2at6native12_GLOBAL__N_125multi_tensor_apply_kernelINS1_28TensorListScalarListMetadataIsLi2EEENS1_25BinaryOpScalarListFunctorIsLi2ELi1ELi1EEEJNS1_13power_functorIsEEEEEvT_T0_DpT1_,"axG",@progbits,_ZN2at6native12_GLOBAL__N_125multi_tensor_apply_kernelINS1_28TensorListScalarListMetadataIsLi2EEENS1_25BinaryOpScalarListFunctorIsLi2ELi1ELi1EEEJNS1_13power_functorIsEEEEEvT_T0_DpT1_,comdat
	.globl	_ZN2at6native12_GLOBAL__N_125multi_tensor_apply_kernelINS1_28TensorListScalarListMetadataIsLi2EEENS1_25BinaryOpScalarListFunctorIsLi2ELi1ELi1EEEJNS1_13power_functorIsEEEEEvT_T0_DpT1_ ; -- Begin function _ZN2at6native12_GLOBAL__N_125multi_tensor_apply_kernelINS1_28TensorListScalarListMetadataIsLi2EEENS1_25BinaryOpScalarListFunctorIsLi2ELi1ELi1EEEJNS1_13power_functorIsEEEEEvT_T0_DpT1_
	.p2align	8
	.type	_ZN2at6native12_GLOBAL__N_125multi_tensor_apply_kernelINS1_28TensorListScalarListMetadataIsLi2EEENS1_25BinaryOpScalarListFunctorIsLi2ELi1ELi1EEEJNS1_13power_functorIsEEEEEvT_T0_DpT1_,@function
_ZN2at6native12_GLOBAL__N_125multi_tensor_apply_kernelINS1_28TensorListScalarListMetadataIsLi2EEENS1_25BinaryOpScalarListFunctorIsLi2ELi1ELi1EEEJNS1_13power_functorIsEEEEEvT_T0_DpT1_: ; @_ZN2at6native12_GLOBAL__N_125multi_tensor_apply_kernelINS1_28TensorListScalarListMetadataIsLi2EEENS1_25BinaryOpScalarListFunctorIsLi2ELi1ELi1EEEJNS1_13power_functorIsEEEEEvT_T0_DpT1_
; %bb.0:
	v_mov_b32_e32 v1, s15
	s_add_u32 s2, s0, s15
	s_mul_hi_u32 s3, s15, 3
	s_mul_i32 s15, s15, 3
	s_addc_u32 s4, s1, 0
	global_load_u8 v1, v1, s[0:1] offset:1664
	s_add_u32 s2, s2, s15
	s_addc_u32 s3, s4, s3
	s_mov_b32 s19, 0
	s_load_b32 s2, s[2:3], 0x7c0
	s_waitcnt vmcnt(0)
	v_readfirstlane_b32 s3, v1
	v_mul_lo_u32 v2, v1, -6
	v_mul_hi_i32 v3, v1, -6
	s_delay_alu instid0(VALU_DEP_3) | instskip(SKIP_4) | instid1(VALU_DEP_2)
	s_lshl_b32 s6, s3, 3
	s_waitcnt lgkmcnt(0)
	s_ashr_i32 s3, s2, 31
	s_add_u32 s7, s0, s6
	s_addc_u32 s8, s1, 0
	v_add_co_u32 v1, vcc_lo, s7, v2
	s_delay_alu instid0(VALU_DEP_2)
	v_add_co_ci_u32_e32 v2, vcc_lo, s8, v3, vcc_lo
	s_load_b64 s[4:5], s[0:1], s6 offset:0x400
	s_lshl_b64 s[12:13], s[2:3], 17
	global_load_u16 v1, v[1:2], off offset:1536
	s_clause 0x1
	s_load_b64 s[8:9], s[0:1], s6 offset:0x0
	s_load_b64 s[10:11], s[0:1], s6 offset:0x200
	s_waitcnt lgkmcnt(0)
	s_add_u32 s7, s8, s12
	s_addc_u32 s14, s9, s13
	s_and_b32 s6, s7, 7
	s_add_u32 s15, s10, s12
	s_addc_u32 s16, s11, s13
	s_and_b32 s8, s4, 3
	s_and_b32 s9, s15, 7
	s_or_b32 s6, s6, s8
	s_lshl_b64 s[2:3], s[2:3], 16
	s_or_b32 s18, s9, s6
	s_sub_u32 s8, s4, s2
	s_subb_u32 s9, s5, s3
	s_cmp_eq_u64 s[18:19], 0
	s_mov_b32 s2, -1
	s_waitcnt vmcnt(0)
	v_readfirstlane_b32 s17, v1
	s_cbranch_scc1 .LBB89_85
; %bb.1:
	v_cmp_lt_i64_e64 s2, s[8:9], 1
	s_delay_alu instid0(VALU_DEP_1)
	s_and_b32 vcc_lo, exec_lo, s2
	s_cbranch_vccnz .LBB89_84
; %bb.2:
	s_load_b32 s2, s[0:1], 0xcd4
	v_and_b32_e64 v1, s17, 1
	v_cmp_gt_u64_e64 s3, 0x10000, s[8:9]
	v_cmp_ne_u16_e64 s18, s17, 0
	s_sext_i32_i16 s4, s17
	s_mov_b64 s[12:13], 0
	v_cmp_eq_u16_e32 vcc_lo, 0, v1
	s_delay_alu instid0(VALU_DEP_2)
	v_cndmask_b32_e64 v9, 0, 1, s18
	s_waitcnt lgkmcnt(0)
	s_and_b32 s19, s2, 0xffff
	s_and_b32 s2, s3, exec_lo
	s_cselect_b32 s11, s9, 0
	s_cselect_b32 s10, s8, 0x10000
	s_lshl_b32 s20, s19, 1
	s_cmp_gt_i32 s4, -1
	s_mul_i32 s21, s19, 3
	s_cselect_b32 s22, -1, 0
	s_and_b32 s2, vcc_lo, exec_lo
	s_cselect_b32 s23, 1, 0xffff
	s_lshl_b32 s24, s19, 2
	s_branch .LBB89_4
.LBB89_3:                               ;   in Loop: Header=BB89_4 Depth=1
	s_or_b32 exec_lo, exec_lo, s2
	s_add_u32 s12, s12, s24
	s_addc_u32 s13, s13, 0
	s_delay_alu instid0(SALU_CYCLE_1) | instskip(SKIP_1) | instid1(VALU_DEP_1)
	v_cmp_ge_i64_e64 s2, s[12:13], s[8:9]
	v_cmp_lt_u64_e64 s3, 0xffff, s[12:13]
	s_or_b32 s2, s2, s3
	s_delay_alu instid0(SALU_CYCLE_1)
	s_and_b32 vcc_lo, exec_lo, s2
	s_cbranch_vccnz .LBB89_84
.LBB89_4:                               ; =>This Loop Header: Depth=1
                                        ;     Child Loop BB89_15 Depth 2
                                        ;     Child Loop BB89_20 Depth 2
	;; [unrolled: 1-line block ×4, first 2 shown]
	v_add_co_u32 v7, s2, s12, v0
	s_delay_alu instid0(VALU_DEP_1) | instskip(SKIP_2) | instid1(VALU_DEP_2)
	v_add_co_ci_u32_e64 v8, null, s13, 0, s2
	s_waitcnt vmcnt(0)
	v_mov_b32_e32 v13, 0
	v_cmp_gt_u64_e64 s2, s[10:11], v[7:8]
	v_lshlrev_b64 v[1:2], 1, v[7:8]
	s_delay_alu instid0(VALU_DEP_2)
	s_and_saveexec_b32 s3, s2
	s_cbranch_execz .LBB89_6
; %bb.5:                                ;   in Loop: Header=BB89_4 Depth=1
	s_delay_alu instid0(VALU_DEP_1) | instskip(NEXT) | instid1(VALU_DEP_2)
	v_add_co_u32 v3, vcc_lo, s7, v1
	v_add_co_ci_u32_e32 v4, vcc_lo, s14, v2, vcc_lo
	global_load_u16 v13, v[3:4], off
.LBB89_6:                               ;   in Loop: Header=BB89_4 Depth=1
	s_or_b32 exec_lo, exec_lo, s3
	v_add_co_u32 v3, vcc_lo, v7, s19
	v_add_co_ci_u32_e32 v4, vcc_lo, 0, v8, vcc_lo
	v_mov_b32_e32 v14, 0
	s_delay_alu instid0(VALU_DEP_2) | instskip(SKIP_1) | instid1(VALU_DEP_2)
	v_cmp_gt_u64_e64 s3, s[10:11], v[3:4]
	v_lshlrev_b64 v[3:4], 1, v[3:4]
	s_and_saveexec_b32 s4, s3
	s_cbranch_execz .LBB89_8
; %bb.7:                                ;   in Loop: Header=BB89_4 Depth=1
	s_delay_alu instid0(VALU_DEP_1) | instskip(NEXT) | instid1(VALU_DEP_2)
	v_add_co_u32 v5, vcc_lo, s7, v3
	v_add_co_ci_u32_e32 v6, vcc_lo, s14, v4, vcc_lo
	global_load_u16 v14, v[5:6], off
.LBB89_8:                               ;   in Loop: Header=BB89_4 Depth=1
	s_or_b32 exec_lo, exec_lo, s4
	v_add_co_u32 v5, vcc_lo, v7, s20
	v_add_co_ci_u32_e32 v6, vcc_lo, 0, v8, vcc_lo
	v_mov_b32_e32 v10, 0
	v_mov_b32_e32 v12, 0
	s_delay_alu instid0(VALU_DEP_3) | instskip(SKIP_1) | instid1(VALU_DEP_2)
	v_cmp_gt_u64_e64 s4, s[10:11], v[5:6]
	v_lshlrev_b64 v[5:6], 1, v[5:6]
	s_and_saveexec_b32 s5, s4
	s_cbranch_execz .LBB89_10
; %bb.9:                                ;   in Loop: Header=BB89_4 Depth=1
	s_delay_alu instid0(VALU_DEP_1) | instskip(NEXT) | instid1(VALU_DEP_2)
	v_add_co_u32 v11, vcc_lo, s7, v5
	v_add_co_ci_u32_e32 v12, vcc_lo, s14, v6, vcc_lo
	global_load_u16 v12, v[11:12], off
.LBB89_10:                              ;   in Loop: Header=BB89_4 Depth=1
	s_or_b32 exec_lo, exec_lo, s5
	v_add_co_u32 v7, vcc_lo, v7, s21
	v_add_co_ci_u32_e32 v8, vcc_lo, 0, v8, vcc_lo
	s_delay_alu instid0(VALU_DEP_1) | instskip(SKIP_1) | instid1(VALU_DEP_2)
	v_cmp_gt_u64_e64 s5, s[10:11], v[7:8]
	v_lshlrev_b64 v[7:8], 1, v[7:8]
	s_and_saveexec_b32 s6, s5
	s_cbranch_execz .LBB89_12
; %bb.11:                               ;   in Loop: Header=BB89_4 Depth=1
	s_delay_alu instid0(VALU_DEP_1) | instskip(NEXT) | instid1(VALU_DEP_2)
	v_add_co_u32 v10, vcc_lo, s7, v7
	v_add_co_ci_u32_e32 v11, vcc_lo, s14, v8, vcc_lo
	global_load_u16 v10, v[10:11], off
.LBB89_12:                              ;   in Loop: Header=BB89_4 Depth=1
	s_or_b32 exec_lo, exec_lo, s6
	v_cmp_ne_u32_e64 s6, 1, v9
	s_and_b32 vcc_lo, exec_lo, s22
	s_cbranch_vccz .LBB89_16
; %bb.13:                               ;   in Loop: Header=BB89_4 Depth=1
	s_delay_alu instid0(VALU_DEP_1)
	s_and_b32 vcc_lo, exec_lo, s6
	s_cbranch_vccnz .LBB89_21
; %bb.14:                               ;   in Loop: Header=BB89_4 Depth=1
	v_dual_mov_b32 v16, s17 :: v_dual_mov_b32 v11, 1
	s_waitcnt vmcnt(0)
	v_mov_b32_e32 v15, v13
	.p2align	6
.LBB89_15:                              ;   Parent Loop BB89_4 Depth=1
                                        ; =>  This Inner Loop Header: Depth=2
	s_delay_alu instid0(VALU_DEP_2) | instskip(SKIP_2) | instid1(VALU_DEP_3)
	v_and_b32_e32 v18, 1, v16
	v_lshrrev_b16 v17, 15, v16
	v_add_nc_u16 v19, v16, 1
	v_cmp_eq_u32_e32 vcc_lo, 1, v18
	s_delay_alu instid0(VALU_DEP_3) | instskip(SKIP_1) | instid1(VALU_DEP_4)
	v_add_nc_u16 v16, v16, v17
	v_cndmask_b32_e32 v17, 1, v15, vcc_lo
	v_cmp_lt_u16_e32 vcc_lo, 2, v19
	s_delay_alu instid0(VALU_DEP_3) | instskip(SKIP_1) | instid1(VALU_DEP_4)
	v_ashrrev_i16 v16, 1, v16
	v_mul_lo_u16 v15, v15, v15
	v_mul_lo_u16 v11, v17, v11
	s_cbranch_vccnz .LBB89_15
	s_branch .LBB89_22
.LBB89_16:                              ;   in Loop: Header=BB89_4 Depth=1
                                        ; implicit-def: $vgpr11
	s_branch .LBB89_23
.LBB89_17:                              ;   in Loop: Header=BB89_4 Depth=1
	s_and_not1_b32 vcc_lo, exec_lo, s22
	s_cbranch_vccnz .LBB89_29
.LBB89_18:                              ;   in Loop: Header=BB89_4 Depth=1
	s_and_not1_b32 vcc_lo, exec_lo, s18
	s_cbranch_vccnz .LBB89_37
; %bb.19:                               ;   in Loop: Header=BB89_4 Depth=1
	s_waitcnt vmcnt(0)
	v_dual_mov_b32 v16, s17 :: v_dual_mov_b32 v13, 1
	v_mov_b32_e32 v15, v14
	.p2align	6
.LBB89_20:                              ;   Parent Loop BB89_4 Depth=1
                                        ; =>  This Inner Loop Header: Depth=2
	s_delay_alu instid0(VALU_DEP_2) | instskip(SKIP_2) | instid1(VALU_DEP_3)
	v_and_b32_e32 v18, 1, v16
	v_lshrrev_b16 v17, 15, v16
	v_add_nc_u16 v19, v16, 1
	v_cmp_eq_u32_e32 vcc_lo, 1, v18
	s_delay_alu instid0(VALU_DEP_3) | instskip(SKIP_1) | instid1(VALU_DEP_4)
	v_add_nc_u16 v16, v16, v17
	v_cndmask_b32_e32 v17, 1, v15, vcc_lo
	v_cmp_gt_u16_e32 vcc_lo, 3, v19
	s_delay_alu instid0(VALU_DEP_3) | instskip(SKIP_1) | instid1(VALU_DEP_4)
	v_ashrrev_i16 v16, 1, v16
	v_mul_lo_u16 v15, v15, v15
	v_mul_lo_u16 v13, v17, v13
	s_cbranch_vccz .LBB89_20
	s_branch .LBB89_38
.LBB89_21:                              ;   in Loop: Header=BB89_4 Depth=1
	v_mov_b32_e32 v11, 1
.LBB89_22:                              ;   in Loop: Header=BB89_4 Depth=1
	s_cbranch_execnz .LBB89_17
.LBB89_23:                              ;   in Loop: Header=BB89_4 Depth=1
	s_mov_b32 s6, 0
	s_mov_b32 s25, 0
	s_mov_b32 s26, exec_lo
	s_waitcnt vmcnt(0)
	v_cmpx_lt_i16_e32 0, v13
	s_xor_b32 s26, exec_lo, s26
	s_cbranch_execnz .LBB89_34
; %bb.24:                               ;   in Loop: Header=BB89_4 Depth=1
	s_and_not1_saveexec_b32 s26, s26
	s_cbranch_execnz .LBB89_35
.LBB89_25:                              ;   in Loop: Header=BB89_4 Depth=1
	s_or_b32 exec_lo, exec_lo, s26
	s_and_saveexec_b32 s26, s25
	s_delay_alu instid0(SALU_CYCLE_1)
	s_xor_b32 s25, exec_lo, s26
	s_cbranch_execnz .LBB89_36
.LBB89_26:                              ;   in Loop: Header=BB89_4 Depth=1
	s_or_b32 exec_lo, exec_lo, s25
	s_and_saveexec_b32 s25, s6
.LBB89_27:                              ;   in Loop: Header=BB89_4 Depth=1
	v_mov_b32_e32 v13, s23
.LBB89_28:                              ;   in Loop: Header=BB89_4 Depth=1
	s_or_b32 exec_lo, exec_lo, s25
	s_delay_alu instid0(VALU_DEP_1)
	v_mov_b32_e32 v11, v13
	s_and_not1_b32 vcc_lo, exec_lo, s22
	s_cbranch_vccz .LBB89_18
.LBB89_29:                              ;   in Loop: Header=BB89_4 Depth=1
                                        ; implicit-def: $vgpr13
	s_branch .LBB89_39
.LBB89_30:                              ;   in Loop: Header=BB89_4 Depth=1
	s_and_not1_b32 vcc_lo, exec_lo, s22
	s_cbranch_vccnz .LBB89_45
.LBB89_31:                              ;   in Loop: Header=BB89_4 Depth=1
	s_and_not1_b32 vcc_lo, exec_lo, s18
	s_cbranch_vccnz .LBB89_53
; %bb.32:                               ;   in Loop: Header=BB89_4 Depth=1
	s_waitcnt vmcnt(0)
	v_dual_mov_b32 v16, s17 :: v_dual_mov_b32 v15, v12
	v_mov_b32_e32 v14, 1
	.p2align	6
.LBB89_33:                              ;   Parent Loop BB89_4 Depth=1
                                        ; =>  This Inner Loop Header: Depth=2
	s_delay_alu instid0(VALU_DEP_2) | instskip(SKIP_2) | instid1(VALU_DEP_3)
	v_and_b32_e32 v18, 1, v16
	v_lshrrev_b16 v17, 15, v16
	v_add_nc_u16 v19, v16, 1
	v_cmp_eq_u32_e32 vcc_lo, 1, v18
	s_delay_alu instid0(VALU_DEP_3) | instskip(SKIP_1) | instid1(VALU_DEP_4)
	v_add_nc_u16 v16, v16, v17
	v_cndmask_b32_e32 v17, 1, v15, vcc_lo
	v_cmp_gt_u16_e32 vcc_lo, 3, v19
	s_delay_alu instid0(VALU_DEP_3) | instskip(SKIP_1) | instid1(VALU_DEP_4)
	v_ashrrev_i16 v16, 1, v16
	v_mul_lo_u16 v15, v15, v15
	v_mul_lo_u16 v14, v17, v14
	s_cbranch_vccz .LBB89_33
	s_branch .LBB89_54
.LBB89_34:                              ;   in Loop: Header=BB89_4 Depth=1
	v_cmp_ne_u16_e32 vcc_lo, 1, v13
	s_and_b32 s25, vcc_lo, exec_lo
	s_and_not1_saveexec_b32 s26, s26
	s_cbranch_execz .LBB89_25
.LBB89_35:                              ;   in Loop: Header=BB89_4 Depth=1
	v_cmp_ne_u16_e32 vcc_lo, -1, v13
	s_and_not1_b32 s25, s25, exec_lo
	s_mov_b32 s6, exec_lo
                                        ; implicit-def: $vgpr13
	s_and_b32 s27, vcc_lo, exec_lo
	s_delay_alu instid0(SALU_CYCLE_1) | instskip(SKIP_2) | instid1(SALU_CYCLE_1)
	s_or_b32 s25, s25, s27
	s_or_b32 exec_lo, exec_lo, s26
	s_and_saveexec_b32 s26, s25
	s_xor_b32 s25, exec_lo, s26
	s_cbranch_execz .LBB89_26
.LBB89_36:                              ;   in Loop: Header=BB89_4 Depth=1
	v_mov_b32_e32 v13, 0
	s_and_not1_b32 s6, s6, exec_lo
	s_or_b32 exec_lo, exec_lo, s25
	s_and_saveexec_b32 s25, s6
	s_cbranch_execnz .LBB89_27
	s_branch .LBB89_28
.LBB89_37:                              ;   in Loop: Header=BB89_4 Depth=1
	s_waitcnt vmcnt(0)
	v_mov_b32_e32 v13, 1
.LBB89_38:                              ;   in Loop: Header=BB89_4 Depth=1
	s_cbranch_execnz .LBB89_30
.LBB89_39:                              ;   in Loop: Header=BB89_4 Depth=1
	s_mov_b32 s6, 0
	s_mov_b32 s25, 0
	s_mov_b32 s26, exec_lo
	s_waitcnt vmcnt(0)
	v_cmpx_lt_i16_e32 0, v14
	s_xor_b32 s26, exec_lo, s26
	s_cbranch_execnz .LBB89_50
; %bb.40:                               ;   in Loop: Header=BB89_4 Depth=1
	s_and_not1_saveexec_b32 s26, s26
	s_cbranch_execnz .LBB89_51
.LBB89_41:                              ;   in Loop: Header=BB89_4 Depth=1
	s_or_b32 exec_lo, exec_lo, s26
	s_and_saveexec_b32 s26, s25
	s_delay_alu instid0(SALU_CYCLE_1)
	s_xor_b32 s25, exec_lo, s26
	s_cbranch_execnz .LBB89_52
.LBB89_42:                              ;   in Loop: Header=BB89_4 Depth=1
	s_or_b32 exec_lo, exec_lo, s25
	s_and_saveexec_b32 s25, s6
.LBB89_43:                              ;   in Loop: Header=BB89_4 Depth=1
	v_mov_b32_e32 v14, s23
.LBB89_44:                              ;   in Loop: Header=BB89_4 Depth=1
	s_or_b32 exec_lo, exec_lo, s25
	s_delay_alu instid0(VALU_DEP_1)
	v_mov_b32_e32 v13, v14
	s_and_not1_b32 vcc_lo, exec_lo, s22
	s_cbranch_vccz .LBB89_31
.LBB89_45:                              ;   in Loop: Header=BB89_4 Depth=1
                                        ; implicit-def: $vgpr14
	s_branch .LBB89_55
.LBB89_46:                              ;   in Loop: Header=BB89_4 Depth=1
	s_and_not1_b32 vcc_lo, exec_lo, s22
	s_cbranch_vccnz .LBB89_61
.LBB89_47:                              ;   in Loop: Header=BB89_4 Depth=1
	s_and_not1_b32 vcc_lo, exec_lo, s18
	s_cbranch_vccnz .LBB89_65
; %bb.48:                               ;   in Loop: Header=BB89_4 Depth=1
	s_waitcnt vmcnt(0)
	v_dual_mov_b32 v16, s17 :: v_dual_mov_b32 v15, v10
	v_mov_b32_e32 v12, 1
	.p2align	6
.LBB89_49:                              ;   Parent Loop BB89_4 Depth=1
                                        ; =>  This Inner Loop Header: Depth=2
	s_delay_alu instid0(VALU_DEP_2) | instskip(SKIP_2) | instid1(VALU_DEP_3)
	v_and_b32_e32 v18, 1, v16
	v_lshrrev_b16 v17, 15, v16
	v_add_nc_u16 v19, v16, 1
	v_cmp_eq_u32_e32 vcc_lo, 1, v18
	s_delay_alu instid0(VALU_DEP_3) | instskip(SKIP_1) | instid1(VALU_DEP_4)
	v_add_nc_u16 v16, v16, v17
	v_cndmask_b32_e32 v17, 1, v15, vcc_lo
	v_cmp_gt_u16_e32 vcc_lo, 3, v19
	s_delay_alu instid0(VALU_DEP_3) | instskip(SKIP_1) | instid1(VALU_DEP_4)
	v_ashrrev_i16 v16, 1, v16
	v_mul_lo_u16 v15, v15, v15
	v_mul_lo_u16 v12, v17, v12
	s_cbranch_vccz .LBB89_49
	s_branch .LBB89_66
.LBB89_50:                              ;   in Loop: Header=BB89_4 Depth=1
	v_cmp_ne_u16_e32 vcc_lo, 1, v14
	s_and_b32 s25, vcc_lo, exec_lo
	s_and_not1_saveexec_b32 s26, s26
	s_cbranch_execz .LBB89_41
.LBB89_51:                              ;   in Loop: Header=BB89_4 Depth=1
	v_cmp_ne_u16_e32 vcc_lo, -1, v14
	s_and_not1_b32 s25, s25, exec_lo
	s_mov_b32 s6, exec_lo
                                        ; implicit-def: $vgpr14
	s_and_b32 s27, vcc_lo, exec_lo
	s_delay_alu instid0(SALU_CYCLE_1) | instskip(SKIP_2) | instid1(SALU_CYCLE_1)
	s_or_b32 s25, s25, s27
	s_or_b32 exec_lo, exec_lo, s26
	s_and_saveexec_b32 s26, s25
	s_xor_b32 s25, exec_lo, s26
	s_cbranch_execz .LBB89_42
.LBB89_52:                              ;   in Loop: Header=BB89_4 Depth=1
	v_mov_b32_e32 v14, 0
	s_and_not1_b32 s6, s6, exec_lo
	s_or_b32 exec_lo, exec_lo, s25
	s_and_saveexec_b32 s25, s6
	s_cbranch_execnz .LBB89_43
	s_branch .LBB89_44
.LBB89_53:                              ;   in Loop: Header=BB89_4 Depth=1
	s_waitcnt vmcnt(0)
	v_mov_b32_e32 v14, 1
.LBB89_54:                              ;   in Loop: Header=BB89_4 Depth=1
	s_cbranch_execnz .LBB89_46
.LBB89_55:                              ;   in Loop: Header=BB89_4 Depth=1
	s_mov_b32 s6, 0
	s_mov_b32 s25, 0
	s_mov_b32 s26, exec_lo
	s_waitcnt vmcnt(0)
	v_cmpx_lt_i16_e32 0, v12
	s_xor_b32 s26, exec_lo, s26
	s_cbranch_execnz .LBB89_62
; %bb.56:                               ;   in Loop: Header=BB89_4 Depth=1
	s_and_not1_saveexec_b32 s26, s26
	s_cbranch_execnz .LBB89_63
.LBB89_57:                              ;   in Loop: Header=BB89_4 Depth=1
	s_or_b32 exec_lo, exec_lo, s26
	s_and_saveexec_b32 s26, s25
	s_delay_alu instid0(SALU_CYCLE_1)
	s_xor_b32 s25, exec_lo, s26
	s_cbranch_execnz .LBB89_64
.LBB89_58:                              ;   in Loop: Header=BB89_4 Depth=1
	s_or_b32 exec_lo, exec_lo, s25
	s_and_saveexec_b32 s25, s6
.LBB89_59:                              ;   in Loop: Header=BB89_4 Depth=1
	v_mov_b32_e32 v12, s23
.LBB89_60:                              ;   in Loop: Header=BB89_4 Depth=1
	s_or_b32 exec_lo, exec_lo, s25
	s_delay_alu instid0(VALU_DEP_1)
	v_mov_b32_e32 v14, v12
	s_and_not1_b32 vcc_lo, exec_lo, s22
	s_cbranch_vccz .LBB89_47
.LBB89_61:                              ;   in Loop: Header=BB89_4 Depth=1
                                        ; implicit-def: $vgpr12
	s_branch .LBB89_67
.LBB89_62:                              ;   in Loop: Header=BB89_4 Depth=1
	v_cmp_ne_u16_e32 vcc_lo, 1, v12
	s_and_b32 s25, vcc_lo, exec_lo
	s_and_not1_saveexec_b32 s26, s26
	s_cbranch_execz .LBB89_57
.LBB89_63:                              ;   in Loop: Header=BB89_4 Depth=1
	v_cmp_ne_u16_e32 vcc_lo, -1, v12
	s_and_not1_b32 s25, s25, exec_lo
	s_mov_b32 s6, exec_lo
                                        ; implicit-def: $vgpr12
	s_and_b32 s27, vcc_lo, exec_lo
	s_delay_alu instid0(SALU_CYCLE_1) | instskip(SKIP_2) | instid1(SALU_CYCLE_1)
	s_or_b32 s25, s25, s27
	s_or_b32 exec_lo, exec_lo, s26
	s_and_saveexec_b32 s26, s25
	s_xor_b32 s25, exec_lo, s26
	s_cbranch_execz .LBB89_58
.LBB89_64:                              ;   in Loop: Header=BB89_4 Depth=1
	v_mov_b32_e32 v12, 0
	s_and_not1_b32 s6, s6, exec_lo
	s_or_b32 exec_lo, exec_lo, s25
	s_and_saveexec_b32 s25, s6
	s_cbranch_execnz .LBB89_59
	s_branch .LBB89_60
.LBB89_65:                              ;   in Loop: Header=BB89_4 Depth=1
	s_waitcnt vmcnt(0)
	v_mov_b32_e32 v12, 1
.LBB89_66:                              ;   in Loop: Header=BB89_4 Depth=1
	s_cbranch_execnz .LBB89_73
.LBB89_67:                              ;   in Loop: Header=BB89_4 Depth=1
	s_mov_b32 s6, 0
	s_mov_b32 s25, 0
	s_mov_b32 s26, exec_lo
	s_waitcnt vmcnt(0)
	v_cmpx_lt_i16_e32 0, v10
	s_xor_b32 s26, exec_lo, s26
	s_cbranch_execnz .LBB89_81
; %bb.68:                               ;   in Loop: Header=BB89_4 Depth=1
	s_and_not1_saveexec_b32 s26, s26
	s_cbranch_execnz .LBB89_82
.LBB89_69:                              ;   in Loop: Header=BB89_4 Depth=1
	s_or_b32 exec_lo, exec_lo, s26
	s_and_saveexec_b32 s26, s25
	s_delay_alu instid0(SALU_CYCLE_1)
	s_xor_b32 s25, exec_lo, s26
	s_cbranch_execnz .LBB89_83
.LBB89_70:                              ;   in Loop: Header=BB89_4 Depth=1
	s_or_b32 exec_lo, exec_lo, s25
	s_and_saveexec_b32 s25, s6
.LBB89_71:                              ;   in Loop: Header=BB89_4 Depth=1
	v_mov_b32_e32 v10, s23
.LBB89_72:                              ;   in Loop: Header=BB89_4 Depth=1
	s_or_b32 exec_lo, exec_lo, s25
	s_delay_alu instid0(VALU_DEP_1)
	v_mov_b32_e32 v12, v10
.LBB89_73:                              ;   in Loop: Header=BB89_4 Depth=1
	s_and_saveexec_b32 s6, s2
	s_delay_alu instid0(SALU_CYCLE_1)
	s_xor_b32 s2, exec_lo, s6
	s_cbranch_execnz .LBB89_77
; %bb.74:                               ;   in Loop: Header=BB89_4 Depth=1
	s_or_b32 exec_lo, exec_lo, s2
	s_and_saveexec_b32 s2, s3
	s_cbranch_execnz .LBB89_78
.LBB89_75:                              ;   in Loop: Header=BB89_4 Depth=1
	s_or_b32 exec_lo, exec_lo, s2
	s_and_saveexec_b32 s2, s4
	s_cbranch_execnz .LBB89_79
.LBB89_76:                              ;   in Loop: Header=BB89_4 Depth=1
	s_or_b32 exec_lo, exec_lo, s2
	s_and_saveexec_b32 s2, s5
	s_cbranch_execz .LBB89_3
	s_branch .LBB89_80
.LBB89_77:                              ;   in Loop: Header=BB89_4 Depth=1
	v_add_co_u32 v1, vcc_lo, s15, v1
	v_add_co_ci_u32_e32 v2, vcc_lo, s16, v2, vcc_lo
	global_store_b16 v[1:2], v11, off
	s_or_b32 exec_lo, exec_lo, s2
	s_and_saveexec_b32 s2, s3
	s_cbranch_execz .LBB89_75
.LBB89_78:                              ;   in Loop: Header=BB89_4 Depth=1
	v_add_co_u32 v1, vcc_lo, s15, v3
	v_add_co_ci_u32_e32 v2, vcc_lo, s16, v4, vcc_lo
	s_waitcnt vmcnt(0)
	global_store_b16 v[1:2], v13, off
	s_or_b32 exec_lo, exec_lo, s2
	s_and_saveexec_b32 s2, s4
	s_cbranch_execz .LBB89_76
.LBB89_79:                              ;   in Loop: Header=BB89_4 Depth=1
	v_add_co_u32 v1, vcc_lo, s15, v5
	v_add_co_ci_u32_e32 v2, vcc_lo, s16, v6, vcc_lo
	s_waitcnt vmcnt(0)
	global_store_b16 v[1:2], v14, off
	s_or_b32 exec_lo, exec_lo, s2
	s_and_saveexec_b32 s2, s5
	s_cbranch_execz .LBB89_3
.LBB89_80:                              ;   in Loop: Header=BB89_4 Depth=1
	v_add_co_u32 v1, vcc_lo, s15, v7
	v_add_co_ci_u32_e32 v2, vcc_lo, s16, v8, vcc_lo
	s_waitcnt vmcnt(0)
	global_store_b16 v[1:2], v12, off
	s_branch .LBB89_3
.LBB89_81:                              ;   in Loop: Header=BB89_4 Depth=1
	v_cmp_ne_u16_e32 vcc_lo, 1, v10
	s_and_b32 s25, vcc_lo, exec_lo
	s_and_not1_saveexec_b32 s26, s26
	s_cbranch_execz .LBB89_69
.LBB89_82:                              ;   in Loop: Header=BB89_4 Depth=1
	v_cmp_ne_u16_e32 vcc_lo, -1, v10
	s_and_not1_b32 s25, s25, exec_lo
	s_mov_b32 s6, exec_lo
                                        ; implicit-def: $vgpr10
	s_and_b32 s27, vcc_lo, exec_lo
	s_delay_alu instid0(SALU_CYCLE_1) | instskip(SKIP_2) | instid1(SALU_CYCLE_1)
	s_or_b32 s25, s25, s27
	s_or_b32 exec_lo, exec_lo, s26
	s_and_saveexec_b32 s26, s25
	s_xor_b32 s25, exec_lo, s26
	s_cbranch_execz .LBB89_70
.LBB89_83:                              ;   in Loop: Header=BB89_4 Depth=1
	v_mov_b32_e32 v10, 0
	s_and_not1_b32 s6, s6, exec_lo
	s_or_b32 exec_lo, exec_lo, s25
	s_and_saveexec_b32 s25, s6
	s_cbranch_execnz .LBB89_71
	s_branch .LBB89_72
.LBB89_84:
	s_mov_b32 s2, 0
.LBB89_85:
	s_delay_alu instid0(SALU_CYCLE_1)
	s_and_not1_b32 vcc_lo, exec_lo, s2
	s_cbranch_vccnz .LBB89_153
; %bb.86:
	v_dual_mov_b32 v2, 0 :: v_dual_lshlrev_b32 v1, 2, v0
	s_mov_b32 s2, 0
	s_mov_b32 s3, exec_lo
	s_delay_alu instid0(VALU_DEP_1)
	v_cmpx_gt_i64_e64 s[8:9], v[1:2]
	s_cbranch_execz .LBB89_153
; %bb.87:
	s_load_b32 s0, s[0:1], 0xcd4
	v_and_b32_e64 v3, s17, 1
	v_cmp_ne_u16_e64 s3, s17, 0
	s_sext_i32_i16 s1, s17
	v_mov_b32_e32 v1, v2
	s_cmp_gt_i32 s1, -1
	v_cmp_eq_u16_e32 vcc_lo, 0, v3
	v_cndmask_b32_e64 v6, 0, 1, s3
	s_cselect_b32 s4, -1, 0
	s_and_b32 s1, vcc_lo, exec_lo
	s_cselect_b32 s5, 1, 0xffff
	s_waitcnt lgkmcnt(0)
	s_and_b32 s6, s0, 0xffff
	s_branch .LBB89_90
.LBB89_88:                              ;   in Loop: Header=BB89_90 Depth=1
	s_or_b32 exec_lo, exec_lo, s1
	s_delay_alu instid0(VALU_DEP_1)
	v_mov_b32_e32 v9, v5
.LBB89_89:                              ;   in Loop: Header=BB89_90 Depth=1
	v_add_co_u32 v0, vcc_lo, v0, s6
	v_add_co_ci_u32_e32 v1, vcc_lo, 0, v1, vcc_lo
	s_delay_alu instid0(VALU_DEP_3) | instskip(SKIP_2) | instid1(VALU_DEP_4)
	v_lshlrev_b32_e32 v5, 16, v9
	v_and_b32_e32 v8, 0xffff, v8
	v_lshlrev_b32_e32 v4, 16, v4
	v_lshlrev_b64 v[10:11], 2, v[0:1]
	v_and_b32_e32 v7, 0xffff, v7
	v_add_co_u32 v2, s1, s15, v2
	s_delay_alu instid0(VALU_DEP_1) | instskip(NEXT) | instid1(VALU_DEP_4)
	v_add_co_ci_u32_e64 v3, s1, s16, v3, s1
	v_cmp_le_i64_e32 vcc_lo, s[8:9], v[10:11]
	v_cmp_lt_u64_e64 s0, 0xffff, v[10:11]
	v_or_b32_e32 v5, v5, v8
	v_or_b32_e32 v4, v4, v7
	s_delay_alu instid0(VALU_DEP_3) | instskip(SKIP_2) | instid1(SALU_CYCLE_1)
	s_or_b32 s0, vcc_lo, s0
	global_store_b64 v[2:3], v[4:5], off
	s_and_b32 s0, exec_lo, s0
	s_or_b32 s2, s0, s2
	s_delay_alu instid0(SALU_CYCLE_1)
	s_and_not1_b32 exec_lo, exec_lo, s2
	s_cbranch_execz .LBB89_153
.LBB89_90:                              ; =>This Loop Header: Depth=1
                                        ;     Child Loop BB89_98 Depth 2
                                        ;     Child Loop BB89_95 Depth 2
	;; [unrolled: 1-line block ×4, first 2 shown]
	v_lshlrev_b64 v[2:3], 3, v[0:1]
	v_cmp_ne_u32_e64 s0, 1, v6
	s_mov_b32 s1, -1
                                        ; implicit-def: $vgpr7
	s_delay_alu instid0(VALU_DEP_2) | instskip(NEXT) | instid1(VALU_DEP_3)
	v_add_co_u32 v4, vcc_lo, s7, v2
	v_add_co_ci_u32_e32 v5, vcc_lo, s14, v3, vcc_lo
	s_and_b32 vcc_lo, exec_lo, s4
	global_load_b64 v[4:5], v[4:5], off
	s_cbranch_vccnz .LBB89_96
; %bb.91:                               ;   in Loop: Header=BB89_90 Depth=1
	s_and_not1_b32 vcc_lo, exec_lo, s1
	s_cbranch_vccz .LBB89_107
.LBB89_92:                              ;   in Loop: Header=BB89_90 Depth=1
	s_waitcnt vmcnt(0)
	v_lshrrev_b32_e32 v8, 16, v4
	s_and_not1_b32 vcc_lo, exec_lo, s4
	s_cbranch_vccnz .LBB89_116
.LBB89_93:                              ;   in Loop: Header=BB89_90 Depth=1
	s_and_not1_b32 vcc_lo, exec_lo, s3
	s_cbranch_vccnz .LBB89_100
; %bb.94:                               ;   in Loop: Header=BB89_90 Depth=1
	v_dual_mov_b32 v10, s17 :: v_dual_mov_b32 v9, v8
	v_mov_b32_e32 v4, 1
	.p2align	6
.LBB89_95:                              ;   Parent Loop BB89_90 Depth=1
                                        ; =>  This Inner Loop Header: Depth=2
	s_delay_alu instid0(VALU_DEP_2) | instskip(SKIP_2) | instid1(VALU_DEP_3)
	v_and_b32_e32 v12, 1, v10
	v_lshrrev_b16 v11, 15, v10
	v_add_nc_u16 v13, v10, 1
	v_cmp_eq_u32_e32 vcc_lo, 1, v12
	s_delay_alu instid0(VALU_DEP_3) | instskip(SKIP_1) | instid1(VALU_DEP_4)
	v_add_nc_u16 v10, v10, v11
	v_cndmask_b32_e32 v11, 1, v9, vcc_lo
	v_cmp_gt_u16_e32 vcc_lo, 3, v13
	s_delay_alu instid0(VALU_DEP_3) | instskip(SKIP_1) | instid1(VALU_DEP_4)
	v_ashrrev_i16 v10, 1, v10
	v_mul_lo_u16 v9, v9, v9
	v_mul_lo_u16 v4, v11, v4
	s_cbranch_vccz .LBB89_95
	s_branch .LBB89_101
.LBB89_96:                              ;   in Loop: Header=BB89_90 Depth=1
	s_and_b32 vcc_lo, exec_lo, s0
	s_cbranch_vccnz .LBB89_106
; %bb.97:                               ;   in Loop: Header=BB89_90 Depth=1
	s_waitcnt vmcnt(0)
	v_dual_mov_b32 v9, s17 :: v_dual_mov_b32 v8, v4
	v_mov_b32_e32 v7, 1
	.p2align	6
.LBB89_98:                              ;   Parent Loop BB89_90 Depth=1
                                        ; =>  This Inner Loop Header: Depth=2
	s_delay_alu instid0(VALU_DEP_2) | instskip(SKIP_2) | instid1(VALU_DEP_3)
	v_and_b32_e32 v11, 1, v9
	v_lshrrev_b16 v10, 15, v9
	v_add_nc_u16 v12, v9, 1
	v_cmp_eq_u32_e32 vcc_lo, 1, v11
	s_delay_alu instid0(VALU_DEP_3) | instskip(SKIP_1) | instid1(VALU_DEP_4)
	v_add_nc_u16 v9, v9, v10
	v_cndmask_b32_e32 v10, 1, v8, vcc_lo
	v_cmp_lt_u16_e32 vcc_lo, 2, v12
	s_delay_alu instid0(VALU_DEP_3) | instskip(SKIP_1) | instid1(VALU_DEP_4)
	v_ashrrev_i16 v9, 1, v9
	v_mul_lo_u16 v8, v8, v8
	v_mul_lo_u16 v7, v10, v7
	s_cbranch_vccnz .LBB89_98
; %bb.99:                               ;   in Loop: Header=BB89_90 Depth=1
	s_cbranch_execnz .LBB89_92
	s_branch .LBB89_107
.LBB89_100:                             ;   in Loop: Header=BB89_90 Depth=1
	v_mov_b32_e32 v4, 1
.LBB89_101:                             ;   in Loop: Header=BB89_90 Depth=1
	s_cbranch_execz .LBB89_117
; %bb.102:                              ;   in Loop: Header=BB89_90 Depth=1
	s_and_not1_b32 vcc_lo, exec_lo, s4
	s_cbranch_vccnz .LBB89_123
.LBB89_103:                             ;   in Loop: Header=BB89_90 Depth=1
	s_and_not1_b32 vcc_lo, exec_lo, s3
	s_cbranch_vccnz .LBB89_131
; %bb.104:                              ;   in Loop: Header=BB89_90 Depth=1
	v_dual_mov_b32 v10, s17 :: v_dual_mov_b32 v9, v5
	v_mov_b32_e32 v8, 1
	.p2align	6
.LBB89_105:                             ;   Parent Loop BB89_90 Depth=1
                                        ; =>  This Inner Loop Header: Depth=2
	s_delay_alu instid0(VALU_DEP_2) | instskip(SKIP_2) | instid1(VALU_DEP_3)
	v_and_b32_e32 v12, 1, v10
	v_lshrrev_b16 v11, 15, v10
	v_add_nc_u16 v13, v10, 1
	v_cmp_eq_u32_e32 vcc_lo, 1, v12
	s_delay_alu instid0(VALU_DEP_3) | instskip(SKIP_1) | instid1(VALU_DEP_4)
	v_add_nc_u16 v10, v10, v11
	v_cndmask_b32_e32 v11, 1, v9, vcc_lo
	v_cmp_gt_u16_e32 vcc_lo, 3, v13
	s_delay_alu instid0(VALU_DEP_3) | instskip(SKIP_1) | instid1(VALU_DEP_4)
	v_ashrrev_i16 v10, 1, v10
	v_mul_lo_u16 v9, v9, v9
	v_mul_lo_u16 v8, v11, v8
	s_cbranch_vccz .LBB89_105
	s_branch .LBB89_132
.LBB89_106:                             ;   in Loop: Header=BB89_90 Depth=1
	v_mov_b32_e32 v7, 1
	s_cbranch_execnz .LBB89_92
.LBB89_107:                             ;   in Loop: Header=BB89_90 Depth=1
	s_mov_b32 s0, 0
	s_mov_b32 s1, 0
	s_mov_b32 s10, exec_lo
	s_waitcnt vmcnt(0)
	v_cmpx_lt_i16_e32 0, v4
	s_xor_b32 s10, exec_lo, s10
; %bb.108:                              ;   in Loop: Header=BB89_90 Depth=1
	v_cmp_ne_u16_e32 vcc_lo, 1, v4
	s_and_b32 s1, vcc_lo, exec_lo
; %bb.109:                              ;   in Loop: Header=BB89_90 Depth=1
	s_and_not1_saveexec_b32 s10, s10
; %bb.110:                              ;   in Loop: Header=BB89_90 Depth=1
	v_cmp_ne_u16_e32 vcc_lo, -1, v4
	s_and_not1_b32 s1, s1, exec_lo
	s_mov_b32 s0, exec_lo
	s_and_b32 s11, vcc_lo, exec_lo
	s_delay_alu instid0(SALU_CYCLE_1)
	s_or_b32 s1, s1, s11
; %bb.111:                              ;   in Loop: Header=BB89_90 Depth=1
	s_or_b32 exec_lo, exec_lo, s10
	v_mov_b32_e32 v7, v4
	s_and_saveexec_b32 s10, s1
	s_delay_alu instid0(SALU_CYCLE_1)
	s_xor_b32 s1, exec_lo, s10
; %bb.112:                              ;   in Loop: Header=BB89_90 Depth=1
	v_mov_b32_e32 v7, 0
	s_and_not1_b32 s0, s0, exec_lo
; %bb.113:                              ;   in Loop: Header=BB89_90 Depth=1
	s_or_b32 exec_lo, exec_lo, s1
	s_and_saveexec_b32 s1, s0
; %bb.114:                              ;   in Loop: Header=BB89_90 Depth=1
	v_mov_b32_e32 v7, s5
; %bb.115:                              ;   in Loop: Header=BB89_90 Depth=1
	s_or_b32 exec_lo, exec_lo, s1
	v_lshrrev_b32_e32 v8, 16, v4
	s_and_not1_b32 vcc_lo, exec_lo, s4
	s_cbranch_vccz .LBB89_93
.LBB89_116:                             ;   in Loop: Header=BB89_90 Depth=1
                                        ; implicit-def: $vgpr4
.LBB89_117:                             ;   in Loop: Header=BB89_90 Depth=1
	s_mov_b32 s0, 0
	s_mov_b32 s1, 0
	s_mov_b32 s10, exec_lo
	v_cmpx_lt_i16_e32 0, v8
	s_xor_b32 s10, exec_lo, s10
	s_cbranch_execnz .LBB89_128
; %bb.118:                              ;   in Loop: Header=BB89_90 Depth=1
	s_and_not1_saveexec_b32 s10, s10
	s_cbranch_execnz .LBB89_129
.LBB89_119:                             ;   in Loop: Header=BB89_90 Depth=1
	s_or_b32 exec_lo, exec_lo, s10
	s_and_saveexec_b32 s10, s1
	s_delay_alu instid0(SALU_CYCLE_1)
	s_xor_b32 s1, exec_lo, s10
	s_cbranch_execnz .LBB89_130
.LBB89_120:                             ;   in Loop: Header=BB89_90 Depth=1
	s_or_b32 exec_lo, exec_lo, s1
	s_and_saveexec_b32 s1, s0
.LBB89_121:                             ;   in Loop: Header=BB89_90 Depth=1
	v_mov_b32_e32 v8, s5
.LBB89_122:                             ;   in Loop: Header=BB89_90 Depth=1
	s_or_b32 exec_lo, exec_lo, s1
	s_delay_alu instid0(VALU_DEP_1)
	v_mov_b32_e32 v4, v8
	s_and_not1_b32 vcc_lo, exec_lo, s4
	s_cbranch_vccz .LBB89_103
.LBB89_123:                             ;   in Loop: Header=BB89_90 Depth=1
                                        ; implicit-def: $vgpr8
	s_branch .LBB89_133
.LBB89_124:                             ;   in Loop: Header=BB89_90 Depth=1
	v_lshrrev_b32_e32 v5, 16, v5
	s_and_not1_b32 vcc_lo, exec_lo, s4
	s_cbranch_vccnz .LBB89_142
.LBB89_125:                             ;   in Loop: Header=BB89_90 Depth=1
	s_and_not1_b32 vcc_lo, exec_lo, s3
	s_cbranch_vccnz .LBB89_143
; %bb.126:                              ;   in Loop: Header=BB89_90 Depth=1
	v_dual_mov_b32 v11, s17 :: v_dual_mov_b32 v10, v5
	v_mov_b32_e32 v9, 1
	.p2align	6
.LBB89_127:                             ;   Parent Loop BB89_90 Depth=1
                                        ; =>  This Inner Loop Header: Depth=2
	s_delay_alu instid0(VALU_DEP_2) | instskip(SKIP_2) | instid1(VALU_DEP_3)
	v_and_b32_e32 v13, 1, v11
	v_lshrrev_b16 v12, 15, v11
	v_add_nc_u16 v14, v11, 1
	v_cmp_eq_u32_e32 vcc_lo, 1, v13
	s_delay_alu instid0(VALU_DEP_3) | instskip(SKIP_1) | instid1(VALU_DEP_4)
	v_add_nc_u16 v11, v11, v12
	v_cndmask_b32_e32 v12, 1, v10, vcc_lo
	v_cmp_gt_u16_e32 vcc_lo, 3, v14
	s_delay_alu instid0(VALU_DEP_3) | instskip(SKIP_1) | instid1(VALU_DEP_4)
	v_ashrrev_i16 v11, 1, v11
	v_mul_lo_u16 v10, v10, v10
	v_mul_lo_u16 v9, v12, v9
	s_cbranch_vccz .LBB89_127
	s_branch .LBB89_144
.LBB89_128:                             ;   in Loop: Header=BB89_90 Depth=1
	v_cmp_ne_u16_e32 vcc_lo, 1, v8
	s_and_b32 s1, vcc_lo, exec_lo
	s_and_not1_saveexec_b32 s10, s10
	s_cbranch_execz .LBB89_119
.LBB89_129:                             ;   in Loop: Header=BB89_90 Depth=1
	v_cmp_ne_u16_e32 vcc_lo, -1, v8
	s_and_not1_b32 s1, s1, exec_lo
	s_mov_b32 s0, exec_lo
                                        ; implicit-def: $vgpr8
	s_and_b32 s11, vcc_lo, exec_lo
	s_delay_alu instid0(SALU_CYCLE_1) | instskip(SKIP_2) | instid1(SALU_CYCLE_1)
	s_or_b32 s1, s1, s11
	s_or_b32 exec_lo, exec_lo, s10
	s_and_saveexec_b32 s10, s1
	s_xor_b32 s1, exec_lo, s10
	s_cbranch_execz .LBB89_120
.LBB89_130:                             ;   in Loop: Header=BB89_90 Depth=1
	v_mov_b32_e32 v8, 0
	s_and_not1_b32 s0, s0, exec_lo
	s_or_b32 exec_lo, exec_lo, s1
	s_and_saveexec_b32 s1, s0
	s_cbranch_execnz .LBB89_121
	s_branch .LBB89_122
.LBB89_131:                             ;   in Loop: Header=BB89_90 Depth=1
	v_mov_b32_e32 v8, 1
.LBB89_132:                             ;   in Loop: Header=BB89_90 Depth=1
	s_cbranch_execnz .LBB89_124
.LBB89_133:                             ;   in Loop: Header=BB89_90 Depth=1
	s_mov_b32 s0, 0
	s_mov_b32 s1, 0
	s_mov_b32 s10, exec_lo
	v_cmpx_lt_i16_e32 0, v5
	s_xor_b32 s10, exec_lo, s10
; %bb.134:                              ;   in Loop: Header=BB89_90 Depth=1
	v_cmp_ne_u16_e32 vcc_lo, 1, v5
	s_and_b32 s1, vcc_lo, exec_lo
; %bb.135:                              ;   in Loop: Header=BB89_90 Depth=1
	s_and_not1_saveexec_b32 s10, s10
; %bb.136:                              ;   in Loop: Header=BB89_90 Depth=1
	v_cmp_ne_u16_e32 vcc_lo, -1, v5
	s_and_not1_b32 s1, s1, exec_lo
	s_mov_b32 s0, exec_lo
	s_and_b32 s11, vcc_lo, exec_lo
	s_delay_alu instid0(SALU_CYCLE_1)
	s_or_b32 s1, s1, s11
; %bb.137:                              ;   in Loop: Header=BB89_90 Depth=1
	s_or_b32 exec_lo, exec_lo, s10
	v_mov_b32_e32 v8, v5
	s_and_saveexec_b32 s10, s1
	s_delay_alu instid0(SALU_CYCLE_1)
	s_xor_b32 s1, exec_lo, s10
; %bb.138:                              ;   in Loop: Header=BB89_90 Depth=1
	v_mov_b32_e32 v8, 0
	s_and_not1_b32 s0, s0, exec_lo
; %bb.139:                              ;   in Loop: Header=BB89_90 Depth=1
	s_or_b32 exec_lo, exec_lo, s1
	s_and_saveexec_b32 s1, s0
; %bb.140:                              ;   in Loop: Header=BB89_90 Depth=1
	v_mov_b32_e32 v8, s5
; %bb.141:                              ;   in Loop: Header=BB89_90 Depth=1
	s_or_b32 exec_lo, exec_lo, s1
	v_lshrrev_b32_e32 v5, 16, v5
	s_and_not1_b32 vcc_lo, exec_lo, s4
	s_cbranch_vccz .LBB89_125
.LBB89_142:                             ;   in Loop: Header=BB89_90 Depth=1
                                        ; implicit-def: $vgpr9
	s_branch .LBB89_145
.LBB89_143:                             ;   in Loop: Header=BB89_90 Depth=1
	v_mov_b32_e32 v9, 1
.LBB89_144:                             ;   in Loop: Header=BB89_90 Depth=1
	s_cbranch_execnz .LBB89_89
.LBB89_145:                             ;   in Loop: Header=BB89_90 Depth=1
	s_mov_b32 s0, 0
	s_mov_b32 s1, 0
	s_mov_b32 s10, exec_lo
	v_cmpx_lt_i16_e32 0, v5
	s_xor_b32 s10, exec_lo, s10
	s_cbranch_execnz .LBB89_149
; %bb.146:                              ;   in Loop: Header=BB89_90 Depth=1
	s_and_not1_saveexec_b32 s10, s10
	s_cbranch_execnz .LBB89_150
.LBB89_147:                             ;   in Loop: Header=BB89_90 Depth=1
	s_or_b32 exec_lo, exec_lo, s10
	s_and_saveexec_b32 s10, s1
	s_delay_alu instid0(SALU_CYCLE_1)
	s_xor_b32 s1, exec_lo, s10
	s_cbranch_execnz .LBB89_151
.LBB89_148:                             ;   in Loop: Header=BB89_90 Depth=1
	s_or_b32 exec_lo, exec_lo, s1
	s_and_saveexec_b32 s1, s0
	s_cbranch_execz .LBB89_88
	s_branch .LBB89_152
.LBB89_149:                             ;   in Loop: Header=BB89_90 Depth=1
	v_cmp_ne_u16_e32 vcc_lo, 1, v5
	s_and_b32 s1, vcc_lo, exec_lo
	s_and_not1_saveexec_b32 s10, s10
	s_cbranch_execz .LBB89_147
.LBB89_150:                             ;   in Loop: Header=BB89_90 Depth=1
	v_cmp_ne_u16_e32 vcc_lo, -1, v5
	s_and_not1_b32 s1, s1, exec_lo
	s_mov_b32 s0, exec_lo
                                        ; implicit-def: $vgpr5
	s_and_b32 s11, vcc_lo, exec_lo
	s_delay_alu instid0(SALU_CYCLE_1) | instskip(SKIP_2) | instid1(SALU_CYCLE_1)
	s_or_b32 s1, s1, s11
	s_or_b32 exec_lo, exec_lo, s10
	s_and_saveexec_b32 s10, s1
	s_xor_b32 s1, exec_lo, s10
	s_cbranch_execz .LBB89_148
.LBB89_151:                             ;   in Loop: Header=BB89_90 Depth=1
	v_mov_b32_e32 v5, 0
	s_and_not1_b32 s0, s0, exec_lo
	s_or_b32 exec_lo, exec_lo, s1
	s_and_saveexec_b32 s1, s0
	s_cbranch_execz .LBB89_88
.LBB89_152:                             ;   in Loop: Header=BB89_90 Depth=1
	v_mov_b32_e32 v5, s5
	s_branch .LBB89_88
.LBB89_153:
	s_nop 0
	s_sendmsg sendmsg(MSG_DEALLOC_VGPRS)
	s_endpgm
	.section	.rodata,"a",@progbits
	.p2align	6, 0x0
	.amdhsa_kernel _ZN2at6native12_GLOBAL__N_125multi_tensor_apply_kernelINS1_28TensorListScalarListMetadataIsLi2EEENS1_25BinaryOpScalarListFunctorIsLi2ELi1ELi1EEEJNS1_13power_functorIsEEEEEvT_T0_DpT1_
		.amdhsa_group_segment_fixed_size 0
		.amdhsa_private_segment_fixed_size 0
		.amdhsa_kernarg_size 3528
		.amdhsa_user_sgpr_count 15
		.amdhsa_user_sgpr_dispatch_ptr 0
		.amdhsa_user_sgpr_queue_ptr 0
		.amdhsa_user_sgpr_kernarg_segment_ptr 1
		.amdhsa_user_sgpr_dispatch_id 0
		.amdhsa_user_sgpr_private_segment_size 0
		.amdhsa_wavefront_size32 1
		.amdhsa_uses_dynamic_stack 0
		.amdhsa_enable_private_segment 0
		.amdhsa_system_sgpr_workgroup_id_x 1
		.amdhsa_system_sgpr_workgroup_id_y 0
		.amdhsa_system_sgpr_workgroup_id_z 0
		.amdhsa_system_sgpr_workgroup_info 0
		.amdhsa_system_vgpr_workitem_id 0
		.amdhsa_next_free_vgpr 20
		.amdhsa_next_free_sgpr 28
		.amdhsa_reserve_vcc 1
		.amdhsa_float_round_mode_32 0
		.amdhsa_float_round_mode_16_64 0
		.amdhsa_float_denorm_mode_32 3
		.amdhsa_float_denorm_mode_16_64 3
		.amdhsa_dx10_clamp 1
		.amdhsa_ieee_mode 1
		.amdhsa_fp16_overflow 0
		.amdhsa_workgroup_processor_mode 1
		.amdhsa_memory_ordered 1
		.amdhsa_forward_progress 0
		.amdhsa_shared_vgpr_count 0
		.amdhsa_exception_fp_ieee_invalid_op 0
		.amdhsa_exception_fp_denorm_src 0
		.amdhsa_exception_fp_ieee_div_zero 0
		.amdhsa_exception_fp_ieee_overflow 0
		.amdhsa_exception_fp_ieee_underflow 0
		.amdhsa_exception_fp_ieee_inexact 0
		.amdhsa_exception_int_div_zero 0
	.end_amdhsa_kernel
	.section	.text._ZN2at6native12_GLOBAL__N_125multi_tensor_apply_kernelINS1_28TensorListScalarListMetadataIsLi2EEENS1_25BinaryOpScalarListFunctorIsLi2ELi1ELi1EEEJNS1_13power_functorIsEEEEEvT_T0_DpT1_,"axG",@progbits,_ZN2at6native12_GLOBAL__N_125multi_tensor_apply_kernelINS1_28TensorListScalarListMetadataIsLi2EEENS1_25BinaryOpScalarListFunctorIsLi2ELi1ELi1EEEJNS1_13power_functorIsEEEEEvT_T0_DpT1_,comdat
.Lfunc_end89:
	.size	_ZN2at6native12_GLOBAL__N_125multi_tensor_apply_kernelINS1_28TensorListScalarListMetadataIsLi2EEENS1_25BinaryOpScalarListFunctorIsLi2ELi1ELi1EEEJNS1_13power_functorIsEEEEEvT_T0_DpT1_, .Lfunc_end89-_ZN2at6native12_GLOBAL__N_125multi_tensor_apply_kernelINS1_28TensorListScalarListMetadataIsLi2EEENS1_25BinaryOpScalarListFunctorIsLi2ELi1ELi1EEEJNS1_13power_functorIsEEEEEvT_T0_DpT1_
                                        ; -- End function
	.section	.AMDGPU.csdata,"",@progbits
; Kernel info:
; codeLenInByte = 3492
; NumSgprs: 30
; NumVgprs: 20
; ScratchSize: 0
; MemoryBound: 0
; FloatMode: 240
; IeeeMode: 1
; LDSByteSize: 0 bytes/workgroup (compile time only)
; SGPRBlocks: 3
; VGPRBlocks: 2
; NumSGPRsForWavesPerEU: 30
; NumVGPRsForWavesPerEU: 20
; Occupancy: 16
; WaveLimiterHint : 0
; COMPUTE_PGM_RSRC2:SCRATCH_EN: 0
; COMPUTE_PGM_RSRC2:USER_SGPR: 15
; COMPUTE_PGM_RSRC2:TRAP_HANDLER: 0
; COMPUTE_PGM_RSRC2:TGID_X_EN: 1
; COMPUTE_PGM_RSRC2:TGID_Y_EN: 0
; COMPUTE_PGM_RSRC2:TGID_Z_EN: 0
; COMPUTE_PGM_RSRC2:TIDIG_COMP_CNT: 0
	.section	.text._ZN2at6native12_GLOBAL__N_125multi_tensor_apply_kernelINS1_28TensorListScalarListMetadataIdLi2EEENS1_25BinaryOpScalarListFunctorIdLi2ELi1ELi1EEEJNS1_13power_functorIdEEEEEvT_T0_DpT1_,"axG",@progbits,_ZN2at6native12_GLOBAL__N_125multi_tensor_apply_kernelINS1_28TensorListScalarListMetadataIdLi2EEENS1_25BinaryOpScalarListFunctorIdLi2ELi1ELi1EEEJNS1_13power_functorIdEEEEEvT_T0_DpT1_,comdat
	.globl	_ZN2at6native12_GLOBAL__N_125multi_tensor_apply_kernelINS1_28TensorListScalarListMetadataIdLi2EEENS1_25BinaryOpScalarListFunctorIdLi2ELi1ELi1EEEJNS1_13power_functorIdEEEEEvT_T0_DpT1_ ; -- Begin function _ZN2at6native12_GLOBAL__N_125multi_tensor_apply_kernelINS1_28TensorListScalarListMetadataIdLi2EEENS1_25BinaryOpScalarListFunctorIdLi2ELi1ELi1EEEJNS1_13power_functorIdEEEEEvT_T0_DpT1_
	.p2align	8
	.type	_ZN2at6native12_GLOBAL__N_125multi_tensor_apply_kernelINS1_28TensorListScalarListMetadataIdLi2EEENS1_25BinaryOpScalarListFunctorIdLi2ELi1ELi1EEEJNS1_13power_functorIdEEEEEvT_T0_DpT1_,@function
_ZN2at6native12_GLOBAL__N_125multi_tensor_apply_kernelINS1_28TensorListScalarListMetadataIdLi2EEENS1_25BinaryOpScalarListFunctorIdLi2ELi1ELi1EEEJNS1_13power_functorIdEEEEEvT_T0_DpT1_: ; @_ZN2at6native12_GLOBAL__N_125multi_tensor_apply_kernelINS1_28TensorListScalarListMetadataIdLi2EEENS1_25BinaryOpScalarListFunctorIdLi2ELi1ELi1EEEJNS1_13power_functorIdEEEEEvT_T0_DpT1_
; %bb.0:
	v_mov_b32_e32 v1, s15
	s_add_u32 s2, s0, s15
	s_mul_hi_u32 s3, s15, 3
	s_mul_i32 s15, s15, 3
	s_addc_u32 s4, s1, 0
	global_load_u8 v1, v1, s[0:1] offset:2048
	s_add_u32 s2, s2, s15
	s_addc_u32 s3, s4, s3
	s_mov_b32 s13, 0
	s_load_b32 s6, s[2:3], 0x940
	s_mov_b32 s15, s13
	s_mov_b32 s17, s13
	s_waitcnt vmcnt(0)
	v_readfirstlane_b32 s2, v1
	s_delay_alu instid0(VALU_DEP_1)
	s_lshl_b32 s7, s2, 3
	s_clause 0x3
	s_load_b64 s[2:3], s[0:1], s7 offset:0x0
	s_load_b64 s[24:25], s[0:1], s7 offset:0x600
	;; [unrolled: 1-line block ×4, first 2 shown]
	s_waitcnt lgkmcnt(0)
	s_ashr_i32 s7, s6, 31
	s_delay_alu instid0(SALU_CYCLE_1) | instskip(NEXT) | instid1(SALU_CYCLE_1)
	s_lshl_b64 s[10:11], s[6:7], 19
	s_add_u32 s33, s2, s10
	s_addc_u32 s84, s3, s11
	s_and_b32 s12, s33, 31
	s_add_u32 s85, s4, s10
	s_addc_u32 s86, s5, s11
	s_and_b32 s14, s8, 3
	s_and_b32 s16, s85, 31
	s_or_b64 s[12:13], s[12:13], s[14:15]
	s_lshl_b64 s[6:7], s[6:7], 16
	s_or_b64 s[12:13], s[16:17], s[12:13]
	s_sub_u32 s26, s8, s6
	s_subb_u32 s27, s9, s7
	s_cmp_eq_u64 s[12:13], 0
	s_mov_b32 s6, -1
	s_cbranch_scc1 .LBB90_21
; %bb.1:
	v_cmp_lt_i64_e64 s6, s[26:27], 1
	s_delay_alu instid0(VALU_DEP_1)
	s_and_b32 vcc_lo, exec_lo, s6
	s_cbranch_vccnz .LBB90_20
; %bb.2:
	s_load_b32 s6, s[0:1], 0xe54
	v_dual_mov_b32 v1, 0 :: v_dual_lshlrev_b32 v2, 3, v0
	v_cmp_gt_u64_e64 s7, 0x10000, s[26:27]
	v_mov_b32_e32 v33, 0x3ff00000
	s_mov_b32 s16, 0x55555555
	s_delay_alu instid0(VALU_DEP_3) | instskip(SKIP_1) | instid1(VALU_DEP_1)
	v_mov_b32_e32 v3, v1
	v_add_co_u32 v11, s8, s2, v2
	v_add_co_ci_u32_e64 v12, null, s3, 0, s8
	v_add_co_u32 v13, s8, s4, v2
	s_delay_alu instid0(VALU_DEP_1)
	v_add_co_ci_u32_e64 v14, null, s5, 0, s8
	s_mov_b32 s18, 0xfefa39ef
	s_mov_b32 s20, 0x3b39803f
	;; [unrolled: 1-line block ×5, first 2 shown]
	s_waitcnt lgkmcnt(0)
	s_and_b32 s6, s6, 0xffff
	s_and_b32 s7, s7, exec_lo
	v_mad_u64_u32 v[4:5], null, s6, 24, v[2:3]
	s_cselect_b32 s13, s27, 0
	s_cselect_b32 s12, s26, 0x10000
	s_lshl_b32 s9, s6, 4
	s_lshl_b32 s7, s6, 1
	v_add_co_u32 v2, s9, s9, v2
	s_delay_alu instid0(VALU_DEP_2) | instskip(NEXT) | instid1(VALU_DEP_3)
	v_add_co_u32 v15, vcc_lo, s2, v4
	v_add_co_ci_u32_e32 v16, vcc_lo, s3, v5, vcc_lo
	v_add_co_u32 v17, vcc_lo, s4, v4
	v_add_co_ci_u32_e64 v3, null, 0, 0, s9
	s_mul_i32 s8, s6, 3
	s_lshl_b32 s76, s6, 2
	s_lshl_b32 s77, s6, 5
	v_add_co_u32 v23, s6, v0, s6
	v_add_co_ci_u32_e32 v18, vcc_lo, s5, v5, vcc_lo
	v_add_co_u32 v21, vcc_lo, s2, v2
	v_add_co_ci_u32_e32 v22, vcc_lo, s3, v3, vcc_lo
	v_add_co_u32 v24, vcc_lo, s4, v2
	v_lshlrev_b32_e32 v2, 3, v23
	v_add_co_u32 v19, s8, s8, v0
	v_add_co_ci_u32_e64 v26, null, 0, 0, s6
	s_delay_alu instid0(VALU_DEP_3)
	v_add_co_u32 v29, s2, s2, v2
	v_add_co_u32 v27, s6, s7, v0
	v_add_co_ci_u32_e64 v30, null, s3, 0, s2
	v_add_co_u32 v31, s2, s4, v2
	v_add_co_ci_u32_e64 v20, null, 0, 0, s8
	v_add_co_ci_u32_e32 v25, vcc_lo, s5, v3, vcc_lo
	v_add_co_ci_u32_e64 v28, null, 0, 0, s6
	v_add_co_ci_u32_e64 v32, null, s5, 0, s2
	s_mov_b32 s34, 0x47e6c9c2
	s_mov_b32 s36, 0xcfa74449
	;; [unrolled: 1-line block ×18, first 2 shown]
	s_mov_b64 s[14:15], 0
	s_mov_b32 s17, 0x3fe55555
	s_mov_b32 s19, 0x3fe62e42
	;; [unrolled: 1-line block ×27, first 2 shown]
	s_branch .LBB90_4
.LBB90_3:                               ;   in Loop: Header=BB90_4 Depth=1
	s_or_b32 exec_lo, exec_lo, s7
	v_add_co_u32 v11, vcc_lo, v11, s77
	v_add_co_ci_u32_e32 v12, vcc_lo, 0, v12, vcc_lo
	v_add_co_u32 v13, vcc_lo, v13, s77
	v_add_co_ci_u32_e32 v14, vcc_lo, 0, v14, vcc_lo
	v_add_co_u32 v15, vcc_lo, v15, s77
	v_add_co_ci_u32_e32 v16, vcc_lo, 0, v16, vcc_lo
	v_add_co_u32 v17, vcc_lo, v17, s77
	v_add_co_ci_u32_e32 v18, vcc_lo, 0, v18, vcc_lo
	v_add_co_u32 v21, vcc_lo, v21, s77
	v_add_co_ci_u32_e32 v22, vcc_lo, 0, v22, vcc_lo
	s_add_u32 s14, s14, s76
	v_add_co_u32 v24, vcc_lo, v24, s77
	s_addc_u32 s15, s15, 0
	v_add_co_ci_u32_e32 v25, vcc_lo, 0, v25, vcc_lo
	v_cmp_lt_i64_e64 s2, s[14:15], s[26:27]
	v_cmp_gt_u64_e64 s3, 0x10000, s[14:15]
	v_add_co_u32 v29, vcc_lo, v29, s77
	v_add_co_ci_u32_e32 v30, vcc_lo, 0, v30, vcc_lo
	v_add_co_u32 v31, vcc_lo, v31, s77
	v_add_co_ci_u32_e32 v32, vcc_lo, 0, v32, vcc_lo
	s_and_b32 s2, s2, s3
	s_delay_alu instid0(SALU_CYCLE_1)
	s_and_b32 vcc_lo, exec_lo, s2
	s_cbranch_vccz .LBB90_20
.LBB90_4:                               ; =>This Inner Loop Header: Depth=1
	v_add_co_u32 v2, s2, v0, s14
	s_waitcnt vmcnt(0)
	v_add_co_ci_u32_e64 v3, null, 0, s15, s2
	v_mov_b32_e32 v7, 0
	v_mov_b32_e32 v8, 0
	s_delay_alu instid0(VALU_DEP_3) | instskip(NEXT) | instid1(VALU_DEP_2)
	v_cmp_gt_u64_e64 s4, s[12:13], v[2:3]
	v_dual_mov_b32 v10, v8 :: v_dual_mov_b32 v9, v7
	s_delay_alu instid0(VALU_DEP_2)
	s_and_saveexec_b32 s2, s4
	s_cbranch_execz .LBB90_6
; %bb.5:                                ;   in Loop: Header=BB90_4 Depth=1
	v_add_co_u32 v2, vcc_lo, v11, s10
	v_add_co_ci_u32_e32 v3, vcc_lo, s11, v12, vcc_lo
	global_load_b64 v[9:10], v[2:3], off
.LBB90_6:                               ;   in Loop: Header=BB90_4 Depth=1
	s_or_b32 exec_lo, exec_lo, s2
	v_add_co_u32 v2, vcc_lo, v23, s14
	v_add_co_ci_u32_e32 v3, vcc_lo, s15, v26, vcc_lo
	s_delay_alu instid0(VALU_DEP_1) | instskip(NEXT) | instid1(VALU_DEP_1)
	v_cmp_gt_u64_e64 s3, s[12:13], v[2:3]
	s_and_saveexec_b32 s2, s3
	s_cbranch_execz .LBB90_8
; %bb.7:                                ;   in Loop: Header=BB90_4 Depth=1
	v_add_co_u32 v2, vcc_lo, v29, s10
	v_add_co_ci_u32_e32 v3, vcc_lo, s11, v30, vcc_lo
	global_load_b64 v[7:8], v[2:3], off
.LBB90_8:                               ;   in Loop: Header=BB90_4 Depth=1
	s_or_b32 exec_lo, exec_lo, s2
	v_add_co_u32 v5, vcc_lo, v27, s14
	v_add_co_ci_u32_e32 v6, vcc_lo, s15, v28, vcc_lo
	v_mov_b32_e32 v3, 0
	v_mov_b32_e32 v4, 0
	s_delay_alu instid0(VALU_DEP_3) | instskip(NEXT) | instid1(VALU_DEP_2)
	v_cmp_gt_u64_e64 s2, s[12:13], v[5:6]
	v_dual_mov_b32 v6, v4 :: v_dual_mov_b32 v5, v3
	s_delay_alu instid0(VALU_DEP_2)
	s_and_saveexec_b32 s5, s2
	s_cbranch_execz .LBB90_10
; %bb.9:                                ;   in Loop: Header=BB90_4 Depth=1
	v_add_co_u32 v5, vcc_lo, v21, s10
	v_add_co_ci_u32_e32 v6, vcc_lo, s11, v22, vcc_lo
	global_load_b64 v[5:6], v[5:6], off
.LBB90_10:                              ;   in Loop: Header=BB90_4 Depth=1
	s_or_b32 exec_lo, exec_lo, s5
	v_add_co_u32 v34, vcc_lo, v19, s14
	v_add_co_ci_u32_e32 v35, vcc_lo, s15, v20, vcc_lo
	s_delay_alu instid0(VALU_DEP_1)
	v_cmp_gt_u64_e32 vcc_lo, s[12:13], v[34:35]
	s_and_saveexec_b32 s6, vcc_lo
	s_cbranch_execnz .LBB90_15
; %bb.11:                               ;   in Loop: Header=BB90_4 Depth=1
	s_or_b32 exec_lo, exec_lo, s6
	s_and_saveexec_b32 s78, s4
	s_cbranch_execnz .LBB90_16
.LBB90_12:                              ;   in Loop: Header=BB90_4 Depth=1
	s_or_b32 exec_lo, exec_lo, s78
	s_and_saveexec_b32 s9, s3
	s_cbranch_execnz .LBB90_17
.LBB90_13:                              ;   in Loop: Header=BB90_4 Depth=1
	s_or_b32 exec_lo, exec_lo, s9
	s_and_saveexec_b32 s8, s2
	s_cbranch_execnz .LBB90_18
.LBB90_14:                              ;   in Loop: Header=BB90_4 Depth=1
	s_or_b32 exec_lo, exec_lo, s8
	s_and_saveexec_b32 s7, vcc_lo
	s_cbranch_execz .LBB90_3
	s_branch .LBB90_19
.LBB90_15:                              ;   in Loop: Header=BB90_4 Depth=1
	v_add_co_u32 v2, s5, v15, s10
	s_delay_alu instid0(VALU_DEP_1)
	v_add_co_ci_u32_e64 v3, s5, s11, v16, s5
	global_load_b64 v[3:4], v[2:3], off
	s_or_b32 exec_lo, exec_lo, s6
	s_and_saveexec_b32 s78, s4
	s_cbranch_execz .LBB90_12
.LBB90_16:                              ;   in Loop: Header=BB90_4 Depth=1
	s_waitcnt vmcnt(0)
	v_cmp_eq_f64_e64 s5, 1.0, v[9:10]
	v_and_b32_e32 v2, 0x7fffffff, v10
	s_mov_b32 s70, s16
	s_mov_b32 s72, s18
	;; [unrolled: 1-line block ×3, first 2 shown]
	s_and_b32 s9, s25, 0x7fffffff
	s_delay_alu instid0(VALU_DEP_2) | instskip(SKIP_1) | instid1(VALU_DEP_1)
	v_cndmask_b32_e64 v35, s25, v33, s5
	v_cndmask_b32_e64 v34, s24, 0, s5
	v_cmp_eq_f64_e64 s4, 0, v[34:35]
	s_delay_alu instid0(VALU_DEP_1) | instskip(SKIP_3) | instid1(VALU_DEP_3)
	v_cndmask_b32_e64 v37, v2, 0x3ff00000, s4
	v_cndmask_b32_e64 v36, v9, 0, s4
	;; [unrolled: 1-line block ×4, first 2 shown]
	v_frexp_mant_f64_e32 v[38:39], v[36:37]
	v_frexp_exp_i32_f64_e32 v2, v[36:37]
	s_delay_alu instid0(VALU_DEP_2) | instskip(NEXT) | instid1(VALU_DEP_1)
	v_cmp_gt_f64_e64 s6, s[16:17], v[38:39]
	v_subrev_co_ci_u32_e64 v58, s7, 0, v2, s6
	v_cndmask_b32_e64 v2, 0x3ff00000, 2.0, s6
	s_delay_alu instid0(VALU_DEP_1) | instskip(NEXT) | instid1(VALU_DEP_1)
	v_mul_f64 v[38:39], v[38:39], v[1:2]
	v_add_f64 v[40:41], v[38:39], 1.0
	v_add_f64 v[46:47], v[38:39], -1.0
	s_delay_alu instid0(VALU_DEP_2) | instskip(SKIP_1) | instid1(VALU_DEP_1)
	v_rcp_f64_e32 v[42:43], v[40:41]
	v_add_f64 v[48:49], v[40:41], -1.0
	v_add_f64 v[38:39], v[38:39], -v[48:49]
	s_waitcnt_depctr 0xfff
	v_fma_f64 v[44:45], -v[40:41], v[42:43], 1.0
	s_delay_alu instid0(VALU_DEP_1) | instskip(NEXT) | instid1(VALU_DEP_1)
	v_fma_f64 v[42:43], v[44:45], v[42:43], v[42:43]
	v_fma_f64 v[44:45], -v[40:41], v[42:43], 1.0
	s_delay_alu instid0(VALU_DEP_1) | instskip(NEXT) | instid1(VALU_DEP_1)
	v_fma_f64 v[42:43], v[44:45], v[42:43], v[42:43]
	v_mul_f64 v[44:45], v[46:47], v[42:43]
	s_delay_alu instid0(VALU_DEP_1) | instskip(NEXT) | instid1(VALU_DEP_1)
	v_mul_f64 v[50:51], v[40:41], v[44:45]
	v_fma_f64 v[40:41], v[44:45], v[40:41], -v[50:51]
	s_delay_alu instid0(VALU_DEP_1) | instskip(NEXT) | instid1(VALU_DEP_1)
	v_fma_f64 v[38:39], v[44:45], v[38:39], v[40:41]
	v_add_f64 v[40:41], v[50:51], v[38:39]
	s_delay_alu instid0(VALU_DEP_1) | instskip(SKIP_1) | instid1(VALU_DEP_2)
	v_add_f64 v[48:49], v[46:47], -v[40:41]
	v_add_f64 v[50:51], v[40:41], -v[50:51]
	;; [unrolled: 1-line block ×3, first 2 shown]
	s_delay_alu instid0(VALU_DEP_2) | instskip(NEXT) | instid1(VALU_DEP_2)
	v_add_f64 v[38:39], v[50:51], -v[38:39]
	v_add_f64 v[40:41], v[46:47], -v[40:41]
	s_delay_alu instid0(VALU_DEP_1) | instskip(NEXT) | instid1(VALU_DEP_1)
	v_add_f64 v[38:39], v[38:39], v[40:41]
	v_add_f64 v[38:39], v[48:49], v[38:39]
	s_delay_alu instid0(VALU_DEP_1) | instskip(NEXT) | instid1(VALU_DEP_1)
	v_mul_f64 v[38:39], v[42:43], v[38:39]
	v_add_f64 v[40:41], v[44:45], v[38:39]
	s_delay_alu instid0(VALU_DEP_1) | instskip(SKIP_1) | instid1(VALU_DEP_2)
	v_add_f64 v[42:43], v[40:41], -v[44:45]
	v_mul_f64 v[44:45], v[40:41], v[40:41]
	v_add_f64 v[38:39], v[38:39], -v[42:43]
	s_delay_alu instid0(VALU_DEP_2) | instskip(NEXT) | instid1(VALU_DEP_2)
	v_fma_f64 v[42:43], v[40:41], v[40:41], -v[44:45]
	v_add_f64 v[46:47], v[38:39], v[38:39]
	s_delay_alu instid0(VALU_DEP_1) | instskip(NEXT) | instid1(VALU_DEP_1)
	v_fma_f64 v[42:43], v[40:41], v[46:47], v[42:43]
	v_add_f64 v[46:47], v[44:45], v[42:43]
	s_delay_alu instid0(VALU_DEP_1) | instskip(SKIP_2) | instid1(VALU_DEP_3)
	v_fma_f64 v[48:49], v[46:47], s[28:29], s[22:23]
	v_add_f64 v[44:45], v[46:47], -v[44:45]
	v_mul_f64 v[54:55], v[40:41], v[46:47]
	v_fma_f64 v[48:49], v[46:47], v[48:49], s[30:31]
	s_delay_alu instid0(VALU_DEP_3) | instskip(NEXT) | instid1(VALU_DEP_3)
	v_add_f64 v[42:43], v[42:43], -v[44:45]
	v_fma_f64 v[56:57], v[46:47], v[40:41], -v[54:55]
	s_delay_alu instid0(VALU_DEP_3) | instskip(NEXT) | instid1(VALU_DEP_1)
	v_fma_f64 v[48:49], v[46:47], v[48:49], s[34:35]
	v_fma_f64 v[48:49], v[46:47], v[48:49], s[36:37]
	s_delay_alu instid0(VALU_DEP_1) | instskip(NEXT) | instid1(VALU_DEP_1)
	v_fma_f64 v[48:49], v[46:47], v[48:49], s[38:39]
	v_fma_f64 v[48:49], v[46:47], v[48:49], s[40:41]
	s_delay_alu instid0(VALU_DEP_1) | instskip(NEXT) | instid1(VALU_DEP_1)
	;; [unrolled: 3-line block ×3, first 2 shown]
	v_mul_f64 v[50:51], v[46:47], v[48:49]
	v_fma_f64 v[44:45], v[46:47], v[48:49], -v[50:51]
	v_fma_f64 v[46:47], v[46:47], v[38:39], v[56:57]
	v_ldexp_f64 v[38:39], v[38:39], 1
	s_delay_alu instid0(VALU_DEP_3) | instskip(NEXT) | instid1(VALU_DEP_3)
	v_fma_f64 v[44:45], v[42:43], v[48:49], v[44:45]
	v_fma_f64 v[42:43], v[42:43], v[40:41], v[46:47]
	v_ldexp_f64 v[40:41], v[40:41], 1
	s_delay_alu instid0(VALU_DEP_3) | instskip(NEXT) | instid1(VALU_DEP_1)
	v_add_f64 v[48:49], v[50:51], v[44:45]
	v_add_f64 v[50:51], v[48:49], -v[50:51]
	v_add_f64 v[52:53], v[48:49], s[16:17]
	s_delay_alu instid0(VALU_DEP_2) | instskip(NEXT) | instid1(VALU_DEP_2)
	v_add_f64 v[44:45], v[44:45], -v[50:51]
	v_add_f64 v[50:51], v[52:53], s[70:71]
	s_delay_alu instid0(VALU_DEP_2) | instskip(NEXT) | instid1(VALU_DEP_2)
	v_add_f64 v[44:45], v[44:45], s[46:47]
	v_add_f64 v[48:49], v[48:49], -v[50:51]
	s_delay_alu instid0(VALU_DEP_1) | instskip(SKIP_1) | instid1(VALU_DEP_2)
	v_add_f64 v[44:45], v[44:45], v[48:49]
	v_add_f64 v[48:49], v[54:55], v[42:43]
	;; [unrolled: 1-line block ×3, first 2 shown]
	s_delay_alu instid0(VALU_DEP_2) | instskip(NEXT) | instid1(VALU_DEP_2)
	v_add_f64 v[54:55], v[48:49], -v[54:55]
	v_add_f64 v[50:51], v[52:53], -v[46:47]
	v_mul_f64 v[52:53], v[48:49], v[46:47]
	s_delay_alu instid0(VALU_DEP_3) | instskip(NEXT) | instid1(VALU_DEP_3)
	v_add_f64 v[42:43], v[42:43], -v[54:55]
	v_add_f64 v[44:45], v[44:45], v[50:51]
	s_delay_alu instid0(VALU_DEP_3) | instskip(NEXT) | instid1(VALU_DEP_1)
	v_fma_f64 v[50:51], v[48:49], v[46:47], -v[52:53]
	v_fma_f64 v[44:45], v[48:49], v[44:45], v[50:51]
	s_delay_alu instid0(VALU_DEP_1) | instskip(SKIP_1) | instid1(VALU_DEP_2)
	v_fma_f64 v[42:43], v[42:43], v[46:47], v[44:45]
	v_cvt_f64_i32_e32 v[46:47], v58
	v_add_f64 v[44:45], v[52:53], v[42:43]
	s_delay_alu instid0(VALU_DEP_1) | instskip(SKIP_1) | instid1(VALU_DEP_4)
	v_add_f64 v[48:49], v[44:45], -v[52:53]
	v_add_f64 v[50:51], v[40:41], v[44:45]
	v_mul_f64 v[52:53], v[46:47], s[18:19]
	s_delay_alu instid0(VALU_DEP_3) | instskip(NEXT) | instid1(VALU_DEP_3)
	v_add_f64 v[42:43], v[42:43], -v[48:49]
	v_add_f64 v[40:41], v[50:51], -v[40:41]
	s_delay_alu instid0(VALU_DEP_3) | instskip(NEXT) | instid1(VALU_DEP_3)
	v_fma_f64 v[48:49], v[46:47], s[18:19], -v[52:53]
	v_add_f64 v[38:39], v[38:39], v[42:43]
	s_delay_alu instid0(VALU_DEP_3) | instskip(NEXT) | instid1(VALU_DEP_3)
	v_add_f64 v[40:41], v[44:45], -v[40:41]
	v_fma_f64 v[42:43], v[46:47], s[20:21], v[48:49]
	s_delay_alu instid0(VALU_DEP_2) | instskip(NEXT) | instid1(VALU_DEP_2)
	v_add_f64 v[38:39], v[38:39], v[40:41]
	v_add_f64 v[40:41], v[52:53], v[42:43]
	s_delay_alu instid0(VALU_DEP_2) | instskip(NEXT) | instid1(VALU_DEP_2)
	v_add_f64 v[44:45], v[50:51], v[38:39]
	v_add_f64 v[52:53], v[40:41], -v[52:53]
	s_delay_alu instid0(VALU_DEP_2) | instskip(SKIP_1) | instid1(VALU_DEP_3)
	v_add_f64 v[46:47], v[40:41], v[44:45]
	v_add_f64 v[50:51], v[44:45], -v[50:51]
	v_add_f64 v[42:43], v[42:43], -v[52:53]
	s_delay_alu instid0(VALU_DEP_3) | instskip(NEXT) | instid1(VALU_DEP_3)
	v_add_f64 v[48:49], v[46:47], -v[40:41]
	v_add_f64 v[38:39], v[38:39], -v[50:51]
	s_delay_alu instid0(VALU_DEP_2) | instskip(SKIP_1) | instid1(VALU_DEP_3)
	v_add_f64 v[54:55], v[46:47], -v[48:49]
	v_add_f64 v[44:45], v[44:45], -v[48:49]
	v_add_f64 v[48:49], v[42:43], v[38:39]
	s_delay_alu instid0(VALU_DEP_3) | instskip(NEXT) | instid1(VALU_DEP_1)
	v_add_f64 v[40:41], v[40:41], -v[54:55]
	v_add_f64 v[40:41], v[44:45], v[40:41]
	s_delay_alu instid0(VALU_DEP_3) | instskip(NEXT) | instid1(VALU_DEP_2)
	v_add_f64 v[44:45], v[48:49], -v[42:43]
	v_add_f64 v[40:41], v[48:49], v[40:41]
	s_delay_alu instid0(VALU_DEP_2) | instskip(SKIP_1) | instid1(VALU_DEP_3)
	v_add_f64 v[48:49], v[48:49], -v[44:45]
	v_add_f64 v[38:39], v[38:39], -v[44:45]
	v_add_f64 v[50:51], v[46:47], v[40:41]
	s_delay_alu instid0(VALU_DEP_3) | instskip(NEXT) | instid1(VALU_DEP_2)
	v_add_f64 v[42:43], v[42:43], -v[48:49]
	v_add_f64 v[44:45], v[50:51], -v[46:47]
	s_delay_alu instid0(VALU_DEP_2) | instskip(NEXT) | instid1(VALU_DEP_2)
	v_add_f64 v[38:39], v[38:39], v[42:43]
	v_add_f64 v[40:41], v[40:41], -v[44:45]
	s_delay_alu instid0(VALU_DEP_1) | instskip(NEXT) | instid1(VALU_DEP_1)
	v_add_f64 v[38:39], v[38:39], v[40:41]
	v_add_f64 v[40:41], v[50:51], v[38:39]
	s_delay_alu instid0(VALU_DEP_1) | instskip(SKIP_1) | instid1(VALU_DEP_2)
	v_add_f64 v[42:43], v[40:41], -v[50:51]
	v_mul_f64 v[44:45], v[34:35], v[40:41]
	v_add_f64 v[38:39], v[38:39], -v[42:43]
	s_delay_alu instid0(VALU_DEP_2) | instskip(SKIP_1) | instid1(VALU_DEP_2)
	v_fma_f64 v[40:41], v[34:35], v[40:41], -v[44:45]
	v_cmp_class_f64_e64 s6, v[44:45], 0x204
	v_fma_f64 v[38:39], v[34:35], v[38:39], v[40:41]
	s_delay_alu instid0(VALU_DEP_1) | instskip(NEXT) | instid1(VALU_DEP_1)
	v_add_f64 v[40:41], v[44:45], v[38:39]
	v_cndmask_b32_e64 v43, v41, v45, s6
	s_delay_alu instid0(VALU_DEP_2) | instskip(SKIP_1) | instid1(VALU_DEP_2)
	v_cndmask_b32_e64 v42, v40, v44, s6
	v_add_f64 v[40:41], v[40:41], -v[44:45]
	v_mul_f64 v[46:47], v[42:43], s[48:49]
	v_cmp_lt_f64_e64 s6, 0x40900000, v[42:43]
	v_cmp_neq_f64_e64 s7, 0x7ff00000, |v[42:43]|
	v_cmp_ngt_f64_e64 s8, 0xc090cc00, v[42:43]
	v_add_f64 v[38:39], v[38:39], -v[40:41]
	v_mul_f64 v[40:41], v[34:35], 0.5
	v_rndne_f64_e32 v[46:47], v[46:47]
	s_delay_alu instid0(VALU_DEP_3) | instskip(NEXT) | instid1(VALU_DEP_4)
	v_cndmask_b32_e64 v39, 0, v39, s7
	v_cndmask_b32_e64 v38, 0, v38, s7
	s_delay_alu instid0(VALU_DEP_3) | instskip(SKIP_1) | instid1(VALU_DEP_2)
	v_fma_f64 v[48:49], v[46:47], s[72:73], v[42:43]
	v_cvt_i32_f64_e32 v2, v[46:47]
	v_fma_f64 v[48:49], v[46:47], s[74:75], v[48:49]
	s_delay_alu instid0(VALU_DEP_1) | instskip(NEXT) | instid1(VALU_DEP_1)
	v_fma_f64 v[50:51], v[48:49], s[52:53], s[50:51]
	v_fma_f64 v[50:51], v[48:49], v[50:51], s[54:55]
	s_delay_alu instid0(VALU_DEP_1) | instskip(NEXT) | instid1(VALU_DEP_1)
	v_fma_f64 v[50:51], v[48:49], v[50:51], s[56:57]
	;; [unrolled: 3-line block ×5, first 2 shown]
	v_fma_f64 v[50:51], v[48:49], v[50:51], 1.0
	s_delay_alu instid0(VALU_DEP_1) | instskip(NEXT) | instid1(VALU_DEP_1)
	v_fma_f64 v[46:47], v[48:49], v[50:51], 1.0
	v_ldexp_f64 v[44:45], v[46:47], v2
	s_delay_alu instid0(VALU_DEP_1) | instskip(SKIP_1) | instid1(VALU_DEP_3)
	v_cndmask_b32_e64 v46, v45, 0x7ff00000, s6
	v_and_b32_e32 v45, 0x7fffffff, v45
	v_cndmask_b32_e64 v2, v44, 0, s6
	s_delay_alu instid0(VALU_DEP_3) | instskip(NEXT) | instid1(VALU_DEP_3)
	v_cndmask_b32_e64 v43, 0, v46, s8
	v_cmp_eq_f64_e64 s7, 0x7ff00000, v[44:45]
	v_trunc_f64_e32 v[44:45], v[40:41]
	v_trunc_f64_e32 v[46:47], v[34:35]
	v_cndmask_b32_e64 v42, 0, v2, s8
	s_delay_alu instid0(VALU_DEP_1) | instskip(SKIP_1) | instid1(VALU_DEP_4)
	v_fma_f64 v[38:39], v[42:43], v[38:39], v[42:43]
	s_or_b32 s7, s6, s7
	v_cmp_neq_f64_e64 s6, v[44:45], v[40:41]
	s_and_b32 s7, s8, s7
	s_delay_alu instid0(VALU_DEP_4)
	v_cmp_eq_f64_e64 s8, v[46:47], v[34:35]
	v_cndmask_b32_e64 v41, s9, v33, s5
	v_cndmask_b32_e64 v40, s24, 0, s5
	v_cmp_gt_f64_e64 s9, 1.0, v[36:37]
	v_cndmask_b32_e64 v2, v38, v42, s7
	v_cndmask_b32_e64 v38, v39, v43, s7
	s_delay_alu instid0(VALU_DEP_4)
	v_cmp_neq_f64_e64 s5, v[34:35], v[40:41]
	v_cmp_eq_f64_e64 s7, 0, v[9:10]
	s_and_b32 s6, s8, s6
	v_cndmask_b32_e64 v39, 0, v2, s8
	v_cndmask_b32_e64 v43, 0x3ff00000, v10, s6
	;; [unrolled: 1-line block ×3, first 2 shown]
	v_cmp_gt_f64_e64 s6, 0, v[34:35]
	s_xor_b32 s4, s5, s9
	s_delay_alu instid0(VALU_DEP_3)
	v_bfi_b32 v38, 0x7fffffff, v38, v43
	v_cndmask_b32_e64 v43, v40, 0, s4
	v_cndmask_b32_e64 v44, v41, 0, s4
	v_cmp_eq_f64_e64 s4, 1.0, v[36:37]
	v_cmp_gt_f64_e64 s5, 0, v[9:10]
	v_cndmask_b32_e64 v45, 0x7ff80000, v38, s8
	s_xor_b32 s6, s6, s7
	s_delay_alu instid0(VALU_DEP_3)
	v_cndmask_b32_e64 v44, v44, v37, s4
	v_cndmask_b32_e64 v43, v43, v36, s4
	v_cmp_eq_f64_e64 s4, 0x7ff00000, v[40:41]
	v_cndmask_b32_e64 v38, v38, v45, s5
	v_cndmask_b32_e64 v2, v2, v39, s5
	v_cmp_eq_f64_e64 s5, 0x7ff00000, v[36:37]
	v_cndmask_b32_e64 v36, 0x7ff00000, 0, s6
	s_delay_alu instid0(VALU_DEP_1) | instskip(NEXT) | instid1(VALU_DEP_4)
	v_bfi_b32 v36, 0x7fffffff, v36, v42
	v_cndmask_b32_e64 v2, v2, v43, s4
	v_cndmask_b32_e64 v37, v38, v44, s4
	s_or_b32 s4, s5, s7
	s_delay_alu instid0(VALU_DEP_2) | instid1(SALU_CYCLE_1)
	v_cndmask_b32_e64 v2, v2, 0, s4
	s_delay_alu instid0(VALU_DEP_2) | instskip(SKIP_2) | instid1(VALU_DEP_1)
	v_cndmask_b32_e64 v36, v37, v36, s4
	v_cmp_o_f64_e64 s4, v[9:10], v[34:35]
	v_add_co_u32 v9, s5, v13, s10
	v_add_co_ci_u32_e64 v10, s5, s11, v14, s5
	s_delay_alu instid0(VALU_DEP_3)
	v_cndmask_b32_e64 v34, 0, v2, s4
	v_cndmask_b32_e64 v35, 0x7ff80000, v36, s4
	global_store_b64 v[9:10], v[34:35], off
	s_or_b32 exec_lo, exec_lo, s78
	s_and_saveexec_b32 s9, s3
	s_cbranch_execz .LBB90_13
.LBB90_17:                              ;   in Loop: Header=BB90_4 Depth=1
	s_waitcnt vmcnt(0)
	v_cmp_eq_f64_e64 s4, 1.0, v[7:8]
	v_and_b32_e32 v2, 0x7fffffff, v8
	s_mov_b32 s70, s16
	s_mov_b32 s72, s18
	;; [unrolled: 1-line block ×3, first 2 shown]
	s_and_b32 s8, s25, 0x7fffffff
	s_delay_alu instid0(VALU_DEP_2) | instskip(SKIP_1) | instid1(VALU_DEP_1)
	v_cndmask_b32_e64 v10, s25, v33, s4
	v_cndmask_b32_e64 v9, s24, 0, s4
	v_cmp_eq_f64_e64 s3, 0, v[9:10]
	s_delay_alu instid0(VALU_DEP_1) | instskip(SKIP_3) | instid1(VALU_DEP_3)
	v_cndmask_b32_e64 v35, v2, 0x3ff00000, s3
	v_cndmask_b32_e64 v34, v7, 0, s3
	;; [unrolled: 1-line block ×4, first 2 shown]
	v_frexp_mant_f64_e32 v[36:37], v[34:35]
	s_delay_alu instid0(VALU_DEP_1) | instskip(NEXT) | instid1(VALU_DEP_1)
	v_cmp_gt_f64_e64 s5, s[16:17], v[36:37]
	v_cndmask_b32_e64 v2, 0x3ff00000, 2.0, s5
	s_delay_alu instid0(VALU_DEP_1) | instskip(SKIP_1) | instid1(VALU_DEP_2)
	v_mul_f64 v[36:37], v[36:37], v[1:2]
	v_frexp_exp_i32_f64_e32 v2, v[34:35]
	v_add_f64 v[38:39], v[36:37], 1.0
	v_add_f64 v[44:45], v[36:37], -1.0
	s_delay_alu instid0(VALU_DEP_3) | instskip(NEXT) | instid1(VALU_DEP_3)
	v_subrev_co_ci_u32_e64 v2, s5, 0, v2, s5
	v_rcp_f64_e32 v[40:41], v[38:39]
	v_add_f64 v[46:47], v[38:39], -1.0
	s_delay_alu instid0(VALU_DEP_1) | instskip(SKIP_2) | instid1(VALU_DEP_1)
	v_add_f64 v[36:37], v[36:37], -v[46:47]
	s_waitcnt_depctr 0xfff
	v_fma_f64 v[42:43], -v[38:39], v[40:41], 1.0
	v_fma_f64 v[40:41], v[42:43], v[40:41], v[40:41]
	s_delay_alu instid0(VALU_DEP_1) | instskip(NEXT) | instid1(VALU_DEP_1)
	v_fma_f64 v[42:43], -v[38:39], v[40:41], 1.0
	v_fma_f64 v[40:41], v[42:43], v[40:41], v[40:41]
	s_delay_alu instid0(VALU_DEP_1) | instskip(NEXT) | instid1(VALU_DEP_1)
	v_mul_f64 v[42:43], v[44:45], v[40:41]
	v_mul_f64 v[48:49], v[38:39], v[42:43]
	s_delay_alu instid0(VALU_DEP_1) | instskip(NEXT) | instid1(VALU_DEP_1)
	v_fma_f64 v[38:39], v[42:43], v[38:39], -v[48:49]
	v_fma_f64 v[36:37], v[42:43], v[36:37], v[38:39]
	s_delay_alu instid0(VALU_DEP_1) | instskip(NEXT) | instid1(VALU_DEP_1)
	v_add_f64 v[38:39], v[48:49], v[36:37]
	v_add_f64 v[46:47], v[44:45], -v[38:39]
	v_add_f64 v[48:49], v[38:39], -v[48:49]
	s_delay_alu instid0(VALU_DEP_2) | instskip(NEXT) | instid1(VALU_DEP_2)
	v_add_f64 v[44:45], v[44:45], -v[46:47]
	v_add_f64 v[36:37], v[48:49], -v[36:37]
	s_delay_alu instid0(VALU_DEP_2) | instskip(NEXT) | instid1(VALU_DEP_1)
	v_add_f64 v[38:39], v[44:45], -v[38:39]
	v_add_f64 v[36:37], v[36:37], v[38:39]
	s_delay_alu instid0(VALU_DEP_1) | instskip(NEXT) | instid1(VALU_DEP_1)
	v_add_f64 v[36:37], v[46:47], v[36:37]
	v_mul_f64 v[36:37], v[40:41], v[36:37]
	s_delay_alu instid0(VALU_DEP_1) | instskip(NEXT) | instid1(VALU_DEP_1)
	v_add_f64 v[38:39], v[42:43], v[36:37]
	v_add_f64 v[40:41], v[38:39], -v[42:43]
	v_mul_f64 v[42:43], v[38:39], v[38:39]
	s_delay_alu instid0(VALU_DEP_2) | instskip(NEXT) | instid1(VALU_DEP_2)
	v_add_f64 v[36:37], v[36:37], -v[40:41]
	v_fma_f64 v[40:41], v[38:39], v[38:39], -v[42:43]
	s_delay_alu instid0(VALU_DEP_2) | instskip(NEXT) | instid1(VALU_DEP_1)
	v_add_f64 v[44:45], v[36:37], v[36:37]
	v_fma_f64 v[40:41], v[38:39], v[44:45], v[40:41]
	s_delay_alu instid0(VALU_DEP_1) | instskip(NEXT) | instid1(VALU_DEP_1)
	v_add_f64 v[44:45], v[42:43], v[40:41]
	v_fma_f64 v[46:47], v[44:45], s[28:29], s[22:23]
	v_add_f64 v[42:43], v[44:45], -v[42:43]
	v_mul_f64 v[52:53], v[38:39], v[44:45]
	s_delay_alu instid0(VALU_DEP_3) | instskip(NEXT) | instid1(VALU_DEP_3)
	v_fma_f64 v[46:47], v[44:45], v[46:47], s[30:31]
	v_add_f64 v[40:41], v[40:41], -v[42:43]
	s_delay_alu instid0(VALU_DEP_2) | instskip(NEXT) | instid1(VALU_DEP_1)
	v_fma_f64 v[46:47], v[44:45], v[46:47], s[34:35]
	v_fma_f64 v[46:47], v[44:45], v[46:47], s[36:37]
	s_delay_alu instid0(VALU_DEP_1) | instskip(NEXT) | instid1(VALU_DEP_1)
	v_fma_f64 v[46:47], v[44:45], v[46:47], s[38:39]
	v_fma_f64 v[46:47], v[44:45], v[46:47], s[40:41]
	s_delay_alu instid0(VALU_DEP_1) | instskip(NEXT) | instid1(VALU_DEP_1)
	;; [unrolled: 3-line block ×3, first 2 shown]
	v_mul_f64 v[48:49], v[44:45], v[46:47]
	v_fma_f64 v[42:43], v[44:45], v[46:47], -v[48:49]
	s_delay_alu instid0(VALU_DEP_1) | instskip(NEXT) | instid1(VALU_DEP_1)
	v_fma_f64 v[42:43], v[40:41], v[46:47], v[42:43]
	v_add_f64 v[46:47], v[48:49], v[42:43]
	s_delay_alu instid0(VALU_DEP_1) | instskip(SKIP_1) | instid1(VALU_DEP_2)
	v_add_f64 v[50:51], v[46:47], s[16:17]
	v_add_f64 v[48:49], v[46:47], -v[48:49]
	v_add_f64 v[54:55], v[50:51], s[70:71]
	s_delay_alu instid0(VALU_DEP_2) | instskip(SKIP_1) | instid1(VALU_DEP_3)
	v_add_f64 v[42:43], v[42:43], -v[48:49]
	v_fma_f64 v[48:49], v[44:45], v[38:39], -v[52:53]
	v_add_f64 v[46:47], v[46:47], -v[54:55]
	s_delay_alu instid0(VALU_DEP_3) | instskip(NEXT) | instid1(VALU_DEP_3)
	v_add_f64 v[42:43], v[42:43], s[46:47]
	v_fma_f64 v[44:45], v[44:45], v[36:37], v[48:49]
	v_ldexp_f64 v[36:37], v[36:37], 1
	s_delay_alu instid0(VALU_DEP_3) | instskip(NEXT) | instid1(VALU_DEP_3)
	v_add_f64 v[42:43], v[42:43], v[46:47]
	v_fma_f64 v[40:41], v[40:41], v[38:39], v[44:45]
	v_ldexp_f64 v[38:39], v[38:39], 1
	s_delay_alu instid0(VALU_DEP_3) | instskip(NEXT) | instid1(VALU_DEP_3)
	v_add_f64 v[44:45], v[50:51], v[42:43]
	v_add_f64 v[46:47], v[52:53], v[40:41]
	s_delay_alu instid0(VALU_DEP_2) | instskip(NEXT) | instid1(VALU_DEP_2)
	v_add_f64 v[48:49], v[50:51], -v[44:45]
	v_mul_f64 v[50:51], v[46:47], v[44:45]
	v_add_f64 v[52:53], v[46:47], -v[52:53]
	s_delay_alu instid0(VALU_DEP_3) | instskip(NEXT) | instid1(VALU_DEP_3)
	v_add_f64 v[42:43], v[42:43], v[48:49]
	v_fma_f64 v[48:49], v[46:47], v[44:45], -v[50:51]
	s_delay_alu instid0(VALU_DEP_3) | instskip(NEXT) | instid1(VALU_DEP_2)
	v_add_f64 v[40:41], v[40:41], -v[52:53]
	v_fma_f64 v[42:43], v[46:47], v[42:43], v[48:49]
	s_delay_alu instid0(VALU_DEP_1) | instskip(SKIP_1) | instid1(VALU_DEP_2)
	v_fma_f64 v[40:41], v[40:41], v[44:45], v[42:43]
	v_cvt_f64_i32_e32 v[44:45], v2
	v_add_f64 v[42:43], v[50:51], v[40:41]
	s_delay_alu instid0(VALU_DEP_1) | instskip(SKIP_1) | instid1(VALU_DEP_4)
	v_add_f64 v[46:47], v[38:39], v[42:43]
	v_add_f64 v[48:49], v[42:43], -v[50:51]
	v_mul_f64 v[50:51], v[44:45], s[18:19]
	s_delay_alu instid0(VALU_DEP_3) | instskip(NEXT) | instid1(VALU_DEP_3)
	v_add_f64 v[38:39], v[46:47], -v[38:39]
	v_add_f64 v[40:41], v[40:41], -v[48:49]
	s_delay_alu instid0(VALU_DEP_3) | instskip(NEXT) | instid1(VALU_DEP_3)
	v_fma_f64 v[48:49], v[44:45], s[18:19], -v[50:51]
	v_add_f64 v[38:39], v[42:43], -v[38:39]
	s_delay_alu instid0(VALU_DEP_3) | instskip(NEXT) | instid1(VALU_DEP_3)
	v_add_f64 v[36:37], v[36:37], v[40:41]
	v_fma_f64 v[40:41], v[44:45], s[20:21], v[48:49]
	s_delay_alu instid0(VALU_DEP_2) | instskip(NEXT) | instid1(VALU_DEP_2)
	v_add_f64 v[36:37], v[36:37], v[38:39]
	v_add_f64 v[38:39], v[50:51], v[40:41]
	s_delay_alu instid0(VALU_DEP_2) | instskip(NEXT) | instid1(VALU_DEP_2)
	v_add_f64 v[42:43], v[46:47], v[36:37]
	v_add_f64 v[50:51], v[38:39], -v[50:51]
	s_delay_alu instid0(VALU_DEP_2) | instskip(SKIP_1) | instid1(VALU_DEP_3)
	v_add_f64 v[44:45], v[38:39], v[42:43]
	v_add_f64 v[46:47], v[42:43], -v[46:47]
	v_add_f64 v[40:41], v[40:41], -v[50:51]
	s_delay_alu instid0(VALU_DEP_3) | instskip(NEXT) | instid1(VALU_DEP_3)
	v_add_f64 v[48:49], v[44:45], -v[38:39]
	v_add_f64 v[36:37], v[36:37], -v[46:47]
	s_delay_alu instid0(VALU_DEP_2) | instskip(SKIP_1) | instid1(VALU_DEP_3)
	v_add_f64 v[52:53], v[44:45], -v[48:49]
	v_add_f64 v[42:43], v[42:43], -v[48:49]
	v_add_f64 v[46:47], v[40:41], v[36:37]
	s_delay_alu instid0(VALU_DEP_3) | instskip(NEXT) | instid1(VALU_DEP_1)
	v_add_f64 v[38:39], v[38:39], -v[52:53]
	v_add_f64 v[38:39], v[42:43], v[38:39]
	s_delay_alu instid0(VALU_DEP_3) | instskip(NEXT) | instid1(VALU_DEP_2)
	v_add_f64 v[42:43], v[46:47], -v[40:41]
	v_add_f64 v[38:39], v[46:47], v[38:39]
	s_delay_alu instid0(VALU_DEP_2) | instskip(SKIP_1) | instid1(VALU_DEP_3)
	v_add_f64 v[46:47], v[46:47], -v[42:43]
	v_add_f64 v[36:37], v[36:37], -v[42:43]
	v_add_f64 v[48:49], v[44:45], v[38:39]
	s_delay_alu instid0(VALU_DEP_3) | instskip(NEXT) | instid1(VALU_DEP_2)
	v_add_f64 v[40:41], v[40:41], -v[46:47]
	v_add_f64 v[42:43], v[48:49], -v[44:45]
	s_delay_alu instid0(VALU_DEP_2) | instskip(NEXT) | instid1(VALU_DEP_2)
	v_add_f64 v[36:37], v[36:37], v[40:41]
	v_add_f64 v[38:39], v[38:39], -v[42:43]
	s_delay_alu instid0(VALU_DEP_1) | instskip(NEXT) | instid1(VALU_DEP_1)
	v_add_f64 v[36:37], v[36:37], v[38:39]
	v_add_f64 v[38:39], v[48:49], v[36:37]
	s_delay_alu instid0(VALU_DEP_1) | instskip(SKIP_1) | instid1(VALU_DEP_2)
	v_add_f64 v[40:41], v[38:39], -v[48:49]
	v_mul_f64 v[42:43], v[9:10], v[38:39]
	v_add_f64 v[36:37], v[36:37], -v[40:41]
	s_delay_alu instid0(VALU_DEP_2) | instskip(SKIP_1) | instid1(VALU_DEP_2)
	v_fma_f64 v[38:39], v[9:10], v[38:39], -v[42:43]
	v_cmp_class_f64_e64 s5, v[42:43], 0x204
	v_fma_f64 v[36:37], v[9:10], v[36:37], v[38:39]
	s_delay_alu instid0(VALU_DEP_1) | instskip(NEXT) | instid1(VALU_DEP_1)
	v_add_f64 v[38:39], v[42:43], v[36:37]
	v_cndmask_b32_e64 v41, v39, v43, s5
	s_delay_alu instid0(VALU_DEP_2) | instskip(SKIP_1) | instid1(VALU_DEP_2)
	v_cndmask_b32_e64 v40, v38, v42, s5
	v_add_f64 v[38:39], v[38:39], -v[42:43]
	v_mul_f64 v[44:45], v[40:41], s[48:49]
	v_cmp_lt_f64_e64 s5, 0x40900000, v[40:41]
	v_cmp_neq_f64_e64 s6, 0x7ff00000, |v[40:41]|
	v_cmp_ngt_f64_e64 s7, 0xc090cc00, v[40:41]
	v_add_f64 v[36:37], v[36:37], -v[38:39]
	v_mul_f64 v[38:39], v[9:10], 0.5
	v_rndne_f64_e32 v[44:45], v[44:45]
	s_delay_alu instid0(VALU_DEP_3) | instskip(NEXT) | instid1(VALU_DEP_4)
	v_cndmask_b32_e64 v37, 0, v37, s6
	v_cndmask_b32_e64 v36, 0, v36, s6
	s_delay_alu instid0(VALU_DEP_3) | instskip(SKIP_1) | instid1(VALU_DEP_2)
	v_fma_f64 v[46:47], v[44:45], s[72:73], v[40:41]
	v_cvt_i32_f64_e32 v2, v[44:45]
	v_fma_f64 v[46:47], v[44:45], s[74:75], v[46:47]
	s_delay_alu instid0(VALU_DEP_1) | instskip(NEXT) | instid1(VALU_DEP_1)
	v_fma_f64 v[48:49], v[46:47], s[52:53], s[50:51]
	v_fma_f64 v[48:49], v[46:47], v[48:49], s[54:55]
	s_delay_alu instid0(VALU_DEP_1) | instskip(NEXT) | instid1(VALU_DEP_1)
	v_fma_f64 v[48:49], v[46:47], v[48:49], s[56:57]
	;; [unrolled: 3-line block ×5, first 2 shown]
	v_fma_f64 v[48:49], v[46:47], v[48:49], 1.0
	s_delay_alu instid0(VALU_DEP_1) | instskip(SKIP_2) | instid1(VALU_DEP_3)
	v_fma_f64 v[44:45], v[46:47], v[48:49], 1.0
	v_cndmask_b32_e64 v46, s8, v33, s4
	v_cmp_gt_f64_e64 s8, 1.0, v[34:35]
	v_ldexp_f64 v[42:43], v[44:45], v2
	s_delay_alu instid0(VALU_DEP_1) | instskip(SKIP_1) | instid1(VALU_DEP_3)
	v_cndmask_b32_e64 v44, v43, 0x7ff00000, s5
	v_and_b32_e32 v43, 0x7fffffff, v43
	v_cndmask_b32_e64 v2, v42, 0, s5
	s_delay_alu instid0(VALU_DEP_3) | instskip(NEXT) | instid1(VALU_DEP_3)
	v_cndmask_b32_e64 v41, 0, v44, s7
	v_cmp_eq_f64_e64 s6, 0x7ff00000, v[42:43]
	v_trunc_f64_e32 v[42:43], v[38:39]
	v_trunc_f64_e32 v[44:45], v[9:10]
	v_cndmask_b32_e64 v40, 0, v2, s7
	s_delay_alu instid0(VALU_DEP_1) | instskip(SKIP_1) | instid1(VALU_DEP_4)
	v_fma_f64 v[36:37], v[40:41], v[36:37], v[40:41]
	s_or_b32 s6, s5, s6
	v_cmp_neq_f64_e64 s5, v[42:43], v[38:39]
	s_and_b32 s6, s7, s6
	s_delay_alu instid0(VALU_DEP_4) | instskip(SKIP_1) | instid1(VALU_DEP_4)
	v_cmp_eq_f64_e64 s7, v[44:45], v[9:10]
	v_cndmask_b32_e64 v45, s24, 0, s4
	v_cndmask_b32_e64 v2, v36, v40, s6
	s_delay_alu instid0(VALU_DEP_2)
	v_cmp_neq_f64_e64 s4, v[9:10], v[45:46]
	v_cndmask_b32_e64 v36, v37, v41, s6
	v_cmp_gt_f64_e64 s6, 0, v[9:10]
	s_and_b32 s5, s7, s5
	v_cndmask_b32_e64 v37, 0, v2, s7
	v_cndmask_b32_e64 v38, 0x3ff00000, v8, s5
	s_xor_b32 s3, s4, s8
	s_delay_alu instid0(VALU_DEP_1)
	v_bfi_b32 v36, 0x7fffffff, v36, v38
	v_cndmask_b32_e64 v38, v45, 0, s3
	v_cndmask_b32_e64 v39, v46, 0, s3
	v_cmp_eq_f64_e64 s3, 1.0, v[34:35]
	v_cmp_gt_f64_e64 s4, 0, v[7:8]
	v_cndmask_b32_e64 v40, 0x7ff80000, v36, s7
	v_cmp_eq_f64_e64 s7, 0, v[7:8]
	s_delay_alu instid0(VALU_DEP_4)
	v_cndmask_b32_e64 v39, v39, v35, s3
	v_cndmask_b32_e64 v38, v38, v34, s3
	v_cmp_eq_f64_e64 s3, 0x7ff00000, v[45:46]
	v_cndmask_b32_e64 v36, v36, v40, s4
	v_cndmask_b32_e64 v2, v2, v37, s4
	v_cmp_eq_f64_e64 s4, 0x7ff00000, v[34:35]
	s_xor_b32 s6, s6, s7
	v_cndmask_b32_e64 v35, 0, v8, s5
	v_cndmask_b32_e64 v34, 0x7ff00000, 0, s6
	s_delay_alu instid0(VALU_DEP_1)
	v_bfi_b32 v34, 0x7fffffff, v34, v35
	v_cndmask_b32_e64 v2, v2, v38, s3
	v_cndmask_b32_e64 v35, v36, v39, s3
	s_or_b32 s3, s4, s7
	s_delay_alu instid0(VALU_DEP_2) | instid1(SALU_CYCLE_1)
	v_cndmask_b32_e64 v2, v2, 0, s3
	s_delay_alu instid0(VALU_DEP_2) | instskip(SKIP_1) | instid1(VALU_DEP_1)
	v_cndmask_b32_e64 v34, v35, v34, s3
	v_cmp_o_f64_e64 s3, v[7:8], v[9:10]
	v_cndmask_b32_e64 v7, 0, v2, s3
	s_delay_alu instid0(VALU_DEP_3) | instskip(SKIP_1) | instid1(VALU_DEP_1)
	v_cndmask_b32_e64 v8, 0x7ff80000, v34, s3
	v_add_co_u32 v9, s3, v31, s10
	v_add_co_ci_u32_e64 v10, s3, s11, v32, s3
	global_store_b64 v[9:10], v[7:8], off
	s_or_b32 exec_lo, exec_lo, s9
	s_and_saveexec_b32 s8, s2
	s_cbranch_execz .LBB90_14
.LBB90_18:                              ;   in Loop: Header=BB90_4 Depth=1
	s_waitcnt vmcnt(0)
	v_cmp_eq_f64_e64 s3, 1.0, v[5:6]
	v_and_b32_e32 v2, 0x7fffffff, v6
	s_mov_b32 s70, s16
	s_mov_b32 s72, s18
	;; [unrolled: 1-line block ×3, first 2 shown]
	s_and_b32 s7, s25, 0x7fffffff
	s_delay_alu instid0(VALU_DEP_2) | instskip(SKIP_1) | instid1(VALU_DEP_1)
	v_cndmask_b32_e64 v8, s25, v33, s3
	v_cndmask_b32_e64 v7, s24, 0, s3
	v_cmp_eq_f64_e64 s2, 0, v[7:8]
	s_delay_alu instid0(VALU_DEP_1) | instskip(SKIP_3) | instid1(VALU_DEP_3)
	v_cndmask_b32_e64 v10, v2, 0x3ff00000, s2
	v_cndmask_b32_e64 v9, v5, 0, s2
	;; [unrolled: 1-line block ×4, first 2 shown]
	v_frexp_mant_f64_e32 v[34:35], v[9:10]
	s_delay_alu instid0(VALU_DEP_1) | instskip(NEXT) | instid1(VALU_DEP_1)
	v_cmp_gt_f64_e64 s4, s[16:17], v[34:35]
	v_cndmask_b32_e64 v2, 0x3ff00000, 2.0, s4
	s_delay_alu instid0(VALU_DEP_1) | instskip(SKIP_1) | instid1(VALU_DEP_2)
	v_mul_f64 v[34:35], v[34:35], v[1:2]
	v_frexp_exp_i32_f64_e32 v2, v[9:10]
	v_add_f64 v[36:37], v[34:35], 1.0
	v_add_f64 v[42:43], v[34:35], -1.0
	s_delay_alu instid0(VALU_DEP_3) | instskip(NEXT) | instid1(VALU_DEP_3)
	v_subrev_co_ci_u32_e64 v2, s4, 0, v2, s4
	v_rcp_f64_e32 v[38:39], v[36:37]
	v_add_f64 v[44:45], v[36:37], -1.0
	s_delay_alu instid0(VALU_DEP_1) | instskip(SKIP_2) | instid1(VALU_DEP_1)
	v_add_f64 v[34:35], v[34:35], -v[44:45]
	s_waitcnt_depctr 0xfff
	v_fma_f64 v[40:41], -v[36:37], v[38:39], 1.0
	v_fma_f64 v[38:39], v[40:41], v[38:39], v[38:39]
	s_delay_alu instid0(VALU_DEP_1) | instskip(NEXT) | instid1(VALU_DEP_1)
	v_fma_f64 v[40:41], -v[36:37], v[38:39], 1.0
	v_fma_f64 v[38:39], v[40:41], v[38:39], v[38:39]
	s_delay_alu instid0(VALU_DEP_1) | instskip(NEXT) | instid1(VALU_DEP_1)
	v_mul_f64 v[40:41], v[42:43], v[38:39]
	v_mul_f64 v[46:47], v[36:37], v[40:41]
	s_delay_alu instid0(VALU_DEP_1) | instskip(NEXT) | instid1(VALU_DEP_1)
	v_fma_f64 v[36:37], v[40:41], v[36:37], -v[46:47]
	v_fma_f64 v[34:35], v[40:41], v[34:35], v[36:37]
	s_delay_alu instid0(VALU_DEP_1) | instskip(NEXT) | instid1(VALU_DEP_1)
	v_add_f64 v[36:37], v[46:47], v[34:35]
	v_add_f64 v[44:45], v[42:43], -v[36:37]
	v_add_f64 v[46:47], v[36:37], -v[46:47]
	s_delay_alu instid0(VALU_DEP_2) | instskip(NEXT) | instid1(VALU_DEP_2)
	v_add_f64 v[42:43], v[42:43], -v[44:45]
	v_add_f64 v[34:35], v[46:47], -v[34:35]
	s_delay_alu instid0(VALU_DEP_2) | instskip(NEXT) | instid1(VALU_DEP_1)
	v_add_f64 v[36:37], v[42:43], -v[36:37]
	v_add_f64 v[34:35], v[34:35], v[36:37]
	s_delay_alu instid0(VALU_DEP_1) | instskip(NEXT) | instid1(VALU_DEP_1)
	v_add_f64 v[34:35], v[44:45], v[34:35]
	v_mul_f64 v[34:35], v[38:39], v[34:35]
	s_delay_alu instid0(VALU_DEP_1) | instskip(NEXT) | instid1(VALU_DEP_1)
	v_add_f64 v[36:37], v[40:41], v[34:35]
	v_add_f64 v[38:39], v[36:37], -v[40:41]
	v_mul_f64 v[40:41], v[36:37], v[36:37]
	s_delay_alu instid0(VALU_DEP_2) | instskip(NEXT) | instid1(VALU_DEP_2)
	v_add_f64 v[34:35], v[34:35], -v[38:39]
	v_fma_f64 v[38:39], v[36:37], v[36:37], -v[40:41]
	s_delay_alu instid0(VALU_DEP_2) | instskip(NEXT) | instid1(VALU_DEP_1)
	v_add_f64 v[42:43], v[34:35], v[34:35]
	v_fma_f64 v[38:39], v[36:37], v[42:43], v[38:39]
	s_delay_alu instid0(VALU_DEP_1) | instskip(NEXT) | instid1(VALU_DEP_1)
	v_add_f64 v[42:43], v[40:41], v[38:39]
	v_fma_f64 v[44:45], v[42:43], s[28:29], s[22:23]
	v_add_f64 v[40:41], v[42:43], -v[40:41]
	v_mul_f64 v[50:51], v[36:37], v[42:43]
	s_delay_alu instid0(VALU_DEP_3) | instskip(NEXT) | instid1(VALU_DEP_3)
	v_fma_f64 v[44:45], v[42:43], v[44:45], s[30:31]
	v_add_f64 v[38:39], v[38:39], -v[40:41]
	s_delay_alu instid0(VALU_DEP_2) | instskip(NEXT) | instid1(VALU_DEP_1)
	v_fma_f64 v[44:45], v[42:43], v[44:45], s[34:35]
	v_fma_f64 v[44:45], v[42:43], v[44:45], s[36:37]
	s_delay_alu instid0(VALU_DEP_1) | instskip(NEXT) | instid1(VALU_DEP_1)
	v_fma_f64 v[44:45], v[42:43], v[44:45], s[38:39]
	v_fma_f64 v[44:45], v[42:43], v[44:45], s[40:41]
	s_delay_alu instid0(VALU_DEP_1) | instskip(NEXT) | instid1(VALU_DEP_1)
	v_fma_f64 v[44:45], v[42:43], v[44:45], s[42:43]
	v_fma_f64 v[44:45], v[42:43], v[44:45], s[44:45]
	s_delay_alu instid0(VALU_DEP_1) | instskip(NEXT) | instid1(VALU_DEP_1)
	v_mul_f64 v[46:47], v[42:43], v[44:45]
	v_fma_f64 v[40:41], v[42:43], v[44:45], -v[46:47]
	s_delay_alu instid0(VALU_DEP_1) | instskip(NEXT) | instid1(VALU_DEP_1)
	v_fma_f64 v[40:41], v[38:39], v[44:45], v[40:41]
	v_add_f64 v[44:45], v[46:47], v[40:41]
	s_delay_alu instid0(VALU_DEP_1) | instskip(SKIP_1) | instid1(VALU_DEP_2)
	v_add_f64 v[48:49], v[44:45], s[16:17]
	v_add_f64 v[46:47], v[44:45], -v[46:47]
	v_add_f64 v[52:53], v[48:49], s[70:71]
	s_delay_alu instid0(VALU_DEP_2) | instskip(SKIP_1) | instid1(VALU_DEP_3)
	v_add_f64 v[40:41], v[40:41], -v[46:47]
	v_fma_f64 v[46:47], v[42:43], v[36:37], -v[50:51]
	v_add_f64 v[44:45], v[44:45], -v[52:53]
	s_delay_alu instid0(VALU_DEP_3) | instskip(NEXT) | instid1(VALU_DEP_3)
	v_add_f64 v[40:41], v[40:41], s[46:47]
	v_fma_f64 v[42:43], v[42:43], v[34:35], v[46:47]
	v_ldexp_f64 v[34:35], v[34:35], 1
	s_delay_alu instid0(VALU_DEP_3) | instskip(NEXT) | instid1(VALU_DEP_3)
	v_add_f64 v[40:41], v[40:41], v[44:45]
	v_fma_f64 v[38:39], v[38:39], v[36:37], v[42:43]
	v_ldexp_f64 v[36:37], v[36:37], 1
	s_delay_alu instid0(VALU_DEP_3) | instskip(NEXT) | instid1(VALU_DEP_3)
	v_add_f64 v[42:43], v[48:49], v[40:41]
	v_add_f64 v[44:45], v[50:51], v[38:39]
	s_delay_alu instid0(VALU_DEP_2) | instskip(NEXT) | instid1(VALU_DEP_2)
	v_add_f64 v[46:47], v[48:49], -v[42:43]
	v_mul_f64 v[48:49], v[44:45], v[42:43]
	v_add_f64 v[50:51], v[44:45], -v[50:51]
	s_delay_alu instid0(VALU_DEP_3) | instskip(NEXT) | instid1(VALU_DEP_3)
	v_add_f64 v[40:41], v[40:41], v[46:47]
	v_fma_f64 v[46:47], v[44:45], v[42:43], -v[48:49]
	s_delay_alu instid0(VALU_DEP_3) | instskip(NEXT) | instid1(VALU_DEP_2)
	v_add_f64 v[38:39], v[38:39], -v[50:51]
	v_fma_f64 v[40:41], v[44:45], v[40:41], v[46:47]
	s_delay_alu instid0(VALU_DEP_1) | instskip(SKIP_1) | instid1(VALU_DEP_2)
	v_fma_f64 v[38:39], v[38:39], v[42:43], v[40:41]
	v_cvt_f64_i32_e32 v[42:43], v2
	v_add_f64 v[40:41], v[48:49], v[38:39]
	s_delay_alu instid0(VALU_DEP_1) | instskip(SKIP_1) | instid1(VALU_DEP_4)
	v_add_f64 v[44:45], v[36:37], v[40:41]
	v_add_f64 v[46:47], v[40:41], -v[48:49]
	v_mul_f64 v[48:49], v[42:43], s[18:19]
	s_delay_alu instid0(VALU_DEP_3) | instskip(NEXT) | instid1(VALU_DEP_3)
	v_add_f64 v[36:37], v[44:45], -v[36:37]
	v_add_f64 v[38:39], v[38:39], -v[46:47]
	s_delay_alu instid0(VALU_DEP_3) | instskip(NEXT) | instid1(VALU_DEP_3)
	v_fma_f64 v[46:47], v[42:43], s[18:19], -v[48:49]
	v_add_f64 v[36:37], v[40:41], -v[36:37]
	s_delay_alu instid0(VALU_DEP_3) | instskip(NEXT) | instid1(VALU_DEP_3)
	v_add_f64 v[34:35], v[34:35], v[38:39]
	v_fma_f64 v[38:39], v[42:43], s[20:21], v[46:47]
	s_delay_alu instid0(VALU_DEP_2) | instskip(NEXT) | instid1(VALU_DEP_2)
	v_add_f64 v[34:35], v[34:35], v[36:37]
	v_add_f64 v[36:37], v[48:49], v[38:39]
	s_delay_alu instid0(VALU_DEP_2) | instskip(NEXT) | instid1(VALU_DEP_2)
	v_add_f64 v[40:41], v[44:45], v[34:35]
	v_add_f64 v[48:49], v[36:37], -v[48:49]
	s_delay_alu instid0(VALU_DEP_2) | instskip(SKIP_1) | instid1(VALU_DEP_3)
	v_add_f64 v[42:43], v[36:37], v[40:41]
	v_add_f64 v[44:45], v[40:41], -v[44:45]
	v_add_f64 v[38:39], v[38:39], -v[48:49]
	s_delay_alu instid0(VALU_DEP_3) | instskip(NEXT) | instid1(VALU_DEP_3)
	v_add_f64 v[46:47], v[42:43], -v[36:37]
	v_add_f64 v[34:35], v[34:35], -v[44:45]
	s_delay_alu instid0(VALU_DEP_2) | instskip(SKIP_1) | instid1(VALU_DEP_3)
	v_add_f64 v[50:51], v[42:43], -v[46:47]
	v_add_f64 v[40:41], v[40:41], -v[46:47]
	v_add_f64 v[44:45], v[38:39], v[34:35]
	s_delay_alu instid0(VALU_DEP_3) | instskip(NEXT) | instid1(VALU_DEP_1)
	v_add_f64 v[36:37], v[36:37], -v[50:51]
	v_add_f64 v[36:37], v[40:41], v[36:37]
	s_delay_alu instid0(VALU_DEP_3) | instskip(NEXT) | instid1(VALU_DEP_2)
	v_add_f64 v[40:41], v[44:45], -v[38:39]
	v_add_f64 v[36:37], v[44:45], v[36:37]
	s_delay_alu instid0(VALU_DEP_2) | instskip(SKIP_1) | instid1(VALU_DEP_3)
	v_add_f64 v[44:45], v[44:45], -v[40:41]
	v_add_f64 v[34:35], v[34:35], -v[40:41]
	v_add_f64 v[46:47], v[42:43], v[36:37]
	s_delay_alu instid0(VALU_DEP_3) | instskip(NEXT) | instid1(VALU_DEP_2)
	v_add_f64 v[38:39], v[38:39], -v[44:45]
	v_add_f64 v[40:41], v[46:47], -v[42:43]
	s_delay_alu instid0(VALU_DEP_2) | instskip(NEXT) | instid1(VALU_DEP_2)
	v_add_f64 v[34:35], v[34:35], v[38:39]
	v_add_f64 v[36:37], v[36:37], -v[40:41]
	s_delay_alu instid0(VALU_DEP_1) | instskip(NEXT) | instid1(VALU_DEP_1)
	v_add_f64 v[34:35], v[34:35], v[36:37]
	v_add_f64 v[36:37], v[46:47], v[34:35]
	s_delay_alu instid0(VALU_DEP_1) | instskip(SKIP_1) | instid1(VALU_DEP_2)
	v_add_f64 v[38:39], v[36:37], -v[46:47]
	v_mul_f64 v[40:41], v[7:8], v[36:37]
	v_add_f64 v[34:35], v[34:35], -v[38:39]
	s_delay_alu instid0(VALU_DEP_2) | instskip(SKIP_1) | instid1(VALU_DEP_2)
	v_fma_f64 v[36:37], v[7:8], v[36:37], -v[40:41]
	v_cmp_class_f64_e64 s4, v[40:41], 0x204
	v_fma_f64 v[34:35], v[7:8], v[34:35], v[36:37]
	s_delay_alu instid0(VALU_DEP_1) | instskip(NEXT) | instid1(VALU_DEP_1)
	v_add_f64 v[36:37], v[40:41], v[34:35]
	v_cndmask_b32_e64 v39, v37, v41, s4
	s_delay_alu instid0(VALU_DEP_2) | instskip(SKIP_1) | instid1(VALU_DEP_2)
	v_cndmask_b32_e64 v38, v36, v40, s4
	v_add_f64 v[36:37], v[36:37], -v[40:41]
	v_mul_f64 v[42:43], v[38:39], s[48:49]
	v_cmp_lt_f64_e64 s4, 0x40900000, v[38:39]
	v_cmp_neq_f64_e64 s5, 0x7ff00000, |v[38:39]|
	v_cmp_ngt_f64_e64 s6, 0xc090cc00, v[38:39]
	v_add_f64 v[34:35], v[34:35], -v[36:37]
	v_mul_f64 v[36:37], v[7:8], 0.5
	v_rndne_f64_e32 v[42:43], v[42:43]
	s_delay_alu instid0(VALU_DEP_3) | instskip(NEXT) | instid1(VALU_DEP_4)
	v_cndmask_b32_e64 v35, 0, v35, s5
	v_cndmask_b32_e64 v34, 0, v34, s5
	s_delay_alu instid0(VALU_DEP_3) | instskip(SKIP_1) | instid1(VALU_DEP_2)
	v_fma_f64 v[44:45], v[42:43], s[72:73], v[38:39]
	v_cvt_i32_f64_e32 v2, v[42:43]
	v_fma_f64 v[44:45], v[42:43], s[74:75], v[44:45]
	s_delay_alu instid0(VALU_DEP_1) | instskip(NEXT) | instid1(VALU_DEP_1)
	v_fma_f64 v[46:47], v[44:45], s[52:53], s[50:51]
	v_fma_f64 v[46:47], v[44:45], v[46:47], s[54:55]
	s_delay_alu instid0(VALU_DEP_1) | instskip(NEXT) | instid1(VALU_DEP_1)
	v_fma_f64 v[46:47], v[44:45], v[46:47], s[56:57]
	;; [unrolled: 3-line block ×5, first 2 shown]
	v_fma_f64 v[46:47], v[44:45], v[46:47], 1.0
	s_delay_alu instid0(VALU_DEP_1) | instskip(SKIP_2) | instid1(VALU_DEP_3)
	v_fma_f64 v[42:43], v[44:45], v[46:47], 1.0
	v_cndmask_b32_e64 v44, s7, v33, s3
	v_cmp_gt_f64_e64 s7, 1.0, v[9:10]
	v_ldexp_f64 v[40:41], v[42:43], v2
	s_delay_alu instid0(VALU_DEP_1) | instskip(SKIP_1) | instid1(VALU_DEP_3)
	v_cndmask_b32_e64 v42, v41, 0x7ff00000, s4
	v_and_b32_e32 v41, 0x7fffffff, v41
	v_cndmask_b32_e64 v2, v40, 0, s4
	s_delay_alu instid0(VALU_DEP_3) | instskip(NEXT) | instid1(VALU_DEP_3)
	v_cndmask_b32_e64 v39, 0, v42, s6
	v_cmp_eq_f64_e64 s5, 0x7ff00000, v[40:41]
	v_trunc_f64_e32 v[40:41], v[36:37]
	v_trunc_f64_e32 v[42:43], v[7:8]
	v_cndmask_b32_e64 v38, 0, v2, s6
	s_delay_alu instid0(VALU_DEP_1) | instskip(SKIP_1) | instid1(VALU_DEP_4)
	v_fma_f64 v[34:35], v[38:39], v[34:35], v[38:39]
	s_or_b32 s5, s4, s5
	v_cmp_neq_f64_e64 s4, v[40:41], v[36:37]
	s_and_b32 s5, s6, s5
	s_delay_alu instid0(VALU_DEP_4) | instskip(SKIP_1) | instid1(VALU_DEP_4)
	v_cmp_eq_f64_e64 s6, v[42:43], v[7:8]
	v_cndmask_b32_e64 v43, s24, 0, s3
	v_cndmask_b32_e64 v2, v34, v38, s5
	s_delay_alu instid0(VALU_DEP_2)
	v_cmp_neq_f64_e64 s3, v[7:8], v[43:44]
	v_cndmask_b32_e64 v34, v35, v39, s5
	v_cmp_gt_f64_e64 s5, 0, v[7:8]
	s_and_b32 s4, s6, s4
	v_cndmask_b32_e64 v35, 0, v2, s6
	v_cndmask_b32_e64 v36, 0x3ff00000, v6, s4
	s_xor_b32 s2, s3, s7
	s_delay_alu instid0(VALU_DEP_1)
	v_bfi_b32 v34, 0x7fffffff, v34, v36
	v_cndmask_b32_e64 v36, v43, 0, s2
	v_cndmask_b32_e64 v37, v44, 0, s2
	v_cmp_eq_f64_e64 s2, 1.0, v[9:10]
	v_cmp_gt_f64_e64 s3, 0, v[5:6]
	v_cndmask_b32_e64 v38, 0x7ff80000, v34, s6
	v_cmp_eq_f64_e64 s6, 0, v[5:6]
	s_delay_alu instid0(VALU_DEP_4)
	v_cndmask_b32_e64 v37, v37, v10, s2
	v_cndmask_b32_e64 v36, v36, v9, s2
	v_cmp_eq_f64_e64 s2, 0x7ff00000, v[43:44]
	v_cndmask_b32_e64 v34, v34, v38, s3
	v_cndmask_b32_e64 v2, v2, v35, s3
	v_cmp_eq_f64_e64 s3, 0x7ff00000, v[9:10]
	s_xor_b32 s5, s5, s6
	v_cndmask_b32_e64 v10, 0, v6, s4
	v_cndmask_b32_e64 v9, 0x7ff00000, 0, s5
	s_delay_alu instid0(VALU_DEP_1)
	v_bfi_b32 v9, 0x7fffffff, v9, v10
	v_cndmask_b32_e64 v2, v2, v36, s2
	v_cndmask_b32_e64 v10, v34, v37, s2
	s_or_b32 s2, s3, s6
	s_delay_alu instid0(VALU_DEP_2) | instid1(SALU_CYCLE_1)
	v_cndmask_b32_e64 v2, v2, 0, s2
	s_delay_alu instid0(VALU_DEP_2) | instskip(SKIP_1) | instid1(VALU_DEP_1)
	v_cndmask_b32_e64 v9, v10, v9, s2
	v_cmp_o_f64_e64 s2, v[5:6], v[7:8]
	v_cndmask_b32_e64 v5, 0, v2, s2
	s_delay_alu instid0(VALU_DEP_3) | instskip(SKIP_1) | instid1(VALU_DEP_1)
	v_cndmask_b32_e64 v6, 0x7ff80000, v9, s2
	v_add_co_u32 v7, s2, v24, s10
	v_add_co_ci_u32_e64 v8, s2, s11, v25, s2
	global_store_b64 v[7:8], v[5:6], off
	s_or_b32 exec_lo, exec_lo, s8
	s_and_saveexec_b32 s7, vcc_lo
	s_cbranch_execz .LBB90_3
.LBB90_19:                              ;   in Loop: Header=BB90_4 Depth=1
	s_waitcnt vmcnt(0)
	v_cmp_eq_f64_e64 s2, 1.0, v[3:4]
	v_and_b32_e32 v2, 0x7fffffff, v4
	s_mov_b32 s70, s16
	s_mov_b32 s72, s18
	;; [unrolled: 1-line block ×3, first 2 shown]
	s_and_b32 s6, s25, 0x7fffffff
	s_delay_alu instid0(VALU_DEP_2) | instskip(SKIP_1) | instid1(VALU_DEP_1)
	v_cndmask_b32_e64 v6, s25, v33, s2
	v_cndmask_b32_e64 v5, s24, 0, s2
	v_cmp_eq_f64_e32 vcc_lo, 0, v[5:6]
	v_cndmask_b32_e64 v8, v2, 0x3ff00000, vcc_lo
	v_cndmask_b32_e64 v7, v3, 0, vcc_lo
	;; [unrolled: 1-line block ×4, first 2 shown]
	s_delay_alu instid0(VALU_DEP_3) | instskip(SKIP_1) | instid1(VALU_DEP_2)
	v_frexp_mant_f64_e32 v[9:10], v[7:8]
	v_cmp_eq_f64_e32 vcc_lo, 1.0, v[7:8]
	v_cmp_gt_f64_e64 s3, s[16:17], v[9:10]
	s_delay_alu instid0(VALU_DEP_1) | instskip(NEXT) | instid1(VALU_DEP_1)
	v_cndmask_b32_e64 v2, 0x3ff00000, 2.0, s3
	v_mul_f64 v[9:10], v[9:10], v[1:2]
	v_frexp_exp_i32_f64_e32 v2, v[7:8]
	s_delay_alu instid0(VALU_DEP_2) | instskip(SKIP_1) | instid1(VALU_DEP_3)
	v_add_f64 v[34:35], v[9:10], 1.0
	v_add_f64 v[40:41], v[9:10], -1.0
	v_subrev_co_ci_u32_e64 v2, s3, 0, v2, s3
	s_delay_alu instid0(VALU_DEP_3) | instskip(SKIP_1) | instid1(VALU_DEP_1)
	v_rcp_f64_e32 v[36:37], v[34:35]
	v_add_f64 v[42:43], v[34:35], -1.0
	v_add_f64 v[9:10], v[9:10], -v[42:43]
	s_waitcnt_depctr 0xfff
	v_fma_f64 v[38:39], -v[34:35], v[36:37], 1.0
	s_delay_alu instid0(VALU_DEP_1) | instskip(NEXT) | instid1(VALU_DEP_1)
	v_fma_f64 v[36:37], v[38:39], v[36:37], v[36:37]
	v_fma_f64 v[38:39], -v[34:35], v[36:37], 1.0
	s_delay_alu instid0(VALU_DEP_1) | instskip(NEXT) | instid1(VALU_DEP_1)
	v_fma_f64 v[36:37], v[38:39], v[36:37], v[36:37]
	v_mul_f64 v[38:39], v[40:41], v[36:37]
	s_delay_alu instid0(VALU_DEP_1) | instskip(NEXT) | instid1(VALU_DEP_1)
	v_mul_f64 v[44:45], v[34:35], v[38:39]
	v_fma_f64 v[34:35], v[38:39], v[34:35], -v[44:45]
	s_delay_alu instid0(VALU_DEP_1) | instskip(NEXT) | instid1(VALU_DEP_1)
	v_fma_f64 v[9:10], v[38:39], v[9:10], v[34:35]
	v_add_f64 v[34:35], v[44:45], v[9:10]
	s_delay_alu instid0(VALU_DEP_1) | instskip(SKIP_1) | instid1(VALU_DEP_2)
	v_add_f64 v[42:43], v[40:41], -v[34:35]
	v_add_f64 v[44:45], v[34:35], -v[44:45]
	;; [unrolled: 1-line block ×3, first 2 shown]
	s_delay_alu instid0(VALU_DEP_2) | instskip(NEXT) | instid1(VALU_DEP_2)
	v_add_f64 v[9:10], v[44:45], -v[9:10]
	v_add_f64 v[34:35], v[40:41], -v[34:35]
	s_delay_alu instid0(VALU_DEP_1) | instskip(NEXT) | instid1(VALU_DEP_1)
	v_add_f64 v[9:10], v[9:10], v[34:35]
	v_add_f64 v[9:10], v[42:43], v[9:10]
	s_delay_alu instid0(VALU_DEP_1) | instskip(NEXT) | instid1(VALU_DEP_1)
	v_mul_f64 v[9:10], v[36:37], v[9:10]
	v_add_f64 v[34:35], v[38:39], v[9:10]
	s_delay_alu instid0(VALU_DEP_1) | instskip(SKIP_1) | instid1(VALU_DEP_2)
	v_add_f64 v[36:37], v[34:35], -v[38:39]
	v_mul_f64 v[38:39], v[34:35], v[34:35]
	v_add_f64 v[9:10], v[9:10], -v[36:37]
	s_delay_alu instid0(VALU_DEP_2) | instskip(NEXT) | instid1(VALU_DEP_2)
	v_fma_f64 v[36:37], v[34:35], v[34:35], -v[38:39]
	v_add_f64 v[40:41], v[9:10], v[9:10]
	s_delay_alu instid0(VALU_DEP_1) | instskip(NEXT) | instid1(VALU_DEP_1)
	v_fma_f64 v[36:37], v[34:35], v[40:41], v[36:37]
	v_add_f64 v[40:41], v[38:39], v[36:37]
	s_delay_alu instid0(VALU_DEP_1) | instskip(SKIP_2) | instid1(VALU_DEP_3)
	v_fma_f64 v[42:43], v[40:41], s[28:29], s[22:23]
	v_add_f64 v[38:39], v[40:41], -v[38:39]
	v_mul_f64 v[48:49], v[34:35], v[40:41]
	v_fma_f64 v[42:43], v[40:41], v[42:43], s[30:31]
	s_delay_alu instid0(VALU_DEP_3) | instskip(NEXT) | instid1(VALU_DEP_2)
	v_add_f64 v[36:37], v[36:37], -v[38:39]
	v_fma_f64 v[42:43], v[40:41], v[42:43], s[34:35]
	s_delay_alu instid0(VALU_DEP_1) | instskip(NEXT) | instid1(VALU_DEP_1)
	v_fma_f64 v[42:43], v[40:41], v[42:43], s[36:37]
	v_fma_f64 v[42:43], v[40:41], v[42:43], s[38:39]
	s_delay_alu instid0(VALU_DEP_1) | instskip(NEXT) | instid1(VALU_DEP_1)
	v_fma_f64 v[42:43], v[40:41], v[42:43], s[40:41]
	v_fma_f64 v[42:43], v[40:41], v[42:43], s[42:43]
	s_delay_alu instid0(VALU_DEP_1) | instskip(NEXT) | instid1(VALU_DEP_1)
	v_fma_f64 v[42:43], v[40:41], v[42:43], s[44:45]
	v_mul_f64 v[44:45], v[40:41], v[42:43]
	s_delay_alu instid0(VALU_DEP_1) | instskip(NEXT) | instid1(VALU_DEP_1)
	v_fma_f64 v[38:39], v[40:41], v[42:43], -v[44:45]
	v_fma_f64 v[38:39], v[36:37], v[42:43], v[38:39]
	s_delay_alu instid0(VALU_DEP_1) | instskip(NEXT) | instid1(VALU_DEP_1)
	v_add_f64 v[42:43], v[44:45], v[38:39]
	v_add_f64 v[46:47], v[42:43], s[16:17]
	v_add_f64 v[44:45], v[42:43], -v[44:45]
	s_delay_alu instid0(VALU_DEP_2) | instskip(NEXT) | instid1(VALU_DEP_2)
	v_add_f64 v[50:51], v[46:47], s[70:71]
	v_add_f64 v[38:39], v[38:39], -v[44:45]
	v_fma_f64 v[44:45], v[40:41], v[34:35], -v[48:49]
	s_delay_alu instid0(VALU_DEP_3) | instskip(NEXT) | instid1(VALU_DEP_3)
	v_add_f64 v[42:43], v[42:43], -v[50:51]
	v_add_f64 v[38:39], v[38:39], s[46:47]
	s_delay_alu instid0(VALU_DEP_3) | instskip(SKIP_1) | instid1(VALU_DEP_3)
	v_fma_f64 v[40:41], v[40:41], v[9:10], v[44:45]
	v_ldexp_f64 v[9:10], v[9:10], 1
	v_add_f64 v[38:39], v[38:39], v[42:43]
	s_delay_alu instid0(VALU_DEP_3) | instskip(SKIP_1) | instid1(VALU_DEP_3)
	v_fma_f64 v[36:37], v[36:37], v[34:35], v[40:41]
	v_ldexp_f64 v[34:35], v[34:35], 1
	v_add_f64 v[40:41], v[46:47], v[38:39]
	s_delay_alu instid0(VALU_DEP_3) | instskip(NEXT) | instid1(VALU_DEP_2)
	v_add_f64 v[42:43], v[48:49], v[36:37]
	v_add_f64 v[44:45], v[46:47], -v[40:41]
	s_delay_alu instid0(VALU_DEP_2) | instskip(SKIP_1) | instid1(VALU_DEP_3)
	v_mul_f64 v[46:47], v[42:43], v[40:41]
	v_add_f64 v[48:49], v[42:43], -v[48:49]
	v_add_f64 v[38:39], v[38:39], v[44:45]
	s_delay_alu instid0(VALU_DEP_3) | instskip(NEXT) | instid1(VALU_DEP_3)
	v_fma_f64 v[44:45], v[42:43], v[40:41], -v[46:47]
	v_add_f64 v[36:37], v[36:37], -v[48:49]
	s_delay_alu instid0(VALU_DEP_2) | instskip(NEXT) | instid1(VALU_DEP_1)
	v_fma_f64 v[38:39], v[42:43], v[38:39], v[44:45]
	v_fma_f64 v[36:37], v[36:37], v[40:41], v[38:39]
	v_cvt_f64_i32_e32 v[40:41], v2
	s_delay_alu instid0(VALU_DEP_2) | instskip(NEXT) | instid1(VALU_DEP_1)
	v_add_f64 v[38:39], v[46:47], v[36:37]
	v_add_f64 v[42:43], v[34:35], v[38:39]
	v_add_f64 v[44:45], v[38:39], -v[46:47]
	s_delay_alu instid0(VALU_DEP_4) | instskip(NEXT) | instid1(VALU_DEP_3)
	v_mul_f64 v[46:47], v[40:41], s[18:19]
	v_add_f64 v[34:35], v[42:43], -v[34:35]
	s_delay_alu instid0(VALU_DEP_3) | instskip(NEXT) | instid1(VALU_DEP_3)
	v_add_f64 v[36:37], v[36:37], -v[44:45]
	v_fma_f64 v[44:45], v[40:41], s[18:19], -v[46:47]
	s_delay_alu instid0(VALU_DEP_3) | instskip(NEXT) | instid1(VALU_DEP_3)
	v_add_f64 v[34:35], v[38:39], -v[34:35]
	v_add_f64 v[9:10], v[9:10], v[36:37]
	s_delay_alu instid0(VALU_DEP_3) | instskip(NEXT) | instid1(VALU_DEP_2)
	v_fma_f64 v[36:37], v[40:41], s[20:21], v[44:45]
	v_add_f64 v[9:10], v[9:10], v[34:35]
	s_delay_alu instid0(VALU_DEP_2) | instskip(NEXT) | instid1(VALU_DEP_2)
	v_add_f64 v[34:35], v[46:47], v[36:37]
	v_add_f64 v[38:39], v[42:43], v[9:10]
	s_delay_alu instid0(VALU_DEP_2) | instskip(NEXT) | instid1(VALU_DEP_2)
	v_add_f64 v[46:47], v[34:35], -v[46:47]
	v_add_f64 v[40:41], v[34:35], v[38:39]
	v_add_f64 v[42:43], v[38:39], -v[42:43]
	s_delay_alu instid0(VALU_DEP_3) | instskip(NEXT) | instid1(VALU_DEP_3)
	v_add_f64 v[36:37], v[36:37], -v[46:47]
	v_add_f64 v[44:45], v[40:41], -v[34:35]
	s_delay_alu instid0(VALU_DEP_3) | instskip(NEXT) | instid1(VALU_DEP_2)
	v_add_f64 v[9:10], v[9:10], -v[42:43]
	v_add_f64 v[48:49], v[40:41], -v[44:45]
	v_add_f64 v[38:39], v[38:39], -v[44:45]
	s_delay_alu instid0(VALU_DEP_3) | instskip(NEXT) | instid1(VALU_DEP_3)
	v_add_f64 v[42:43], v[36:37], v[9:10]
	v_add_f64 v[34:35], v[34:35], -v[48:49]
	s_delay_alu instid0(VALU_DEP_1) | instskip(NEXT) | instid1(VALU_DEP_3)
	v_add_f64 v[34:35], v[38:39], v[34:35]
	v_add_f64 v[38:39], v[42:43], -v[36:37]
	s_delay_alu instid0(VALU_DEP_2) | instskip(NEXT) | instid1(VALU_DEP_2)
	v_add_f64 v[34:35], v[42:43], v[34:35]
	v_add_f64 v[42:43], v[42:43], -v[38:39]
	v_add_f64 v[9:10], v[9:10], -v[38:39]
	s_delay_alu instid0(VALU_DEP_3) | instskip(NEXT) | instid1(VALU_DEP_3)
	v_add_f64 v[44:45], v[40:41], v[34:35]
	v_add_f64 v[36:37], v[36:37], -v[42:43]
	s_delay_alu instid0(VALU_DEP_2) | instskip(NEXT) | instid1(VALU_DEP_2)
	v_add_f64 v[38:39], v[44:45], -v[40:41]
	v_add_f64 v[9:10], v[9:10], v[36:37]
	s_delay_alu instid0(VALU_DEP_2) | instskip(NEXT) | instid1(VALU_DEP_1)
	v_add_f64 v[34:35], v[34:35], -v[38:39]
	v_add_f64 v[9:10], v[9:10], v[34:35]
	s_delay_alu instid0(VALU_DEP_1) | instskip(NEXT) | instid1(VALU_DEP_1)
	v_add_f64 v[34:35], v[44:45], v[9:10]
	v_add_f64 v[36:37], v[34:35], -v[44:45]
	v_mul_f64 v[38:39], v[5:6], v[34:35]
	s_delay_alu instid0(VALU_DEP_2) | instskip(NEXT) | instid1(VALU_DEP_2)
	v_add_f64 v[9:10], v[9:10], -v[36:37]
	v_fma_f64 v[34:35], v[5:6], v[34:35], -v[38:39]
	v_cmp_class_f64_e64 s3, v[38:39], 0x204
	s_delay_alu instid0(VALU_DEP_2) | instskip(NEXT) | instid1(VALU_DEP_1)
	v_fma_f64 v[9:10], v[5:6], v[9:10], v[34:35]
	v_add_f64 v[34:35], v[38:39], v[9:10]
	s_delay_alu instid0(VALU_DEP_1) | instskip(NEXT) | instid1(VALU_DEP_2)
	v_cndmask_b32_e64 v37, v35, v39, s3
	v_cndmask_b32_e64 v36, v34, v38, s3
	v_add_f64 v[34:35], v[34:35], -v[38:39]
	s_delay_alu instid0(VALU_DEP_2)
	v_mul_f64 v[40:41], v[36:37], s[48:49]
	v_cmp_lt_f64_e64 s3, 0x40900000, v[36:37]
	v_cmp_neq_f64_e64 s4, 0x7ff00000, |v[36:37]|
	v_cmp_ngt_f64_e64 s5, 0xc090cc00, v[36:37]
	v_add_f64 v[9:10], v[9:10], -v[34:35]
	v_mul_f64 v[34:35], v[5:6], 0.5
	v_rndne_f64_e32 v[40:41], v[40:41]
	s_delay_alu instid0(VALU_DEP_3) | instskip(NEXT) | instid1(VALU_DEP_4)
	v_cndmask_b32_e64 v10, 0, v10, s4
	v_cndmask_b32_e64 v9, 0, v9, s4
	s_delay_alu instid0(VALU_DEP_3) | instskip(SKIP_1) | instid1(VALU_DEP_2)
	v_fma_f64 v[42:43], v[40:41], s[72:73], v[36:37]
	v_cvt_i32_f64_e32 v2, v[40:41]
	v_fma_f64 v[42:43], v[40:41], s[74:75], v[42:43]
	s_delay_alu instid0(VALU_DEP_1) | instskip(NEXT) | instid1(VALU_DEP_1)
	v_fma_f64 v[44:45], v[42:43], s[52:53], s[50:51]
	v_fma_f64 v[44:45], v[42:43], v[44:45], s[54:55]
	s_delay_alu instid0(VALU_DEP_1) | instskip(NEXT) | instid1(VALU_DEP_1)
	v_fma_f64 v[44:45], v[42:43], v[44:45], s[56:57]
	;; [unrolled: 3-line block ×5, first 2 shown]
	v_fma_f64 v[44:45], v[42:43], v[44:45], 1.0
	s_delay_alu instid0(VALU_DEP_1) | instskip(SKIP_2) | instid1(VALU_DEP_3)
	v_fma_f64 v[40:41], v[42:43], v[44:45], 1.0
	v_cndmask_b32_e64 v42, s6, v33, s2
	v_cmp_gt_f64_e64 s6, 1.0, v[7:8]
	v_ldexp_f64 v[38:39], v[40:41], v2
	s_delay_alu instid0(VALU_DEP_1) | instskip(SKIP_1) | instid1(VALU_DEP_3)
	v_cndmask_b32_e64 v40, v39, 0x7ff00000, s3
	v_and_b32_e32 v39, 0x7fffffff, v39
	v_cndmask_b32_e64 v2, v38, 0, s3
	s_delay_alu instid0(VALU_DEP_3) | instskip(NEXT) | instid1(VALU_DEP_3)
	v_cndmask_b32_e64 v37, 0, v40, s5
	v_cmp_eq_f64_e64 s4, 0x7ff00000, v[38:39]
	v_trunc_f64_e32 v[38:39], v[34:35]
	v_trunc_f64_e32 v[40:41], v[5:6]
	v_cndmask_b32_e64 v36, 0, v2, s5
	s_delay_alu instid0(VALU_DEP_1) | instskip(SKIP_1) | instid1(VALU_DEP_4)
	v_fma_f64 v[9:10], v[36:37], v[9:10], v[36:37]
	s_or_b32 s4, s3, s4
	v_cmp_neq_f64_e64 s3, v[38:39], v[34:35]
	s_and_b32 s4, s5, s4
	s_delay_alu instid0(VALU_DEP_4) | instskip(SKIP_1) | instid1(VALU_DEP_4)
	v_cmp_eq_f64_e64 s5, v[40:41], v[5:6]
	v_cndmask_b32_e64 v41, s24, 0, s2
	v_cndmask_b32_e64 v2, v9, v36, s4
	s_delay_alu instid0(VALU_DEP_2)
	v_cmp_neq_f64_e64 s2, v[5:6], v[41:42]
	v_cndmask_b32_e64 v9, v10, v37, s4
	v_cmp_gt_f64_e64 s4, 0, v[5:6]
	s_and_b32 s3, s5, s3
	v_cndmask_b32_e64 v10, 0, v2, s5
	v_cndmask_b32_e64 v34, 0x3ff00000, v4, s3
	s_xor_b32 s2, s2, s6
	s_delay_alu instid0(VALU_DEP_1) | instskip(SKIP_3) | instid1(VALU_DEP_4)
	v_bfi_b32 v9, 0x7fffffff, v9, v34
	v_cndmask_b32_e64 v34, v41, 0, s2
	v_cndmask_b32_e64 v35, v42, 0, s2
	v_cmp_gt_f64_e64 s2, 0, v[3:4]
	v_cndmask_b32_e64 v36, 0x7ff80000, v9, s5
	v_cmp_eq_f64_e64 s5, 0, v[3:4]
	s_delay_alu instid0(VALU_DEP_4) | instskip(SKIP_1) | instid1(VALU_DEP_4)
	v_dual_cndmask_b32 v35, v35, v8 :: v_dual_cndmask_b32 v34, v34, v7
	v_cmp_eq_f64_e32 vcc_lo, 0x7ff00000, v[41:42]
	v_cndmask_b32_e64 v9, v9, v36, s2
	v_cndmask_b32_e64 v2, v2, v10, s2
	v_cmp_eq_f64_e64 s2, 0x7ff00000, v[7:8]
	s_xor_b32 s4, s4, s5
	v_cndmask_b32_e64 v8, 0, v4, s3
	v_cndmask_b32_e64 v7, 0x7ff00000, 0, s4
	v_cndmask_b32_e32 v2, v2, v34, vcc_lo
	s_delay_alu instid0(VALU_DEP_2) | instskip(SKIP_2) | instid1(VALU_DEP_1)
	v_bfi_b32 v7, 0x7fffffff, v7, v8
	v_cndmask_b32_e32 v8, v9, v35, vcc_lo
	s_or_b32 vcc_lo, s2, s5
	v_cndmask_b32_e32 v7, v8, v7, vcc_lo
	v_cndmask_b32_e64 v2, v2, 0, vcc_lo
	v_cmp_o_f64_e32 vcc_lo, v[3:4], v[5:6]
	s_delay_alu instid0(VALU_DEP_2) | instskip(NEXT) | instid1(VALU_DEP_4)
	v_cndmask_b32_e32 v2, 0, v2, vcc_lo
	v_cndmask_b32_e32 v3, 0x7ff80000, v7, vcc_lo
	v_add_co_u32 v4, vcc_lo, v17, s10
	v_add_co_ci_u32_e32 v5, vcc_lo, s11, v18, vcc_lo
	global_store_b64 v[4:5], v[2:3], off
	s_branch .LBB90_3
.LBB90_20:
	s_mov_b32 s6, 0
.LBB90_21:
	s_delay_alu instid0(SALU_CYCLE_1)
	s_and_not1_b32 vcc_lo, exec_lo, s6
	s_cbranch_vccnz .LBB90_25
; %bb.22:
	s_waitcnt vmcnt(0)
	v_dual_mov_b32 v8, 0 :: v_dual_lshlrev_b32 v1, 2, v0
	s_mov_b32 s87, 0
	s_mov_b32 s2, exec_lo
	s_delay_alu instid0(VALU_DEP_1) | instskip(NEXT) | instid1(VALU_DEP_1)
	v_mov_b32_e32 v2, v8
	v_cmpx_gt_i64_e64 s[26:27], v[1:2]
	s_cbranch_execz .LBB90_25
; %bb.23:
	s_load_b32 s0, s[0:1], 0xe54
	v_dual_mov_b32 v11, v8 :: v_dual_lshlrev_b32 v36, 5, v0
	v_mov_b32_e32 v37, 0x3ff00000
	s_mov_b32 s28, 0x55555555
	s_mov_b32 s30, 0x968915a9
	;; [unrolled: 1-line block ×16, first 2 shown]
	s_waitcnt lgkmcnt(0)
	s_and_b32 s0, s0, 0xffff
	s_mov_b32 s66, 0x623fde64
	v_add_lshl_u32 v10, v0, s0, 2
	s_mov_b32 s68, 0x7c89e6b0
	s_mov_b32 s70, 0x14761f6e
	;; [unrolled: 1-line block ×14, first 2 shown]
	s_lshl_b32 s88, s0, 2
	s_lshl_b32 s89, s0, 5
	s_mov_b32 s45, 0x3fcc71c7
	s_mov_b32 s47, 0x3fd24924
	s_mov_b32 s49, 0x3fd99999
	s_mov_b32 s51, 0x3fe62e42
	s_mov_b32 s53, 0x3c7abc9e
	s_mov_b32 s55, 0xbfe55555
	s_mov_b32 s54, s28
	s_mov_b32 s57, 0x3c8543b0
	s_mov_b32 s59, 0x3ff71547
	s_mov_b32 s61, 0xbfe62e42
	s_mov_b32 s63, 0x3e928af3
	s_mov_b32 s65, 0x3e5ade15
	s_mov_b32 s67, 0x3ec71dee
	s_mov_b32 s69, 0x3efa0199
	s_mov_b32 s71, 0x3f2a01a0
	s_mov_b32 s73, 0x3f56c16c
	s_mov_b32 s75, 0x3f811111
	s_mov_b32 s77, 0x3fa55555
	s_mov_b32 s79, 0x3fc55555
	s_mov_b32 s81, 0x3fe00000
	s_mov_b32 s60, s50
	s_mov_b32 s83, 0xbc7abc9e
	s_mov_b32 s82, s52
	s_and_b32 s90, s25, 0x7fffffff
.LBB90_24:                              ; =>This Inner Loop Header: Depth=1
	v_add_co_u32 v0, s0, s33, v36
	s_delay_alu instid0(VALU_DEP_1)
	v_add_co_ci_u32_e64 v1, null, s84, 0, s0
	s_clause 0x1
	global_load_b128 v[4:7], v[0:1], off
	global_load_b128 v[0:3], v[0:1], off offset:16
	s_waitcnt vmcnt(1)
	v_cmp_eq_f64_e32 vcc_lo, 1.0, v[4:5]
	v_cmp_eq_f64_e64 s0, 1.0, v[6:7]
	s_waitcnt vmcnt(0)
	v_cmp_eq_f64_e64 s1, 1.0, v[0:1]
	v_cmp_eq_f64_e64 s2, 1.0, v[2:3]
	v_and_b32_e32 v30, 0x7fffffff, v7
	v_and_b32_e32 v32, 0x7fffffff, v1
	;; [unrolled: 1-line block ×3, first 2 shown]
	v_cndmask_b32_e32 v19, s25, v37, vcc_lo
	v_cndmask_b32_e64 v17, s25, v37, s0
	v_cndmask_b32_e64 v18, s24, 0, vcc_lo
	v_cndmask_b32_e64 v16, s24, 0, s0
	v_cndmask_b32_e64 v15, s25, v37, s1
	;; [unrolled: 1-line block ×3, first 2 shown]
	v_cndmask_b32_e32 v21, s90, v37, vcc_lo
	v_cndmask_b32_e64 v20, s24, 0, vcc_lo
	v_cndmask_b32_e64 v23, s90, v37, s0
	v_cndmask_b32_e64 v22, s24, 0, s0
	;; [unrolled: 1-line block ×4, first 2 shown]
	v_cmp_eq_f64_e32 vcc_lo, 0, v[18:19]
	v_cmp_eq_f64_e64 s0, 0, v[16:17]
	v_cndmask_b32_e64 v25, s90, v37, s1
	v_cndmask_b32_e64 v24, s24, 0, s1
	v_cndmask_b32_e64 v29, s90, v37, s2
	v_cndmask_b32_e64 v28, s24, 0, s2
	v_cmp_eq_f64_e64 s1, 0, v[14:15]
	v_cmp_eq_f64_e64 s2, 0, v[12:13]
	v_mul_f64 v[40:41], v[16:17], 0.5
	v_cmp_neq_f64_e64 s7, v[14:15], v[24:25]
	v_cmp_neq_f64_e64 s9, v[12:13], v[28:29]
	v_cmp_gt_f64_e64 s8, 0, v[14:15]
	v_cmp_gt_f64_e64 s10, 0, v[12:13]
	v_cndmask_b32_e64 v26, v4, 0, vcc_lo
	v_cndmask_b32_e64 v6, v6, 0, s0
	v_and_b32_e32 v9, 0x7fffffff, v5
	v_cndmask_b32_e64 v27, v5, 0x3ff00000, vcc_lo
	v_cndmask_b32_e64 v31, v30, 0x3ff00000, s0
	v_cndmask_b32_e64 v7, v7, 0x3ff00000, s0
	v_mov_b32_e32 v30, v6
	v_cndmask_b32_e64 v5, v1, 0x3ff00000, s1
	v_cndmask_b32_e64 v1, v3, 0x3ff00000, s2
	v_cndmask_b32_e64 v3, v9, 0x3ff00000, vcc_lo
	v_cndmask_b32_e64 v4, v0, 0, s1
	v_cndmask_b32_e64 v0, v2, 0, s2
	v_mov_b32_e32 v2, v26
	v_mul_f64 v[38:39], v[18:19], 0.5
	v_cndmask_b32_e64 v33, v32, 0x3ff00000, s1
	v_mov_b32_e32 v32, v4
	v_frexp_mant_f64_e32 v[52:53], v[30:31]
	v_frexp_mant_f64_e32 v[46:47], v[2:3]
	v_cndmask_b32_e64 v35, v34, 0x3ff00000, s2
	v_mov_b32_e32 v34, v0
	v_frexp_mant_f64_e32 v[48:49], v[32:33]
	v_trunc_f64_e32 v[44:45], v[40:41]
	v_cmp_neq_f64_e64 s2, v[18:19], v[20:21]
	v_cmp_gt_f64_e64 s15, 1.0, v[2:3]
	v_frexp_mant_f64_e32 v[50:51], v[34:35]
	v_cmp_gt_f64_e64 s17, 1.0, v[30:31]
	v_cmp_gt_f64_e64 s19, 1.0, v[34:35]
	;; [unrolled: 1-line block ×3, first 2 shown]
	v_cmp_gt_f64_e64 s1, 0, v[18:19]
	v_cmp_eq_f64_e64 s11, 0, v[26:27]
	v_cmp_eq_f64_e64 s12, 0, v[6:7]
	v_cmp_eq_f64_e64 s13, 0, v[4:5]
	v_cmp_eq_f64_e64 s14, 0, v[0:1]
	v_cmp_eq_f64_e64 s16, 0x7ff00000, v[2:3]
	v_trunc_f64_e32 v[42:43], v[38:39]
	v_cmp_gt_f64_e64 s6, s[28:29], v[52:53]
	v_cmp_gt_f64_e64 s3, s[28:29], v[46:47]
	;; [unrolled: 1-line block ×3, first 2 shown]
	v_cmp_neq_f64_e32 vcc_lo, v[44:45], v[40:41]
	s_xor_b32 s91, s2, s15
	v_cmp_gt_f64_e64 s5, s[28:29], v[50:51]
	s_xor_b32 s94, s9, s19
	s_xor_b32 s93, s7, s18
	;; [unrolled: 1-line block ×4, first 2 shown]
	v_cmp_neq_f64_e64 s0, v[42:43], v[38:39]
	v_cndmask_b32_e64 v9, 0x3ff00000, 2.0, s3
	s_delay_alu instid0(VALU_DEP_1) | instskip(SKIP_1) | instid1(VALU_DEP_1)
	v_mul_f64 v[38:39], v[46:47], v[8:9]
	v_cndmask_b32_e64 v9, 0x3ff00000, 2.0, s6
	v_mul_f64 v[40:41], v[52:53], v[8:9]
	v_cndmask_b32_e64 v9, 0x3ff00000, 2.0, s4
	s_delay_alu instid0(VALU_DEP_1) | instskip(SKIP_1) | instid1(VALU_DEP_1)
	v_mul_f64 v[42:43], v[48:49], v[8:9]
	v_cndmask_b32_e64 v9, 0x3ff00000, 2.0, s5
	v_mul_f64 v[44:45], v[50:51], v[8:9]
	v_frexp_exp_i32_f64_e32 v9, v[2:3]
	v_add_f64 v[46:47], v[38:39], 1.0
	v_add_f64 v[48:49], v[38:39], -1.0
	v_add_f64 v[52:53], v[40:41], 1.0
	v_add_f64 v[50:51], v[40:41], -1.0
	;; [unrolled: 2-line block ×4, first 2 shown]
	v_subrev_co_ci_u32_e64 v9, s3, 0, v9, s3
	v_rcp_f64_e32 v[62:63], v[46:47]
	v_add_f64 v[64:65], v[46:47], -1.0
	v_rcp_f64_e32 v[66:67], v[52:53]
	v_add_f64 v[68:69], v[52:53], -1.0
	;; [unrolled: 2-line block ×4, first 2 shown]
	s_delay_alu instid0(VALU_DEP_4) | instskip(SKIP_2) | instid1(TRANS32_DEP_3)
	v_add_f64 v[38:39], v[38:39], -v[64:65]
	v_fma_f64 v[64:65], -v[46:47], v[62:63], 1.0
	v_add_f64 v[40:41], v[40:41], -v[68:69]
	v_fma_f64 v[68:69], -v[52:53], v[66:67], 1.0
	v_add_f64 v[42:43], v[42:43], -v[72:73]
	s_delay_alu instid0(TRANS32_DEP_2) | instskip(SKIP_1) | instid1(TRANS32_DEP_1)
	v_fma_f64 v[72:73], -v[56:57], v[70:71], 1.0
	v_add_f64 v[44:45], v[44:45], -v[76:77]
	v_fma_f64 v[76:77], -v[60:61], v[74:75], 1.0
	v_fma_f64 v[62:63], v[64:65], v[62:63], v[62:63]
	v_fma_f64 v[64:65], v[68:69], v[66:67], v[66:67]
	v_fma_f64 v[66:67], v[72:73], v[70:71], v[70:71]
	s_delay_alu instid0(VALU_DEP_4) | instskip(NEXT) | instid1(VALU_DEP_4)
	v_fma_f64 v[68:69], v[76:77], v[74:75], v[74:75]
	v_fma_f64 v[70:71], -v[46:47], v[62:63], 1.0
	s_delay_alu instid0(VALU_DEP_4) | instskip(NEXT) | instid1(VALU_DEP_4)
	v_fma_f64 v[72:73], -v[52:53], v[64:65], 1.0
	v_fma_f64 v[74:75], -v[56:57], v[66:67], 1.0
	s_delay_alu instid0(VALU_DEP_4) | instskip(NEXT) | instid1(VALU_DEP_4)
	v_fma_f64 v[76:77], -v[60:61], v[68:69], 1.0
	v_fma_f64 v[62:63], v[70:71], v[62:63], v[62:63]
	s_delay_alu instid0(VALU_DEP_4) | instskip(NEXT) | instid1(VALU_DEP_4)
	v_fma_f64 v[64:65], v[72:73], v[64:65], v[64:65]
	v_fma_f64 v[66:67], v[74:75], v[66:67], v[66:67]
	s_delay_alu instid0(VALU_DEP_4) | instskip(NEXT) | instid1(VALU_DEP_4)
	v_fma_f64 v[68:69], v[76:77], v[68:69], v[68:69]
	v_mul_f64 v[70:71], v[48:49], v[62:63]
	s_delay_alu instid0(VALU_DEP_4) | instskip(NEXT) | instid1(VALU_DEP_4)
	v_mul_f64 v[72:73], v[50:51], v[64:65]
	v_mul_f64 v[74:75], v[54:55], v[66:67]
	s_delay_alu instid0(VALU_DEP_4) | instskip(NEXT) | instid1(VALU_DEP_4)
	v_mul_f64 v[76:77], v[58:59], v[68:69]
	;; [unrolled: 3-line block ×4, first 2 shown]
	v_fma_f64 v[46:47], v[70:71], v[46:47], -v[78:79]
	s_delay_alu instid0(VALU_DEP_4) | instskip(NEXT) | instid1(VALU_DEP_4)
	v_fma_f64 v[52:53], v[72:73], v[52:53], -v[80:81]
	v_fma_f64 v[56:57], v[74:75], v[56:57], -v[82:83]
	s_delay_alu instid0(VALU_DEP_4) | instskip(NEXT) | instid1(VALU_DEP_4)
	v_fma_f64 v[60:61], v[76:77], v[60:61], -v[84:85]
	v_fma_f64 v[38:39], v[70:71], v[38:39], v[46:47]
	s_delay_alu instid0(VALU_DEP_4) | instskip(NEXT) | instid1(VALU_DEP_4)
	v_fma_f64 v[40:41], v[72:73], v[40:41], v[52:53]
	v_fma_f64 v[42:43], v[74:75], v[42:43], v[56:57]
	s_delay_alu instid0(VALU_DEP_4) | instskip(NEXT) | instid1(VALU_DEP_4)
	v_fma_f64 v[44:45], v[76:77], v[44:45], v[60:61]
	v_add_f64 v[46:47], v[78:79], v[38:39]
	s_delay_alu instid0(VALU_DEP_4) | instskip(NEXT) | instid1(VALU_DEP_4)
	v_add_f64 v[52:53], v[80:81], v[40:41]
	v_add_f64 v[56:57], v[82:83], v[42:43]
	s_delay_alu instid0(VALU_DEP_4) | instskip(NEXT) | instid1(VALU_DEP_4)
	v_add_f64 v[60:61], v[84:85], v[44:45]
	v_add_f64 v[78:79], v[46:47], -v[78:79]
	v_add_f64 v[86:87], v[48:49], -v[46:47]
	;; [unrolled: 1-line block ×19, first 2 shown]
	s_delay_alu instid0(VALU_DEP_4) | instskip(NEXT) | instid1(VALU_DEP_4)
	v_add_f64 v[52:53], v[58:59], -v[60:61]
	v_add_f64 v[38:39], v[38:39], v[46:47]
	s_delay_alu instid0(VALU_DEP_4) | instskip(NEXT) | instid1(VALU_DEP_4)
	v_add_f64 v[40:41], v[40:41], v[48:49]
	v_add_f64 v[42:43], v[42:43], v[50:51]
	s_delay_alu instid0(VALU_DEP_4) | instskip(NEXT) | instid1(VALU_DEP_4)
	v_add_f64 v[44:45], v[44:45], v[52:53]
	;; [unrolled: 3-line block ×4, first 2 shown]
	v_mul_f64 v[38:39], v[62:63], v[38:39]
	s_delay_alu instid0(VALU_DEP_4) | instskip(NEXT) | instid1(VALU_DEP_4)
	v_mul_f64 v[40:41], v[64:65], v[40:41]
	v_mul_f64 v[42:43], v[66:67], v[42:43]
	s_delay_alu instid0(VALU_DEP_4) | instskip(NEXT) | instid1(VALU_DEP_4)
	v_mul_f64 v[44:45], v[68:69], v[44:45]
	v_add_f64 v[46:47], v[70:71], v[38:39]
	s_delay_alu instid0(VALU_DEP_4) | instskip(NEXT) | instid1(VALU_DEP_4)
	v_add_f64 v[48:49], v[72:73], v[40:41]
	v_add_f64 v[50:51], v[74:75], v[42:43]
	s_delay_alu instid0(VALU_DEP_4) | instskip(NEXT) | instid1(VALU_DEP_4)
	v_add_f64 v[52:53], v[76:77], v[44:45]
	v_add_f64 v[54:55], v[46:47], -v[70:71]
	v_mul_f64 v[56:57], v[46:47], v[46:47]
	v_add_f64 v[58:59], v[48:49], -v[72:73]
	v_mul_f64 v[60:61], v[48:49], v[48:49]
	v_add_f64 v[62:63], v[50:51], -v[74:75]
	v_mul_f64 v[64:65], v[50:51], v[50:51]
	v_add_f64 v[66:67], v[52:53], -v[76:77]
	v_add_f64 v[38:39], v[38:39], -v[54:55]
	v_mul_f64 v[68:69], v[52:53], v[52:53]
	v_fma_f64 v[54:55], v[46:47], v[46:47], -v[56:57]
	v_add_f64 v[40:41], v[40:41], -v[58:59]
	v_fma_f64 v[58:59], v[48:49], v[48:49], -v[60:61]
	v_add_f64 v[42:43], v[42:43], -v[62:63]
	;; [unrolled: 2-line block ×3, first 2 shown]
	v_add_f64 v[70:71], v[38:39], v[38:39]
	v_fma_f64 v[66:67], v[52:53], v[52:53], -v[68:69]
	v_add_f64 v[72:73], v[40:41], v[40:41]
	v_add_f64 v[74:75], v[42:43], v[42:43]
	;; [unrolled: 1-line block ×3, first 2 shown]
	v_fma_f64 v[54:55], v[46:47], v[70:71], v[54:55]
	s_delay_alu instid0(VALU_DEP_4) | instskip(NEXT) | instid1(VALU_DEP_4)
	v_fma_f64 v[58:59], v[48:49], v[72:73], v[58:59]
	v_fma_f64 v[62:63], v[50:51], v[74:75], v[62:63]
	s_delay_alu instid0(VALU_DEP_4) | instskip(NEXT) | instid1(VALU_DEP_4)
	v_fma_f64 v[66:67], v[52:53], v[76:77], v[66:67]
	v_add_f64 v[70:71], v[56:57], v[54:55]
	s_delay_alu instid0(VALU_DEP_4) | instskip(NEXT) | instid1(VALU_DEP_4)
	v_add_f64 v[72:73], v[60:61], v[58:59]
	v_add_f64 v[74:75], v[64:65], v[62:63]
	s_delay_alu instid0(VALU_DEP_4) | instskip(NEXT) | instid1(VALU_DEP_4)
	v_add_f64 v[76:77], v[68:69], v[66:67]
	v_fma_f64 v[78:79], v[70:71], s[34:35], s[30:31]
	v_mul_f64 v[80:81], v[46:47], v[70:71]
	v_add_f64 v[56:57], v[70:71], -v[56:57]
	v_add_f64 v[60:61], v[72:73], -v[60:61]
	v_fma_f64 v[82:83], v[72:73], s[34:35], s[30:31]
	v_mul_f64 v[84:85], v[48:49], v[72:73]
	v_add_f64 v[64:65], v[74:75], -v[64:65]
	v_fma_f64 v[86:87], v[74:75], s[34:35], s[30:31]
	v_mul_f64 v[88:89], v[50:51], v[74:75]
	v_add_f64 v[68:69], v[76:77], -v[68:69]
	v_fma_f64 v[78:79], v[70:71], v[78:79], s[36:37]
	v_fma_f64 v[90:91], v[76:77], s[34:35], s[30:31]
	v_add_f64 v[54:55], v[54:55], -v[56:57]
	v_mul_f64 v[56:57], v[52:53], v[76:77]
	v_add_f64 v[58:59], v[58:59], -v[60:61]
	v_fma_f64 v[60:61], v[70:71], v[46:47], -v[80:81]
	v_fma_f64 v[82:83], v[72:73], v[82:83], s[36:37]
	v_add_f64 v[62:63], v[62:63], -v[64:65]
	v_fma_f64 v[64:65], v[72:73], v[48:49], -v[84:85]
	v_fma_f64 v[86:87], v[74:75], v[86:87], s[36:37]
	v_add_f64 v[66:67], v[66:67], -v[68:69]
	v_fma_f64 v[68:69], v[70:71], v[78:79], s[38:39]
	v_fma_f64 v[90:91], v[76:77], v[90:91], s[36:37]
	;; [unrolled: 1-line block ×4, first 2 shown]
	v_ldexp_f64 v[38:39], v[38:39], 1
	v_fma_f64 v[64:65], v[72:73], v[40:41], v[64:65]
	v_fma_f64 v[86:87], v[74:75], v[86:87], s[38:39]
	v_ldexp_f64 v[40:41], v[40:41], 1
	v_fma_f64 v[68:69], v[70:71], v[68:69], s[40:41]
	v_fma_f64 v[90:91], v[76:77], v[90:91], s[38:39]
	s_delay_alu instid0(VALU_DEP_2) | instskip(NEXT) | instid1(VALU_DEP_1)
	v_fma_f64 v[68:69], v[70:71], v[68:69], s[42:43]
	v_fma_f64 v[68:69], v[70:71], v[68:69], s[44:45]
	s_delay_alu instid0(VALU_DEP_1) | instskip(NEXT) | instid1(VALU_DEP_1)
	v_fma_f64 v[68:69], v[70:71], v[68:69], s[46:47]
	v_fma_f64 v[68:69], v[70:71], v[68:69], s[48:49]
	s_delay_alu instid0(VALU_DEP_1) | instskip(NEXT) | instid1(VALU_DEP_1)
	v_mul_f64 v[78:79], v[70:71], v[68:69]
	v_fma_f64 v[70:71], v[70:71], v[68:69], -v[78:79]
	s_delay_alu instid0(VALU_DEP_1) | instskip(SKIP_4) | instid1(VALU_DEP_3)
	v_fma_f64 v[68:69], v[54:55], v[68:69], v[70:71]
	v_fma_f64 v[54:55], v[54:55], v[46:47], v[60:61]
	;; [unrolled: 1-line block ×3, first 2 shown]
	v_fma_f64 v[70:71], v[74:75], v[50:51], -v[88:89]
	v_ldexp_f64 v[46:47], v[46:47], 1
	v_fma_f64 v[60:61], v[72:73], v[60:61], s[42:43]
	s_delay_alu instid0(VALU_DEP_3) | instskip(SKIP_1) | instid1(VALU_DEP_3)
	v_fma_f64 v[70:71], v[74:75], v[42:43], v[70:71]
	v_ldexp_f64 v[42:43], v[42:43], 1
	v_fma_f64 v[60:61], v[72:73], v[60:61], s[44:45]
	s_delay_alu instid0(VALU_DEP_3) | instskip(SKIP_1) | instid1(VALU_DEP_3)
	v_fma_f64 v[70:71], v[62:63], v[50:51], v[70:71]
	v_ldexp_f64 v[50:51], v[50:51], 1
	v_fma_f64 v[60:61], v[72:73], v[60:61], s[46:47]
	s_delay_alu instid0(VALU_DEP_1) | instskip(NEXT) | instid1(VALU_DEP_1)
	v_fma_f64 v[60:61], v[72:73], v[60:61], s[48:49]
	v_mul_f64 v[82:83], v[72:73], v[60:61]
	s_delay_alu instid0(VALU_DEP_1) | instskip(NEXT) | instid1(VALU_DEP_1)
	v_fma_f64 v[72:73], v[72:73], v[60:61], -v[82:83]
	v_fma_f64 v[60:61], v[58:59], v[60:61], v[72:73]
	v_fma_f64 v[58:59], v[58:59], v[48:49], v[64:65]
	;; [unrolled: 1-line block ×4, first 2 shown]
	v_add_f64 v[90:91], v[80:81], v[54:55]
	v_fma_f64 v[72:73], v[76:77], v[52:53], -v[56:57]
	v_ldexp_f64 v[48:49], v[48:49], 1
	v_fma_f64 v[64:65], v[74:75], v[64:65], s[42:43]
	v_fma_f64 v[86:87], v[76:77], v[86:87], s[42:43]
	v_add_f64 v[80:81], v[90:91], -v[80:81]
	v_fma_f64 v[72:73], v[76:77], v[44:45], v[72:73]
	v_ldexp_f64 v[44:45], v[44:45], 1
	v_fma_f64 v[64:65], v[74:75], v[64:65], s[44:45]
	v_fma_f64 v[86:87], v[76:77], v[86:87], s[44:45]
	v_add_f64 v[54:55], v[54:55], -v[80:81]
	v_fma_f64 v[72:73], v[66:67], v[52:53], v[72:73]
	v_ldexp_f64 v[52:53], v[52:53], 1
	v_fma_f64 v[64:65], v[74:75], v[64:65], s[46:47]
	v_fma_f64 v[80:81], v[76:77], v[86:87], s[46:47]
	s_delay_alu instid0(VALU_DEP_2) | instskip(NEXT) | instid1(VALU_DEP_2)
	v_fma_f64 v[64:65], v[74:75], v[64:65], s[48:49]
	v_fma_f64 v[80:81], v[76:77], v[80:81], s[48:49]
	s_delay_alu instid0(VALU_DEP_2) | instskip(NEXT) | instid1(VALU_DEP_1)
	v_mul_f64 v[86:87], v[74:75], v[64:65]
	v_fma_f64 v[74:75], v[74:75], v[64:65], -v[86:87]
	s_delay_alu instid0(VALU_DEP_1) | instskip(NEXT) | instid1(VALU_DEP_4)
	v_fma_f64 v[62:63], v[62:63], v[64:65], v[74:75]
	v_mul_f64 v[64:65], v[76:77], v[80:81]
	s_delay_alu instid0(VALU_DEP_1) | instskip(SKIP_1) | instid1(VALU_DEP_2)
	v_fma_f64 v[74:75], v[76:77], v[80:81], -v[64:65]
	v_add_f64 v[76:77], v[82:83], v[60:61]
	v_fma_f64 v[66:67], v[66:67], v[80:81], v[74:75]
	v_add_f64 v[74:75], v[78:79], v[68:69]
	s_delay_alu instid0(VALU_DEP_3) | instskip(NEXT) | instid1(VALU_DEP_2)
	v_add_f64 v[82:83], v[76:77], -v[82:83]
	v_add_f64 v[78:79], v[74:75], -v[78:79]
	v_add_f64 v[80:81], v[74:75], s[28:29]
	s_delay_alu instid0(VALU_DEP_3) | instskip(NEXT) | instid1(VALU_DEP_3)
	v_add_f64 v[60:61], v[60:61], -v[82:83]
	v_add_f64 v[68:69], v[68:69], -v[78:79]
	s_delay_alu instid0(VALU_DEP_3) | instskip(SKIP_1) | instid1(VALU_DEP_4)
	v_add_f64 v[82:83], v[80:81], s[54:55]
	v_add_f64 v[78:79], v[76:77], s[28:29]
	v_add_f64 v[60:61], v[60:61], s[56:57]
	s_delay_alu instid0(VALU_DEP_4) | instskip(NEXT) | instid1(VALU_DEP_4)
	v_add_f64 v[68:69], v[68:69], s[56:57]
	v_add_f64 v[74:75], v[74:75], -v[82:83]
	s_delay_alu instid0(VALU_DEP_4) | instskip(NEXT) | instid1(VALU_DEP_2)
	v_add_f64 v[82:83], v[78:79], s[54:55]
	v_add_f64 v[68:69], v[68:69], v[74:75]
	s_delay_alu instid0(VALU_DEP_2) | instskip(SKIP_1) | instid1(VALU_DEP_3)
	v_add_f64 v[76:77], v[76:77], -v[82:83]
	v_add_f64 v[82:83], v[84:85], v[58:59]
	v_add_f64 v[74:75], v[80:81], v[68:69]
	s_delay_alu instid0(VALU_DEP_3) | instskip(NEXT) | instid1(VALU_DEP_3)
	v_add_f64 v[60:61], v[60:61], v[76:77]
	v_add_f64 v[84:85], v[82:83], -v[84:85]
	s_delay_alu instid0(VALU_DEP_3) | instskip(SKIP_1) | instid1(VALU_DEP_3)
	v_add_f64 v[76:77], v[80:81], -v[74:75]
	v_mul_f64 v[80:81], v[90:91], v[74:75]
	v_add_f64 v[58:59], v[58:59], -v[84:85]
	v_frexp_exp_i32_f64_e32 v84, v[32:33]
	v_frexp_exp_i32_f64_e32 v85, v[34:35]
	v_add_f64 v[68:69], v[68:69], v[76:77]
	v_fma_f64 v[76:77], v[90:91], v[74:75], -v[80:81]
	s_delay_alu instid0(VALU_DEP_3) | instskip(NEXT) | instid1(VALU_DEP_2)
	v_subrev_co_ci_u32_e64 v92, s3, 0, v85, s5
	v_fma_f64 v[68:69], v[90:91], v[68:69], v[76:77]
	v_add_f64 v[76:77], v[78:79], v[60:61]
	s_delay_alu instid0(VALU_DEP_2) | instskip(NEXT) | instid1(VALU_DEP_2)
	v_fma_f64 v[54:55], v[54:55], v[74:75], v[68:69]
	v_add_f64 v[78:79], v[78:79], -v[76:77]
	v_mul_f64 v[90:91], v[82:83], v[76:77]
	s_delay_alu instid0(VALU_DEP_2) | instskip(NEXT) | instid1(VALU_DEP_2)
	v_add_f64 v[60:61], v[60:61], v[78:79]
	v_fma_f64 v[78:79], v[82:83], v[76:77], -v[90:91]
	s_delay_alu instid0(VALU_DEP_1) | instskip(SKIP_1) | instid1(VALU_DEP_2)
	v_fma_f64 v[60:61], v[82:83], v[60:61], v[78:79]
	v_add_f64 v[78:79], v[86:87], v[62:63]
	v_fma_f64 v[58:59], v[58:59], v[76:77], v[60:61]
	s_delay_alu instid0(VALU_DEP_2) | instskip(SKIP_2) | instid1(VALU_DEP_3)
	v_add_f64 v[82:83], v[78:79], -v[86:87]
	v_add_f64 v[86:87], v[78:79], s[28:29]
	v_add_f64 v[60:61], v[64:65], v[66:67]
	v_add_f64 v[62:63], v[62:63], -v[82:83]
	s_delay_alu instid0(VALU_DEP_3) | instskip(NEXT) | instid1(VALU_DEP_3)
	v_add_f64 v[82:83], v[86:87], s[54:55]
	v_add_f64 v[64:65], v[60:61], -v[64:65]
	v_add_f64 v[76:77], v[60:61], s[28:29]
	s_delay_alu instid0(VALU_DEP_4) | instskip(NEXT) | instid1(VALU_DEP_4)
	v_add_f64 v[62:63], v[62:63], s[56:57]
	v_add_f64 v[78:79], v[78:79], -v[82:83]
	s_delay_alu instid0(VALU_DEP_4) | instskip(NEXT) | instid1(VALU_DEP_4)
	v_add_f64 v[64:65], v[66:67], -v[64:65]
	v_add_f64 v[66:67], v[76:77], s[54:55]
	v_trunc_f64_e32 v[82:83], v[18:19]
	s_delay_alu instid0(VALU_DEP_4) | instskip(SKIP_1) | instid1(VALU_DEP_4)
	v_add_f64 v[62:63], v[62:63], v[78:79]
	v_add_f64 v[78:79], v[88:89], v[70:71]
	v_add_f64 v[60:61], v[60:61], -v[66:67]
	v_add_f64 v[64:65], v[64:65], s[56:57]
	s_delay_alu instid0(VALU_DEP_4) | instskip(NEXT) | instid1(VALU_DEP_2)
	v_add_f64 v[68:69], v[86:87], v[62:63]
	v_add_f64 v[60:61], v[64:65], v[60:61]
	;; [unrolled: 1-line block ×3, first 2 shown]
	s_delay_alu instid0(VALU_DEP_3) | instskip(SKIP_1) | instid1(VALU_DEP_3)
	v_add_f64 v[74:75], v[86:87], -v[68:69]
	v_mul_f64 v[86:87], v[78:79], v[68:69]
	v_add_f64 v[56:57], v[64:65], -v[56:57]
	s_delay_alu instid0(VALU_DEP_3) | instskip(NEXT) | instid1(VALU_DEP_3)
	v_add_f64 v[62:63], v[62:63], v[74:75]
	v_fma_f64 v[74:75], v[78:79], v[68:69], -v[86:87]
	s_delay_alu instid0(VALU_DEP_3) | instskip(NEXT) | instid1(VALU_DEP_2)
	v_add_f64 v[56:57], v[72:73], -v[56:57]
	v_fma_f64 v[62:63], v[78:79], v[62:63], v[74:75]
	v_add_f64 v[78:79], v[78:79], -v[88:89]
	v_frexp_exp_i32_f64_e32 v88, v[30:31]
	v_subrev_co_ci_u32_e64 v89, s3, 0, v84, s4
	v_trunc_f64_e32 v[74:75], v[16:17]
	s_delay_alu instid0(VALU_DEP_2) | instskip(SKIP_4) | instid1(VALU_DEP_2)
	v_cvt_f64_i32_e32 v[66:67], v89
	v_add_f64 v[70:71], v[70:71], -v[78:79]
	v_cvt_f64_i32_e32 v[78:79], v9
	v_subrev_co_ci_u32_e64 v88, s3, 0, v88, s6
	v_cndmask_b32_e64 v9, v20, 0, s91
	v_cvt_f64_i32_e32 v[84:85], v88
	v_cvt_f64_i32_e32 v[88:89], v92
	v_mul_f64 v[72:73], v[66:67], s[50:51]
	v_cndmask_b32_e64 v92, v24, 0, s93
	v_fma_f64 v[62:63], v[70:71], v[68:69], v[62:63]
	v_add_f64 v[68:69], v[76:77], v[60:61]
	s_delay_alu instid0(VALU_DEP_1) | instskip(SKIP_1) | instid1(VALU_DEP_2)
	v_add_f64 v[70:71], v[76:77], -v[68:69]
	v_mul_f64 v[76:77], v[64:65], v[68:69]
	v_add_f64 v[60:61], v[60:61], v[70:71]
	s_delay_alu instid0(VALU_DEP_2) | instskip(NEXT) | instid1(VALU_DEP_1)
	v_fma_f64 v[70:71], v[64:65], v[68:69], -v[76:77]
	v_fma_f64 v[60:61], v[64:65], v[60:61], v[70:71]
	v_mul_f64 v[70:71], v[78:79], s[50:51]
	v_mul_f64 v[64:65], v[84:85], s[50:51]
	s_delay_alu instid0(VALU_DEP_3) | instskip(NEXT) | instid1(VALU_DEP_3)
	v_fma_f64 v[56:57], v[56:57], v[68:69], v[60:61]
	v_fma_f64 v[68:69], v[78:79], s[50:51], -v[70:71]
	v_mul_f64 v[60:61], v[88:89], s[50:51]
	s_delay_alu instid0(VALU_DEP_2) | instskip(SKIP_1) | instid1(VALU_DEP_1)
	v_fma_f64 v[68:69], v[78:79], s[52:53], v[68:69]
	v_fma_f64 v[78:79], v[84:85], s[50:51], -v[64:65]
	v_fma_f64 v[78:79], v[84:85], s[52:53], v[78:79]
	v_fma_f64 v[84:85], v[66:67], s[50:51], -v[72:73]
	s_delay_alu instid0(VALU_DEP_1) | instskip(SKIP_1) | instid1(VALU_DEP_1)
	v_fma_f64 v[66:67], v[66:67], s[52:53], v[84:85]
	v_fma_f64 v[84:85], v[88:89], s[50:51], -v[60:61]
	v_fma_f64 v[84:85], v[88:89], s[52:53], v[84:85]
	v_add_f64 v[88:89], v[70:71], v[68:69]
	s_delay_alu instid0(VALU_DEP_1) | instskip(NEXT) | instid1(VALU_DEP_1)
	v_add_f64 v[70:71], v[88:89], -v[70:71]
	v_add_f64 v[68:69], v[68:69], -v[70:71]
	v_add_f64 v[70:71], v[64:65], v[78:79]
	s_delay_alu instid0(VALU_DEP_1) | instskip(NEXT) | instid1(VALU_DEP_1)
	v_add_f64 v[64:65], v[70:71], -v[64:65]
	v_add_f64 v[64:65], v[78:79], -v[64:65]
	;; [unrolled: 4-line block ×5, first 2 shown]
	v_add_f64 v[80:81], v[90:91], v[58:59]
	s_delay_alu instid0(VALU_DEP_2) | instskip(NEXT) | instid1(VALU_DEP_2)
	v_add_f64 v[38:39], v[38:39], v[54:55]
	v_add_f64 v[90:91], v[80:81], -v[90:91]
	v_add_f64 v[54:55], v[48:49], v[80:81]
	s_delay_alu instid0(VALU_DEP_2) | instskip(SKIP_1) | instid1(VALU_DEP_3)
	v_add_f64 v[58:59], v[58:59], -v[90:91]
	v_add_f64 v[90:91], v[86:87], v[62:63]
	v_add_f64 v[48:49], v[54:55], -v[48:49]
	s_delay_alu instid0(VALU_DEP_3) | instskip(NEXT) | instid1(VALU_DEP_3)
	v_add_f64 v[40:41], v[40:41], v[58:59]
	v_add_f64 v[86:87], v[90:91], -v[86:87]
	v_add_f64 v[58:59], v[50:51], v[90:91]
	s_delay_alu instid0(VALU_DEP_4) | instskip(SKIP_1) | instid1(VALU_DEP_4)
	v_add_f64 v[48:49], v[80:81], -v[48:49]
	v_mul_f64 v[80:81], v[12:13], 0.5
	v_add_f64 v[62:63], v[62:63], -v[86:87]
	v_add_f64 v[86:87], v[76:77], v[56:57]
	v_add_f64 v[50:51], v[58:59], -v[50:51]
	v_add_f64 v[40:41], v[40:41], v[48:49]
	s_delay_alu instid0(VALU_DEP_4) | instskip(NEXT) | instid1(VALU_DEP_4)
	v_add_f64 v[42:43], v[42:43], v[62:63]
	v_add_f64 v[76:77], v[86:87], -v[76:77]
	v_add_f64 v[62:63], v[52:53], v[86:87]
	v_add_f64 v[50:51], v[90:91], -v[50:51]
	v_add_f64 v[48:49], v[54:55], v[40:41]
	s_delay_alu instid0(VALU_DEP_4)
	v_add_f64 v[56:57], v[56:57], -v[76:77]
	v_add_f64 v[76:77], v[46:47], v[84:85]
	v_add_f64 v[52:53], v[62:63], -v[52:53]
	v_add_f64 v[42:43], v[42:43], v[50:51]
	v_add_f64 v[54:55], v[48:49], -v[54:55]
	v_add_f64 v[44:45], v[44:45], v[56:57]
	v_add_f64 v[46:47], v[76:77], -v[46:47]
	v_add_f64 v[52:53], v[86:87], -v[52:53]
	v_add_f64 v[50:51], v[58:59], v[42:43]
	v_add_f64 v[86:87], v[70:71], v[48:49]
	v_add_f64 v[40:41], v[40:41], -v[54:55]
	v_add_f64 v[46:47], v[84:85], -v[46:47]
	v_add_f64 v[44:45], v[44:45], v[52:53]
	v_add_f64 v[58:59], v[50:51], -v[58:59]
	v_mul_f64 v[84:85], v[14:15], 0.5
	s_delay_alu instid0(VALU_DEP_4) | instskip(NEXT) | instid1(VALU_DEP_4)
	v_add_f64 v[38:39], v[38:39], v[46:47]
	v_add_f64 v[52:53], v[62:63], v[44:45]
	s_delay_alu instid0(VALU_DEP_4) | instskip(NEXT) | instid1(VALU_DEP_4)
	v_add_f64 v[42:43], v[42:43], -v[58:59]
	v_trunc_f64_e32 v[90:91], v[84:85]
	s_delay_alu instid0(VALU_DEP_4) | instskip(NEXT) | instid1(VALU_DEP_4)
	v_add_f64 v[46:47], v[76:77], v[38:39]
	v_add_f64 v[62:63], v[52:53], -v[62:63]
	v_add_f64 v[54:55], v[72:73], v[52:53]
	s_delay_alu instid0(VALU_DEP_3) | instskip(SKIP_1) | instid1(VALU_DEP_4)
	v_add_f64 v[56:57], v[46:47], -v[76:77]
	v_add_f64 v[76:77], v[88:89], v[46:47]
	v_add_f64 v[44:45], v[44:45], -v[62:63]
	v_add_f64 v[62:63], v[86:87], -v[70:71]
	s_delay_alu instid0(VALU_DEP_4) | instskip(NEXT) | instid1(VALU_DEP_4)
	v_add_f64 v[38:39], v[38:39], -v[56:57]
	v_add_f64 v[58:59], v[76:77], -v[88:89]
	v_add_f64 v[56:57], v[78:79], v[50:51]
	s_delay_alu instid0(VALU_DEP_4) | instskip(SKIP_1) | instid1(VALU_DEP_4)
	v_add_f64 v[48:49], v[48:49], -v[62:63]
	v_add_f64 v[62:63], v[86:87], -v[62:63]
	;; [unrolled: 1-line block ×4, first 2 shown]
	s_delay_alu instid0(VALU_DEP_3) | instskip(SKIP_1) | instid1(VALU_DEP_3)
	v_add_f64 v[62:63], v[70:71], -v[62:63]
	v_add_f64 v[70:71], v[54:55], -v[72:73]
	;; [unrolled: 1-line block ×4, first 2 shown]
	s_delay_alu instid0(VALU_DEP_4) | instskip(NEXT) | instid1(VALU_DEP_4)
	v_add_f64 v[48:49], v[48:49], v[62:63]
	v_add_f64 v[52:53], v[52:53], -v[70:71]
	v_add_f64 v[70:71], v[54:55], -v[70:71]
	v_add_f64 v[62:63], v[60:61], v[44:45]
	v_add_f64 v[46:47], v[46:47], v[58:59]
	v_add_f64 v[50:51], v[50:51], -v[88:89]
	v_add_f64 v[88:89], v[56:57], -v[88:89]
	v_add_f64 v[58:59], v[66:67], v[42:43]
	v_add_f64 v[70:71], v[72:73], -v[70:71]
	v_add_f64 v[72:73], v[64:65], v[40:41]
	s_delay_alu instid0(VALU_DEP_4) | instskip(SKIP_1) | instid1(VALU_DEP_4)
	v_add_f64 v[78:79], v[78:79], -v[88:89]
	v_add_f64 v[88:89], v[68:69], v[38:39]
	v_add_f64 v[52:53], v[52:53], v[70:71]
	s_delay_alu instid0(VALU_DEP_4)
	v_add_f64 v[70:71], v[72:73], -v[64:65]
	v_add_f64 v[48:49], v[72:73], v[48:49]
	v_add_f64 v[50:51], v[50:51], v[78:79]
	v_add_f64 v[78:79], v[88:89], -v[68:69]
	v_add_f64 v[46:47], v[88:89], v[46:47]
	v_add_f64 v[40:41], v[40:41], -v[70:71]
	v_add_f64 v[70:71], v[72:73], -v[70:71]
	v_add_f64 v[52:53], v[62:63], v[52:53]
	v_add_f64 v[50:51], v[58:59], v[50:51]
	v_add_f64 v[38:39], v[38:39], -v[78:79]
	v_add_f64 v[78:79], v[88:89], -v[78:79]
	;; [unrolled: 1-line block ×4, first 2 shown]
	s_delay_alu instid0(VALU_DEP_3) | instskip(SKIP_1) | instid1(VALU_DEP_4)
	v_add_f64 v[68:69], v[68:69], -v[78:79]
	v_add_f64 v[78:79], v[58:59], -v[66:67]
	;; [unrolled: 1-line block ×4, first 2 shown]
	v_add_f64 v[62:63], v[76:77], v[46:47]
	v_add_f64 v[40:41], v[40:41], v[64:65]
	v_add_f64 v[64:65], v[56:57], v[50:51]
	v_add_f64 v[38:39], v[38:39], v[68:69]
	v_add_f64 v[42:43], v[42:43], -v[78:79]
	v_add_f64 v[78:79], v[58:59], -v[78:79]
	;; [unrolled: 1-line block ×4, first 2 shown]
	s_delay_alu instid0(VALU_DEP_3) | instskip(SKIP_1) | instid1(VALU_DEP_4)
	v_add_f64 v[58:59], v[66:67], -v[78:79]
	v_add_f64 v[66:67], v[86:87], v[48:49]
	v_add_f64 v[44:45], v[44:45], v[60:61]
	v_add_f64 v[60:61], v[62:63], -v[76:77]
	v_add_f64 v[50:51], v[50:51], -v[56:57]
	v_add_f64 v[42:43], v[42:43], v[58:59]
	v_add_f64 v[58:59], v[54:55], v[52:53]
	v_add_f64 v[68:69], v[66:67], -v[86:87]
	v_add_f64 v[46:47], v[46:47], -v[60:61]
	v_trunc_f64_e32 v[86:87], v[80:81]
	v_add_f64 v[42:43], v[42:43], v[50:51]
	v_add_f64 v[54:55], v[58:59], -v[54:55]
	v_add_f64 v[48:49], v[48:49], -v[68:69]
	v_add_f64 v[38:39], v[38:39], v[46:47]
	s_delay_alu instid0(VALU_DEP_4) | instskip(NEXT) | instid1(VALU_DEP_4)
	v_add_f64 v[50:51], v[64:65], v[42:43]
	v_add_f64 v[52:53], v[52:53], -v[54:55]
	s_delay_alu instid0(VALU_DEP_4) | instskip(NEXT) | instid1(VALU_DEP_4)
	v_add_f64 v[40:41], v[40:41], v[48:49]
	v_add_f64 v[46:47], v[62:63], v[38:39]
	s_delay_alu instid0(VALU_DEP_4) | instskip(NEXT) | instid1(VALU_DEP_4)
	v_add_f64 v[64:65], v[50:51], -v[64:65]
	v_add_f64 v[44:45], v[44:45], v[52:53]
	s_delay_alu instid0(VALU_DEP_4) | instskip(NEXT) | instid1(VALU_DEP_4)
	v_add_f64 v[48:49], v[66:67], v[40:41]
	v_add_f64 v[54:55], v[46:47], -v[62:63]
	v_mul_f64 v[56:57], v[18:19], v[46:47]
	v_add_f64 v[42:43], v[42:43], -v[64:65]
	v_add_f64 v[52:53], v[58:59], v[44:45]
	v_add_f64 v[60:61], v[48:49], -v[66:67]
	v_mul_f64 v[62:63], v[16:17], v[48:49]
	v_mul_f64 v[66:67], v[14:15], v[50:51]
	v_add_f64 v[38:39], v[38:39], -v[54:55]
	v_fma_f64 v[46:47], v[18:19], v[46:47], -v[56:57]
	v_cmp_class_f64_e64 s3, v[56:57], 0x204
	v_add_f64 v[58:59], v[52:53], -v[58:59]
	v_mul_f64 v[68:69], v[12:13], v[52:53]
	v_add_f64 v[40:41], v[40:41], -v[60:61]
	v_fma_f64 v[48:49], v[16:17], v[48:49], -v[62:63]
	v_fma_f64 v[50:51], v[14:15], v[50:51], -v[66:67]
	v_fma_f64 v[38:39], v[18:19], v[38:39], v[46:47]
	v_cmp_class_f64_e64 s4, v[62:63], 0x204
	v_cmp_class_f64_e64 s5, v[66:67], 0x204
	v_add_f64 v[44:45], v[44:45], -v[58:59]
	v_fma_f64 v[52:53], v[12:13], v[52:53], -v[68:69]
	v_cmp_class_f64_e64 s6, v[68:69], 0x204
	v_fma_f64 v[40:41], v[16:17], v[40:41], v[48:49]
	v_fma_f64 v[42:43], v[14:15], v[42:43], v[50:51]
	v_add_f64 v[46:47], v[56:57], v[38:39]
	v_fma_f64 v[44:45], v[12:13], v[44:45], v[52:53]
	s_delay_alu instid0(VALU_DEP_4) | instskip(NEXT) | instid1(VALU_DEP_4)
	v_add_f64 v[48:49], v[62:63], v[40:41]
	v_add_f64 v[50:51], v[66:67], v[42:43]
	s_delay_alu instid0(VALU_DEP_4) | instskip(SKIP_4) | instid1(VALU_DEP_4)
	v_cndmask_b32_e64 v55, v47, v57, s3
	v_cndmask_b32_e64 v54, v46, v56, s3
	v_cmp_neq_f64_e64 s3, v[90:91], v[84:85]
	v_add_f64 v[46:47], v[46:47], -v[56:57]
	v_trunc_f64_e32 v[90:91], v[14:15]
	v_mul_f64 v[60:61], v[54:55], s[58:59]
	v_cmp_neq_f64_e64 s2, 0x7ff00000, |v[54:55]|
	v_cmp_lt_f64_e64 s9, 0x40900000, v[54:55]
	v_add_f64 v[52:53], v[68:69], v[44:45]
	v_cndmask_b32_e64 v59, v49, v63, s4
	v_cndmask_b32_e64 v58, v48, v62, s4
	;; [unrolled: 1-line block ×4, first 2 shown]
	v_cmp_neq_f64_e64 s4, v[86:87], v[80:81]
	v_add_f64 v[48:49], v[48:49], -v[62:63]
	v_mul_f64 v[64:65], v[58:59], s[58:59]
	v_add_f64 v[50:51], v[50:51], -v[66:67]
	v_mul_f64 v[76:77], v[70:71], s[58:59]
	v_rndne_f64_e32 v[60:61], v[60:61]
	v_cmp_neq_f64_e64 s5, v[16:17], v[22:23]
	v_add_f64 v[38:39], v[38:39], -v[46:47]
	v_cmp_lt_f64_e64 s15, 0x40900000, v[58:59]
	v_cmp_neq_f64_e64 s7, 0x7ff00000, |v[70:71]|
	v_trunc_f64_e32 v[46:47], v[12:13]
	v_cndmask_b32_e64 v73, v53, v69, s6
	v_cndmask_b32_e64 v72, v52, v68, s6
	v_add_f64 v[52:53], v[52:53], -v[68:69]
	v_cmp_gt_f64_e64 s6, 0, v[16:17]
	s_delay_alu instid0(VALU_DEP_3)
	v_mul_f64 v[78:79], v[72:73], s[58:59]
	v_add_f64 v[40:41], v[40:41], -v[48:49]
	v_rndne_f64_e32 v[64:65], v[64:65]
	v_add_f64 v[42:43], v[42:43], -v[50:51]
	v_rndne_f64_e32 v[76:77], v[76:77]
	v_fma_f64 v[80:81], v[60:61], s[60:61], v[54:55]
	s_xor_b32 s92, s5, s17
	v_cmp_neq_f64_e64 s5, 0x7ff00000, |v[58:59]|
	v_cmp_lt_f64_e64 s17, 0x40900000, v[70:71]
	v_cmp_lt_f64_e64 s18, 0x40900000, v[72:73]
	v_cmp_neq_f64_e64 s19, 0x7ff00000, |v[72:73]|
	v_cndmask_b32_e64 v39, 0, v39, s2
	v_cndmask_b32_e64 v38, 0, v38, s2
	v_cmp_ngt_f64_e64 s2, 0xc090cc00, v[54:55]
	v_add_f64 v[44:45], v[44:45], -v[52:53]
	v_rndne_f64_e32 v[78:79], v[78:79]
	v_fma_f64 v[84:85], v[64:65], s[60:61], v[58:59]
	v_cndmask_b32_e64 v43, 0, v43, s7
	v_fma_f64 v[86:87], v[76:77], s[60:61], v[70:71]
	v_fma_f64 v[56:57], v[60:61], s[82:83], v[80:81]
	v_cndmask_b32_e64 v42, 0, v42, s7
	v_cndmask_b32_e64 v41, 0, v41, s5
	;; [unrolled: 1-line block ×3, first 2 shown]
	v_cmp_ngt_f64_e64 s5, 0xc090cc00, v[58:59]
	v_cmp_ngt_f64_e64 s7, 0xc090cc00, v[70:71]
	v_cndmask_b32_e64 v45, 0, v45, s19
	v_cndmask_b32_e64 v44, 0, v44, s19
	v_cmp_ngt_f64_e64 s19, 0xc090cc00, v[72:73]
	v_fma_f64 v[88:89], v[78:79], s[60:61], v[72:73]
	v_fma_f64 v[80:81], v[64:65], s[82:83], v[84:85]
	v_cvt_i32_f64_e32 v64, v[64:65]
	v_fma_f64 v[84:85], v[76:77], s[82:83], v[86:87]
	v_fma_f64 v[62:63], v[56:57], s[64:65], s[62:63]
	v_cvt_i32_f64_e32 v65, v[76:77]
	v_fma_f64 v[86:87], v[78:79], s[82:83], v[88:89]
	v_fma_f64 v[66:67], v[80:81], s[64:65], s[62:63]
	;; [unrolled: 1-line block ×4, first 2 shown]
	s_delay_alu instid0(VALU_DEP_4) | instskip(NEXT) | instid1(VALU_DEP_4)
	v_fma_f64 v[88:89], v[86:87], s[64:65], s[62:63]
	v_fma_f64 v[66:67], v[80:81], v[66:67], s[66:67]
	s_delay_alu instid0(VALU_DEP_4) | instskip(NEXT) | instid1(VALU_DEP_4)
	v_fma_f64 v[68:69], v[84:85], v[68:69], s[66:67]
	v_fma_f64 v[62:63], v[56:57], v[62:63], s[68:69]
	;; [unrolled: 3-line block ×12, first 2 shown]
	s_delay_alu instid0(VALU_DEP_4)
	v_fma_f64 v[68:69], v[86:87], v[88:89], s[76:77]
	v_cvt_i32_f64_e32 v89, v[60:61]
	v_fma_f64 v[62:63], v[80:81], v[62:63], s[78:79]
	v_cndmask_b32_e64 v88, v22, 0, s92
	v_fma_f64 v[66:67], v[84:85], v[66:67], s[78:79]
	v_fma_f64 v[48:49], v[56:57], v[48:49], s[80:81]
	;; [unrolled: 1-line block ×4, first 2 shown]
	s_delay_alu instid0(VALU_DEP_4) | instskip(NEXT) | instid1(VALU_DEP_4)
	v_fma_f64 v[62:63], v[84:85], v[66:67], s[80:81]
	v_fma_f64 v[48:49], v[56:57], v[48:49], 1.0
	s_delay_alu instid0(VALU_DEP_4)
	v_fma_f64 v[66:67], v[86:87], v[68:69], s[80:81]
	v_cvt_i32_f64_e32 v68, v[78:79]
	v_fma_f64 v[60:61], v[80:81], v[60:61], 1.0
	v_fma_f64 v[62:63], v[84:85], v[62:63], 1.0
	;; [unrolled: 1-line block ×4, first 2 shown]
	s_delay_alu instid0(VALU_DEP_4) | instskip(NEXT) | instid1(VALU_DEP_4)
	v_fma_f64 v[56:57], v[80:81], v[60:61], 1.0
	v_fma_f64 v[60:61], v[84:85], v[62:63], 1.0
	s_delay_alu instid0(VALU_DEP_4) | instskip(NEXT) | instid1(VALU_DEP_4)
	v_ldexp_f64 v[48:49], v[48:49], v89
	v_fma_f64 v[62:63], v[86:87], v[66:67], 1.0
	s_delay_alu instid0(VALU_DEP_4) | instskip(NEXT) | instid1(VALU_DEP_4)
	v_ldexp_f64 v[50:51], v[56:57], v64
	v_ldexp_f64 v[52:53], v[60:61], v65
	s_delay_alu instid0(VALU_DEP_4) | instskip(SKIP_2) | instid1(VALU_DEP_3)
	v_cndmask_b32_e64 v61, v49, 0x7ff00000, s9
	v_and_b32_e32 v49, 0x7fffffff, v49
	v_cndmask_b32_e64 v60, v48, 0, s9
	v_cndmask_b32_e64 v54, 0, v61, s2
	s_delay_alu instid0(VALU_DEP_3)
	v_cmp_eq_f64_e64 s20, 0x7ff00000, v[48:49]
	v_ldexp_f64 v[56:57], v[62:63], v68
	v_cndmask_b32_e64 v62, v51, 0x7ff00000, s15
	v_and_b32_e32 v51, 0x7fffffff, v51
	v_cndmask_b32_e64 v58, v53, 0x7ff00000, s17
	v_and_b32_e32 v53, 0x7fffffff, v53
	v_cndmask_b32_e64 v55, v50, 0, s15
	v_cndmask_b32_e64 v49, 0, v62, s5
	v_cmp_eq_f64_e64 s21, 0x7ff00000, v[50:51]
	v_cndmask_b32_e64 v59, v52, 0, s17
	v_cmp_eq_f64_e64 s22, 0x7ff00000, v[52:53]
	v_cndmask_b32_e64 v53, 0, v60, s2
	v_cndmask_b32_e64 v48, 0, v55, s5
	s_or_b32 s9, s9, s20
	v_cndmask_b32_e64 v51, 0, v58, s7
	s_and_b32 s2, s2, s9
	v_fma_f64 v[38:39], v[53:54], v[38:39], v[53:54]
	v_fma_f64 v[40:41], v[48:49], v[40:41], v[48:49]
	v_cndmask_b32_e64 v50, 0, v59, s7
	v_cmp_eq_f64_e64 s20, 1.0, v[2:3]
	v_cndmask_b32_e64 v55, v21, 0, s91
	v_cndmask_b32_e64 v2, v23, 0, s92
	;; [unrolled: 1-line block ×3, first 2 shown]
	v_fma_f64 v[42:43], v[50:51], v[42:43], v[50:51]
	v_cndmask_b32_e64 v64, v57, 0x7ff00000, s18
	v_and_b32_e32 v57, 0x7fffffff, v57
	v_cndmask_b32_e64 v63, v56, 0, s18
	s_delay_alu instid0(VALU_DEP_3) | instskip(NEXT) | instid1(VALU_DEP_3)
	v_cndmask_b32_e64 v58, 0, v64, s19
	v_cmp_eq_f64_e64 s23, 0x7ff00000, v[56:57]
	s_delay_alu instid0(VALU_DEP_3)
	v_cndmask_b32_e64 v57, 0, v63, s19
	s_or_b32 s9, s15, s21
	v_cmp_eq_f64_e64 s15, v[82:83], v[18:19]
	s_and_b32 s5, s5, s9
	s_or_b32 s9, s17, s22
	v_cmp_eq_f64_e64 s17, v[74:75], v[16:17]
	s_and_b32 s7, s7, s9
	v_fma_f64 v[44:45], v[57:58], v[44:45], v[57:58]
	v_cmp_eq_f64_e64 s21, 1.0, v[30:31]
	v_cndmask_b32_e64 v38, v38, v53, s2
	v_cndmask_b32_e64 v39, v39, v54, s2
	v_cmp_gt_f64_e64 s2, 0, v[26:27]
	v_cndmask_b32_e64 v40, v40, v48, s5
	v_cndmask_b32_e64 v41, v41, v49, s5
	v_cmp_gt_f64_e64 s5, 0, v[6:7]
	v_cmp_eq_f64_e64 s22, 1.0, v[32:33]
	v_cndmask_b32_e64 v42, v42, v50, s7
	v_cndmask_b32_e64 v43, v43, v51, s7
	v_cmp_gt_f64_e64 s7, 0, v[4:5]
	v_cndmask_b32_e64 v3, v55, v3, s20
	v_cndmask_b32_e64 v9, v9, v26, s20
	s_or_b32 s9, s18, s23
	v_cmp_eq_f64_e64 s18, v[90:91], v[14:15]
	s_and_b32 s9, s19, s9
	v_cmp_eq_f64_e64 s19, v[46:47], v[12:13]
	s_and_b32 s0, s15, s0
	v_cndmask_b32_e64 v48, 0, v38, s15
	v_cndmask_b32_e64 v53, 0x3ff00000, v27, s0
	s_and_b32 vcc_lo, s17, vcc_lo
	v_cndmask_b32_e64 v44, v44, v57, s9
	v_cndmask_b32_e32 v54, 0x3ff00000, v7, vcc_lo
	v_cmp_eq_f64_e64 s23, 1.0, v[34:35]
	v_bfi_b32 v39, 0x7fffffff, v39, v53
	v_cndmask_b32_e64 v49, 0, v40, s17
	v_cndmask_b32_e64 v45, v45, v58, s9
	v_bfi_b32 v41, 0x7fffffff, v41, v54
	v_cmp_gt_f64_e64 s9, 0, v[0:1]
	v_cndmask_b32_e64 v53, 0x7ff80000, v39, s15
	v_cmp_eq_f64_e64 s15, 0x7ff00000, v[30:31]
	v_cndmask_b32_e64 v30, 0x7ff00000, 0, s1
	s_xor_b32 s1, s6, s12
	v_cndmask_b32_e64 v56, 0x7ff80000, v41, s17
	v_cmp_eq_f64_e64 s17, 0x7ff00000, v[32:33]
	v_cndmask_b32_e64 v32, 0x7ff00000, 0, s1
	v_cndmask_b32_e64 v39, v39, v53, s2
	;; [unrolled: 1-line block ×3, first 2 shown]
	v_cmp_eq_f64_e64 s1, 0x7ff00000, v[20:21]
	v_cmp_eq_f64_e64 s2, 0x7ff00000, v[22:23]
	v_cndmask_b32_e64 v41, v41, v56, s5
	v_cndmask_b32_e64 v20, v40, v49, s5
	v_cmp_eq_f64_e64 s5, 0x7ff00000, v[24:25]
	v_cmp_eq_f64_e64 s6, 0x7ff00000, v[28:29]
	v_cndmask_b32_e32 v28, 0, v7, vcc_lo
	v_cndmask_b32_e64 v46, v25, 0, s93
	v_cndmask_b32_e64 v47, v29, 0, s94
	;; [unrolled: 1-line block ×6, first 2 shown]
	v_bfi_b32 v28, 0x7fffffff, v32, v28
	s_and_b32 s3, s18, s3
	v_cndmask_b32_e64 v50, 0, v42, s18
	v_cndmask_b32_e64 v54, 0x3ff00000, v5, s3
	s_and_b32 s4, s19, s4
	v_cndmask_b32_e64 v51, 0, v44, s19
	v_cndmask_b32_e64 v57, 0x3ff00000, v1, s4
	;; [unrolled: 1-line block ×3, first 2 shown]
	v_bfi_b32 v43, 0x7fffffff, v43, v54
	v_bfi_b32 v25, 0x7fffffff, v30, v25
	v_cndmask_b32_e64 v33, v47, v35, s23
	v_bfi_b32 v45, 0x7fffffff, v45, v57
	v_cndmask_b32_e64 v46, v52, v0, s23
	v_cndmask_b32_e64 v54, 0x7ff80000, v43, s18
	v_cmp_eq_f64_e64 s18, 0x7ff00000, v[34:35]
	v_cndmask_b32_e64 v34, v88, v6, s21
	v_cndmask_b32_e64 v57, 0x7ff80000, v45, s19
	;; [unrolled: 1-line block ×4, first 2 shown]
	s_xor_b32 s7, s10, s14
	v_cndmask_b32_e64 v22, v44, v51, s9
	v_cndmask_b32_e64 v45, v45, v57, s9
	;; [unrolled: 1-line block ×9, first 2 shown]
	s_or_b32 vcc_lo, s16, s11
	s_or_b32 s0, s15, s12
	v_bfi_b32 v23, 0x7fffffff, v23, v29
	v_bfi_b32 v24, 0x7fffffff, v24, v30
	v_cndmask_b32_e64 v21, v21, v35, s5
	v_cndmask_b32_e64 v22, v22, v46, s6
	v_cndmask_b32_e32 v3, v3, v25, vcc_lo
	v_cndmask_b32_e64 v9, v9, 0, vcc_lo
	v_cmp_o_f64_e32 vcc_lo, v[26:27], v[18:19]
	v_cndmask_b32_e64 v18, v2, v28, s0
	v_cndmask_b32_e64 v2, v43, v31, s5
	;; [unrolled: 1-line block ×3, first 2 shown]
	v_cmp_o_f64_e64 s0, v[6:7], v[16:17]
	v_cndmask_b32_e64 v6, v45, v33, s6
	s_or_b32 s1, s17, s13
	v_cmp_le_i64_e64 s3, s[26:27], v[10:11]
	v_cndmask_b32_e64 v7, v2, v23, s1
	v_cndmask_b32_e64 v16, v21, 0, s1
	v_cmp_o_f64_e64 s1, v[4:5], v[14:15]
	v_cmp_lt_u64_e64 s4, 0xffff, v[10:11]
	s_or_b32 s2, s18, s14
	s_delay_alu instid0(SALU_CYCLE_1)
	v_cndmask_b32_e64 v14, v6, v24, s2
	v_cndmask_b32_e64 v5, v22, 0, s2
	v_cmp_o_f64_e64 s2, v[0:1], v[12:13]
	v_add_co_u32 v12, s5, s85, v36
	s_or_b32 s3, s3, s4
	s_add_u32 s33, s33, s89
	v_add_co_ci_u32_e64 v13, null, s86, 0, s5
	v_add_co_u32 v10, s5, v10, s88
	s_addc_u32 s84, s84, 0
	s_add_u32 s85, s85, s89
	v_add_co_ci_u32_e64 v11, s5, 0, v11, s5
	s_addc_u32 s86, s86, 0
	v_cndmask_b32_e32 v0, 0, v9, vcc_lo
	v_cndmask_b32_e32 v1, 0x7ff80000, v3, vcc_lo
	v_cndmask_b32_e64 v2, 0, v19, s0
	v_cndmask_b32_e64 v3, 0x7ff80000, v18, s0
	s_and_b32 s0, exec_lo, s3
	s_delay_alu instid0(SALU_CYCLE_1)
	s_or_b32 s87, s0, s87
	v_cndmask_b32_e64 v4, 0, v16, s1
	v_cndmask_b32_e64 v6, 0, v5, s2
	;; [unrolled: 1-line block ×4, first 2 shown]
	s_clause 0x1
	global_store_b128 v[12:13], v[0:3], off
	global_store_b128 v[12:13], v[4:7], off offset:16
	s_and_not1_b32 exec_lo, exec_lo, s87
	s_cbranch_execnz .LBB90_24
.LBB90_25:
	s_nop 0
	s_sendmsg sendmsg(MSG_DEALLOC_VGPRS)
	s_endpgm
	.section	.rodata,"a",@progbits
	.p2align	6, 0x0
	.amdhsa_kernel _ZN2at6native12_GLOBAL__N_125multi_tensor_apply_kernelINS1_28TensorListScalarListMetadataIdLi2EEENS1_25BinaryOpScalarListFunctorIdLi2ELi1ELi1EEEJNS1_13power_functorIdEEEEEvT_T0_DpT1_
		.amdhsa_group_segment_fixed_size 0
		.amdhsa_private_segment_fixed_size 0
		.amdhsa_kernarg_size 3912
		.amdhsa_user_sgpr_count 15
		.amdhsa_user_sgpr_dispatch_ptr 0
		.amdhsa_user_sgpr_queue_ptr 0
		.amdhsa_user_sgpr_kernarg_segment_ptr 1
		.amdhsa_user_sgpr_dispatch_id 0
		.amdhsa_user_sgpr_private_segment_size 0
		.amdhsa_wavefront_size32 1
		.amdhsa_uses_dynamic_stack 0
		.amdhsa_enable_private_segment 0
		.amdhsa_system_sgpr_workgroup_id_x 1
		.amdhsa_system_sgpr_workgroup_id_y 0
		.amdhsa_system_sgpr_workgroup_id_z 0
		.amdhsa_system_sgpr_workgroup_info 0
		.amdhsa_system_vgpr_workitem_id 0
		.amdhsa_next_free_vgpr 93
		.amdhsa_next_free_sgpr 95
		.amdhsa_reserve_vcc 1
		.amdhsa_float_round_mode_32 0
		.amdhsa_float_round_mode_16_64 0
		.amdhsa_float_denorm_mode_32 3
		.amdhsa_float_denorm_mode_16_64 3
		.amdhsa_dx10_clamp 1
		.amdhsa_ieee_mode 1
		.amdhsa_fp16_overflow 0
		.amdhsa_workgroup_processor_mode 1
		.amdhsa_memory_ordered 1
		.amdhsa_forward_progress 0
		.amdhsa_shared_vgpr_count 0
		.amdhsa_exception_fp_ieee_invalid_op 0
		.amdhsa_exception_fp_denorm_src 0
		.amdhsa_exception_fp_ieee_div_zero 0
		.amdhsa_exception_fp_ieee_overflow 0
		.amdhsa_exception_fp_ieee_underflow 0
		.amdhsa_exception_fp_ieee_inexact 0
		.amdhsa_exception_int_div_zero 0
	.end_amdhsa_kernel
	.section	.text._ZN2at6native12_GLOBAL__N_125multi_tensor_apply_kernelINS1_28TensorListScalarListMetadataIdLi2EEENS1_25BinaryOpScalarListFunctorIdLi2ELi1ELi1EEEJNS1_13power_functorIdEEEEEvT_T0_DpT1_,"axG",@progbits,_ZN2at6native12_GLOBAL__N_125multi_tensor_apply_kernelINS1_28TensorListScalarListMetadataIdLi2EEENS1_25BinaryOpScalarListFunctorIdLi2ELi1ELi1EEEJNS1_13power_functorIdEEEEEvT_T0_DpT1_,comdat
.Lfunc_end90:
	.size	_ZN2at6native12_GLOBAL__N_125multi_tensor_apply_kernelINS1_28TensorListScalarListMetadataIdLi2EEENS1_25BinaryOpScalarListFunctorIdLi2ELi1ELi1EEEJNS1_13power_functorIdEEEEEvT_T0_DpT1_, .Lfunc_end90-_ZN2at6native12_GLOBAL__N_125multi_tensor_apply_kernelINS1_28TensorListScalarListMetadataIdLi2EEENS1_25BinaryOpScalarListFunctorIdLi2ELi1ELi1EEEJNS1_13power_functorIdEEEEEvT_T0_DpT1_
                                        ; -- End function
	.section	.AMDGPU.csdata,"",@progbits
; Kernel info:
; codeLenInByte = 16796
; NumSgprs: 97
; NumVgprs: 93
; ScratchSize: 0
; MemoryBound: 0
; FloatMode: 240
; IeeeMode: 1
; LDSByteSize: 0 bytes/workgroup (compile time only)
; SGPRBlocks: 12
; VGPRBlocks: 11
; NumSGPRsForWavesPerEU: 97
; NumVGPRsForWavesPerEU: 93
; Occupancy: 16
; WaveLimiterHint : 1
; COMPUTE_PGM_RSRC2:SCRATCH_EN: 0
; COMPUTE_PGM_RSRC2:USER_SGPR: 15
; COMPUTE_PGM_RSRC2:TRAP_HANDLER: 0
; COMPUTE_PGM_RSRC2:TGID_X_EN: 1
; COMPUTE_PGM_RSRC2:TGID_Y_EN: 0
; COMPUTE_PGM_RSRC2:TGID_Z_EN: 0
; COMPUTE_PGM_RSRC2:TIDIG_COMP_CNT: 0
	.section	.text._ZN2at6native12_GLOBAL__N_125multi_tensor_apply_kernelINS1_28TensorListScalarListMetadataIfLi2EEENS1_25BinaryOpScalarListFunctorIfLi2ELi1ELi1EEEJNS1_13power_functorIfEEEEEvT_T0_DpT1_,"axG",@progbits,_ZN2at6native12_GLOBAL__N_125multi_tensor_apply_kernelINS1_28TensorListScalarListMetadataIfLi2EEENS1_25BinaryOpScalarListFunctorIfLi2ELi1ELi1EEEJNS1_13power_functorIfEEEEEvT_T0_DpT1_,comdat
	.globl	_ZN2at6native12_GLOBAL__N_125multi_tensor_apply_kernelINS1_28TensorListScalarListMetadataIfLi2EEENS1_25BinaryOpScalarListFunctorIfLi2ELi1ELi1EEEJNS1_13power_functorIfEEEEEvT_T0_DpT1_ ; -- Begin function _ZN2at6native12_GLOBAL__N_125multi_tensor_apply_kernelINS1_28TensorListScalarListMetadataIfLi2EEENS1_25BinaryOpScalarListFunctorIfLi2ELi1ELi1EEEJNS1_13power_functorIfEEEEEvT_T0_DpT1_
	.p2align	8
	.type	_ZN2at6native12_GLOBAL__N_125multi_tensor_apply_kernelINS1_28TensorListScalarListMetadataIfLi2EEENS1_25BinaryOpScalarListFunctorIfLi2ELi1ELi1EEEJNS1_13power_functorIfEEEEEvT_T0_DpT1_,@function
_ZN2at6native12_GLOBAL__N_125multi_tensor_apply_kernelINS1_28TensorListScalarListMetadataIfLi2EEENS1_25BinaryOpScalarListFunctorIfLi2ELi1ELi1EEEJNS1_13power_functorIfEEEEEvT_T0_DpT1_: ; @_ZN2at6native12_GLOBAL__N_125multi_tensor_apply_kernelINS1_28TensorListScalarListMetadataIfLi2EEENS1_25BinaryOpScalarListFunctorIfLi2ELi1ELi1EEEJNS1_13power_functorIfEEEEEvT_T0_DpT1_
; %bb.0:
	v_mov_b32_e32 v1, s15
	s_add_u32 s2, s0, s15
	s_mul_hi_u32 s3, s15, 3
	s_mul_i32 s15, s15, 3
	s_addc_u32 s4, s1, 0
	global_load_u8 v1, v1, s[0:1] offset:1792
	s_add_u32 s2, s2, s15
	s_addc_u32 s3, s4, s3
	s_mov_b32 s13, 0
	s_load_b32 s6, s[2:3], 0x840
	s_waitcnt lgkmcnt(0)
	s_ashr_i32 s7, s6, 31
	s_waitcnt vmcnt(0)
	v_readfirstlane_b32 s2, v1
	v_lshlrev_b32_e32 v1, 2, v1
	s_delay_alu instid0(VALU_DEP_2)
	s_lshl_b32 s10, s2, 3
	s_clause 0x2
	s_load_b64 s[8:9], s[0:1], s10 offset:0x400
	s_load_b64 s[4:5], s[0:1], s10 offset:0x0
	;; [unrolled: 1-line block ×3, first 2 shown]
	s_add_u32 s10, s0, s10
	s_addc_u32 s11, s1, 0
	v_sub_co_u32 v1, s10, s10, v1
	s_delay_alu instid0(VALU_DEP_1) | instskip(NEXT) | instid1(VALU_DEP_2)
	v_sub_co_ci_u32_e64 v2, null, s11, 0, s10
	v_readfirstlane_b32 s10, v1
	s_delay_alu instid0(VALU_DEP_2)
	v_readfirstlane_b32 s11, v2
	s_load_b32 s30, s[10:11], 0x600
	s_lshl_b64 s[10:11], s[6:7], 18
	s_waitcnt lgkmcnt(0)
	s_add_u32 s31, s4, s10
	s_addc_u32 s33, s5, s11
	s_and_b32 s12, s31, 15
	s_add_u32 s34, s2, s10
	s_addc_u32 s35, s3, s11
	s_and_b32 s14, s8, 3
	s_and_b32 s15, s34, 15
	s_or_b32 s12, s12, s14
	s_lshl_b64 s[6:7], s[6:7], 16
	s_or_b32 s12, s15, s12
	s_sub_u32 s28, s8, s6
	s_subb_u32 s29, s9, s7
	s_cmp_eq_u64 s[12:13], 0
	s_mov_b32 s6, -1
	s_cbranch_scc1 .LBB91_21
; %bb.1:
	v_cmp_lt_i64_e64 s6, s[28:29], 1
	s_delay_alu instid0(VALU_DEP_1)
	s_and_b32 vcc_lo, exec_lo, s6
	s_cbranch_vccnz .LBB91_20
; %bb.2:
	s_load_b32 s6, s[0:1], 0xd54
	v_dual_mov_b32 v10, 0 :: v_dual_lshlrev_b32 v9, 2, v0
	v_cmp_gt_u64_e64 s7, 0x10000, s[28:29]
	s_mov_b32 s17, 0x3e76c4e1
	s_delay_alu instid0(VALU_DEP_2) | instskip(NEXT) | instid1(VALU_DEP_1)
	v_add_co_u32 v1, s8, s4, v9
	v_add_co_ci_u32_e64 v2, null, s5, 0, s8
	v_add_co_u32 v3, s8, s2, v9
	s_delay_alu instid0(VALU_DEP_1)
	v_add_co_ci_u32_e64 v4, null, s3, 0, s8
	s_waitcnt lgkmcnt(0)
	s_and_b32 s6, s6, 0xffff
	s_and_b32 s7, s7, exec_lo
	v_mad_u64_u32 v[7:8], null, s6, 12, v[9:10]
	s_cselect_b32 s13, s29, 0
	s_cselect_b32 s12, s28, 0x10000
	s_mul_i32 s8, s6, 3
	s_lshl_b32 s14, s6, 3
	s_lshl_b32 s7, s6, 1
	v_add_co_u32 v14, s14, s14, v9
	v_add_co_u32 v9, s8, s8, v0
	s_delay_alu instid0(VALU_DEP_1)
	v_add_co_ci_u32_e64 v10, null, 0, 0, s8
	v_add_co_u32 v13, s8, v0, s6
	v_add_co_u32 v5, vcc_lo, s4, v7
	v_add_co_ci_u32_e32 v6, vcc_lo, s5, v8, vcc_lo
	v_add_co_u32 v7, vcc_lo, s2, v7
	v_add_co_ci_u32_e64 v15, null, 0, 0, s14
	v_lshlrev_b32_e32 v21, 2, v13
	v_add_co_ci_u32_e32 v8, vcc_lo, s3, v8, vcc_lo
	v_add_co_u32 v11, vcc_lo, s4, v14
	s_delay_alu instid0(VALU_DEP_4)
	v_add_co_ci_u32_e32 v12, vcc_lo, s5, v15, vcc_lo
	v_add_co_u32 v14, vcc_lo, s2, v14
	v_add_co_u32 v17, s7, s7, v0
	v_add_co_u32 v19, s4, s4, v21
	;; [unrolled: 1-line block ×3, first 2 shown]
	v_add_co_ci_u32_e32 v15, vcc_lo, s3, v15, vcc_lo
	v_add_co_ci_u32_e64 v16, null, 0, 0, s8
	v_add_co_ci_u32_e64 v18, null, 0, 0, s7
	;; [unrolled: 1-line block ×4, first 2 shown]
	s_lshl_b32 s9, s6, 2
	s_lshl_b32 s16, s6, 4
	s_mov_b64 s[14:15], 0
	s_branch .LBB91_4
.LBB91_3:                               ;   in Loop: Header=BB91_4 Depth=1
	s_or_b32 exec_lo, exec_lo, s6
	v_add_co_u32 v1, vcc_lo, v1, s16
	v_add_co_ci_u32_e32 v2, vcc_lo, 0, v2, vcc_lo
	v_add_co_u32 v3, vcc_lo, v3, s16
	v_add_co_ci_u32_e32 v4, vcc_lo, 0, v4, vcc_lo
	;; [unrolled: 2-line block ×5, first 2 shown]
	s_add_u32 s14, s14, s9
	v_add_co_u32 v14, vcc_lo, v14, s16
	s_addc_u32 s15, s15, 0
	v_add_co_ci_u32_e32 v15, vcc_lo, 0, v15, vcc_lo
	v_cmp_lt_i64_e64 s2, s[14:15], s[28:29]
	v_cmp_gt_u64_e64 s3, 0x10000, s[14:15]
	v_add_co_u32 v19, vcc_lo, v19, s16
	v_add_co_ci_u32_e32 v20, vcc_lo, 0, v20, vcc_lo
	v_add_co_u32 v21, vcc_lo, v21, s16
	v_add_co_ci_u32_e32 v22, vcc_lo, 0, v22, vcc_lo
	s_and_b32 s2, s2, s3
	s_delay_alu instid0(SALU_CYCLE_1)
	s_and_b32 vcc_lo, exec_lo, s2
	s_cbranch_vccz .LBB91_20
.LBB91_4:                               ; =>This Inner Loop Header: Depth=1
	s_waitcnt vmcnt(0)
	v_add_co_u32 v23, s2, v0, s14
	s_delay_alu instid0(VALU_DEP_1) | instskip(SKIP_1) | instid1(VALU_DEP_2)
	v_add_co_ci_u32_e64 v24, null, 0, s15, s2
	v_mov_b32_e32 v26, 0
	v_cmp_gt_u64_e64 s4, s[12:13], v[23:24]
	s_delay_alu instid0(VALU_DEP_1)
	s_and_saveexec_b32 s2, s4
	s_cbranch_execz .LBB91_6
; %bb.5:                                ;   in Loop: Header=BB91_4 Depth=1
	v_add_co_u32 v23, vcc_lo, v1, s10
	v_add_co_ci_u32_e32 v24, vcc_lo, s11, v2, vcc_lo
	global_load_b32 v26, v[23:24], off
.LBB91_6:                               ;   in Loop: Header=BB91_4 Depth=1
	s_or_b32 exec_lo, exec_lo, s2
	v_add_co_u32 v23, vcc_lo, v13, s14
	v_add_co_ci_u32_e32 v24, vcc_lo, s15, v16, vcc_lo
	v_mov_b32_e32 v25, 0
	s_delay_alu instid0(VALU_DEP_2) | instskip(NEXT) | instid1(VALU_DEP_1)
	v_cmp_gt_u64_e64 s3, s[12:13], v[23:24]
	s_and_saveexec_b32 s2, s3
	s_cbranch_execz .LBB91_8
; %bb.7:                                ;   in Loop: Header=BB91_4 Depth=1
	v_add_co_u32 v23, vcc_lo, v19, s10
	v_add_co_ci_u32_e32 v24, vcc_lo, s11, v20, vcc_lo
	global_load_b32 v25, v[23:24], off
.LBB91_8:                               ;   in Loop: Header=BB91_4 Depth=1
	s_or_b32 exec_lo, exec_lo, s2
	v_add_co_u32 v23, vcc_lo, v17, s14
	v_add_co_ci_u32_e32 v24, vcc_lo, s15, v18, vcc_lo
	s_delay_alu instid0(VALU_DEP_1) | instskip(SKIP_1) | instid1(VALU_DEP_2)
	v_cmp_gt_u64_e64 s2, s[12:13], v[23:24]
	v_dual_mov_b32 v23, 0 :: v_dual_mov_b32 v24, 0
	s_and_saveexec_b32 s5, s2
	s_cbranch_execz .LBB91_10
; %bb.9:                                ;   in Loop: Header=BB91_4 Depth=1
	v_add_co_u32 v27, vcc_lo, v11, s10
	v_add_co_ci_u32_e32 v28, vcc_lo, s11, v12, vcc_lo
	global_load_b32 v24, v[27:28], off
.LBB91_10:                              ;   in Loop: Header=BB91_4 Depth=1
	s_or_b32 exec_lo, exec_lo, s5
	v_add_co_u32 v27, vcc_lo, v9, s14
	v_add_co_ci_u32_e32 v28, vcc_lo, s15, v10, vcc_lo
	s_delay_alu instid0(VALU_DEP_1)
	v_cmp_gt_u64_e32 vcc_lo, s[12:13], v[27:28]
	s_and_saveexec_b32 s6, vcc_lo
	s_cbranch_execnz .LBB91_15
; %bb.11:                               ;   in Loop: Header=BB91_4 Depth=1
	s_or_b32 exec_lo, exec_lo, s6
	s_and_saveexec_b32 s18, s4
	s_cbranch_execnz .LBB91_16
.LBB91_12:                              ;   in Loop: Header=BB91_4 Depth=1
	s_or_b32 exec_lo, exec_lo, s18
	s_and_saveexec_b32 s8, s3
	s_cbranch_execnz .LBB91_17
.LBB91_13:                              ;   in Loop: Header=BB91_4 Depth=1
	s_or_b32 exec_lo, exec_lo, s8
	s_and_saveexec_b32 s7, s2
	s_cbranch_execnz .LBB91_18
.LBB91_14:                              ;   in Loop: Header=BB91_4 Depth=1
	s_or_b32 exec_lo, exec_lo, s7
	s_and_saveexec_b32 s6, vcc_lo
	s_cbranch_execz .LBB91_3
	s_branch .LBB91_19
.LBB91_15:                              ;   in Loop: Header=BB91_4 Depth=1
	v_add_co_u32 v27, s5, v5, s10
	s_delay_alu instid0(VALU_DEP_1)
	v_add_co_ci_u32_e64 v28, s5, s11, v6, s5
	global_load_b32 v23, v[27:28], off
	s_or_b32 exec_lo, exec_lo, s6
	s_and_saveexec_b32 s18, s4
	s_cbranch_execz .LBB91_12
.LBB91_16:                              ;   in Loop: Header=BB91_4 Depth=1
	s_waitcnt vmcnt(0)
	v_cmp_eq_f32_e64 s4, 1.0, v26
	s_delay_alu instid0(VALU_DEP_1) | instskip(NEXT) | instid1(VALU_DEP_1)
	v_cndmask_b32_e64 v28, s30, 1.0, s4
	v_cmp_eq_f32_e64 s5, 0, v28
	v_cmp_gt_f32_e64 s7, 0, v28
	s_delay_alu instid0(VALU_DEP_2) | instskip(SKIP_1) | instid1(VALU_DEP_2)
	v_cndmask_b32_e64 v30, |v26|, 1.0, s5
	v_cndmask_b32_e64 v29, v26, 1.0, s5
	v_cvt_f64_f32_e32 v[26:27], v30
	s_delay_alu instid0(VALU_DEP_2) | instskip(NEXT) | instid1(VALU_DEP_2)
	v_cmp_eq_f32_e64 s8, 0, v29
	v_frexp_exp_i32_f64_e32 v26, v[26:27]
	v_frexp_mant_f32_e32 v27, v30
	s_delay_alu instid0(VALU_DEP_1) | instskip(NEXT) | instid1(VALU_DEP_1)
	v_cmp_gt_f32_e64 s5, 0x3f2aaaab, v27
	v_cndmask_b32_e64 v31, 1.0, 2.0, s5
	s_delay_alu instid0(VALU_DEP_1) | instskip(NEXT) | instid1(VALU_DEP_1)
	v_mul_f32_e32 v27, v27, v31
	v_add_f32_e32 v31, 1.0, v27
	v_add_f32_e32 v33, -1.0, v27
	s_delay_alu instid0(VALU_DEP_2) | instskip(SKIP_3) | instid1(VALU_DEP_2)
	v_rcp_f32_e32 v32, v31
	s_waitcnt_depctr 0xfff
	v_dual_mul_f32 v34, v33, v32 :: v_dual_add_f32 v35, -1.0, v31
	v_subrev_co_ci_u32_e64 v26, s6, 0, v26, s5
	v_mul_f32_e32 v36, v31, v34
	s_delay_alu instid0(VALU_DEP_3) | instskip(NEXT) | instid1(VALU_DEP_3)
	v_sub_f32_e32 v27, v27, v35
	v_cvt_f32_i32_e32 v26, v26
	s_delay_alu instid0(VALU_DEP_3) | instskip(NEXT) | instid1(VALU_DEP_1)
	v_fma_f32 v31, v34, v31, -v36
	v_fmac_f32_e32 v31, v34, v27
	s_delay_alu instid0(VALU_DEP_1) | instskip(NEXT) | instid1(VALU_DEP_1)
	v_add_f32_e32 v27, v36, v31
	v_dual_sub_f32 v35, v33, v27 :: v_dual_sub_f32 v36, v27, v36
	s_delay_alu instid0(VALU_DEP_1) | instskip(NEXT) | instid1(VALU_DEP_2)
	v_sub_f32_e32 v33, v33, v35
	v_sub_f32_e32 v31, v36, v31
	s_delay_alu instid0(VALU_DEP_2) | instskip(NEXT) | instid1(VALU_DEP_1)
	v_sub_f32_e32 v27, v33, v27
	v_add_f32_e32 v27, v31, v27
	s_delay_alu instid0(VALU_DEP_1) | instskip(NEXT) | instid1(VALU_DEP_1)
	v_add_f32_e32 v27, v35, v27
	v_mul_f32_e32 v27, v32, v27
	s_delay_alu instid0(VALU_DEP_1) | instskip(NEXT) | instid1(VALU_DEP_1)
	v_add_f32_e32 v31, v34, v27
	v_sub_f32_e32 v32, v31, v34
	v_mul_f32_e32 v33, v31, v31
	s_delay_alu instid0(VALU_DEP_2) | instskip(NEXT) | instid1(VALU_DEP_2)
	v_sub_f32_e32 v27, v27, v32
	v_fma_f32 v32, v31, v31, -v33
	s_delay_alu instid0(VALU_DEP_2) | instskip(NEXT) | instid1(VALU_DEP_1)
	v_add_f32_e32 v34, v27, v27
	v_fmac_f32_e32 v32, v31, v34
	s_delay_alu instid0(VALU_DEP_1) | instskip(NEXT) | instid1(VALU_DEP_1)
	v_add_f32_e32 v34, v33, v32
	v_mul_f32_e32 v38, v31, v34
	v_fmaak_f32 v35, s17, v34, 0x3e91f4c4
	v_sub_f32_e32 v33, v34, v33
	s_delay_alu instid0(VALU_DEP_3) | instskip(NEXT) | instid1(VALU_DEP_2)
	v_fma_f32 v39, v34, v31, -v38
	v_dual_fmaak_f32 v35, v34, v35, 0x3ecccdef :: v_dual_sub_f32 v32, v32, v33
	s_delay_alu instid0(VALU_DEP_1) | instskip(NEXT) | instid1(VALU_DEP_3)
	v_mul_f32_e32 v36, v34, v35
	v_fmac_f32_e32 v39, v34, v27
	v_ldexp_f32 v27, v27, 1
	s_delay_alu instid0(VALU_DEP_3) | instskip(NEXT) | instid1(VALU_DEP_3)
	v_fma_f32 v33, v34, v35, -v36
	v_fmac_f32_e32 v39, v32, v31
	v_ldexp_f32 v31, v31, 1
	s_delay_alu instid0(VALU_DEP_3) | instskip(NEXT) | instid1(VALU_DEP_1)
	v_fmac_f32_e32 v33, v32, v35
	v_dual_add_f32 v34, v38, v39 :: v_dual_add_f32 v35, v36, v33
	s_delay_alu instid0(VALU_DEP_1) | instskip(NEXT) | instid1(VALU_DEP_1)
	v_dual_sub_f32 v36, v35, v36 :: v_dual_add_f32 v37, 0x3f2aaaaa, v35
	v_dual_sub_f32 v33, v33, v36 :: v_dual_add_f32 v36, 0xbf2aaaaa, v37
	s_delay_alu instid0(VALU_DEP_1) | instskip(NEXT) | instid1(VALU_DEP_2)
	v_add_f32_e32 v33, 0x31739010, v33
	v_sub_f32_e32 v35, v35, v36
	s_delay_alu instid0(VALU_DEP_1) | instskip(NEXT) | instid1(VALU_DEP_1)
	v_add_f32_e32 v33, v33, v35
	v_add_f32_e32 v32, v37, v33
	s_delay_alu instid0(VALU_DEP_1) | instskip(SKIP_2) | instid1(VALU_DEP_3)
	v_sub_f32_e32 v35, v37, v32
	v_mul_f32_e32 v36, v34, v32
	v_sub_f32_e32 v37, v34, v38
	v_add_f32_e32 v33, v33, v35
	s_delay_alu instid0(VALU_DEP_3) | instskip(NEXT) | instid1(VALU_DEP_3)
	v_fma_f32 v35, v34, v32, -v36
	v_sub_f32_e32 v37, v39, v37
	s_delay_alu instid0(VALU_DEP_2) | instskip(NEXT) | instid1(VALU_DEP_1)
	v_fmac_f32_e32 v35, v34, v33
	v_fmac_f32_e32 v35, v37, v32
	s_delay_alu instid0(VALU_DEP_1) | instskip(NEXT) | instid1(VALU_DEP_1)
	v_add_f32_e32 v32, v36, v35
	v_sub_f32_e32 v33, v32, v36
	v_add_f32_e32 v34, v31, v32
	s_delay_alu instid0(VALU_DEP_2) | instskip(NEXT) | instid1(VALU_DEP_2)
	v_dual_mul_f32 v36, 0x3f317218, v26 :: v_dual_sub_f32 v33, v35, v33
	v_sub_f32_e32 v31, v34, v31
	s_delay_alu instid0(VALU_DEP_2) | instskip(NEXT) | instid1(VALU_DEP_3)
	v_fma_f32 v35, 0x3f317218, v26, -v36
	v_add_f32_e32 v27, v27, v33
	s_delay_alu instid0(VALU_DEP_3) | instskip(NEXT) | instid1(VALU_DEP_1)
	v_sub_f32_e32 v31, v32, v31
	v_dual_fmac_f32 v35, 0xb102e308, v26 :: v_dual_add_f32 v26, v27, v31
	s_delay_alu instid0(VALU_DEP_1) | instskip(NEXT) | instid1(VALU_DEP_1)
	v_add_f32_e32 v27, v36, v35
	v_dual_add_f32 v31, v34, v26 :: v_dual_sub_f32 v36, v27, v36
	s_delay_alu instid0(VALU_DEP_1) | instskip(SKIP_1) | instid1(VALU_DEP_3)
	v_add_f32_e32 v32, v27, v31
	v_sub_f32_e32 v34, v31, v34
	v_sub_f32_e32 v35, v35, v36
	s_delay_alu instid0(VALU_DEP_2) | instskip(NEXT) | instid1(VALU_DEP_1)
	v_dual_sub_f32 v33, v32, v27 :: v_dual_sub_f32 v26, v26, v34
	v_sub_f32_e32 v37, v32, v33
	v_sub_f32_e32 v31, v31, v33
	s_delay_alu instid0(VALU_DEP_3) | instskip(NEXT) | instid1(VALU_DEP_3)
	v_add_f32_e32 v33, v35, v26
	v_sub_f32_e32 v27, v27, v37
	s_delay_alu instid0(VALU_DEP_1) | instskip(NEXT) | instid1(VALU_DEP_3)
	v_add_f32_e32 v27, v31, v27
	v_sub_f32_e32 v31, v33, v35
	s_delay_alu instid0(VALU_DEP_2) | instskip(NEXT) | instid1(VALU_DEP_2)
	v_add_f32_e32 v27, v33, v27
	v_sub_f32_e32 v33, v33, v31
	v_sub_f32_e32 v26, v26, v31
	s_delay_alu instid0(VALU_DEP_2) | instskip(NEXT) | instid1(VALU_DEP_1)
	v_dual_add_f32 v34, v32, v27 :: v_dual_sub_f32 v31, v35, v33
	v_sub_f32_e32 v32, v34, v32
	s_delay_alu instid0(VALU_DEP_1) | instskip(NEXT) | instid1(VALU_DEP_1)
	v_dual_add_f32 v26, v26, v31 :: v_dual_sub_f32 v27, v27, v32
	v_add_f32_e32 v26, v26, v27
	s_delay_alu instid0(VALU_DEP_1) | instskip(NEXT) | instid1(VALU_DEP_1)
	v_add_f32_e32 v27, v34, v26
	v_dual_sub_f32 v31, v27, v34 :: v_dual_mul_f32 v32, v28, v27
	s_delay_alu instid0(VALU_DEP_1) | instskip(NEXT) | instid1(VALU_DEP_2)
	v_sub_f32_e32 v26, v26, v31
	v_fma_f32 v27, v28, v27, -v32
	v_cmp_class_f32_e64 s5, v32, 0x204
	s_delay_alu instid0(VALU_DEP_2) | instskip(NEXT) | instid1(VALU_DEP_1)
	v_fmac_f32_e32 v27, v28, v26
	v_add_f32_e32 v26, v32, v27
	s_delay_alu instid0(VALU_DEP_1) | instskip(SKIP_1) | instid1(VALU_DEP_2)
	v_cndmask_b32_e64 v31, v26, v32, s5
	v_sub_f32_e32 v26, v26, v32
	v_cmp_eq_f32_e64 s5, 0x42b17218, v31
	s_delay_alu instid0(VALU_DEP_2) | instskip(SKIP_1) | instid1(VALU_DEP_3)
	v_sub_f32_e32 v26, v27, v26
	v_trunc_f32_e32 v27, v28
	v_cndmask_b32_e64 v33, 0, 0x37000000, s5
	v_cmp_neq_f32_e64 s5, 0x7f800000, |v31|
	s_delay_alu instid0(VALU_DEP_2) | instskip(NEXT) | instid1(VALU_DEP_2)
	v_sub_f32_e32 v34, v31, v33
	v_cndmask_b32_e64 v26, 0, v26, s5
	s_delay_alu instid0(VALU_DEP_2) | instskip(NEXT) | instid1(VALU_DEP_2)
	v_mul_f32_e32 v35, 0x3fb8aa3b, v34
	v_add_f32_e32 v26, v33, v26
	v_cmp_ngt_f32_e64 s5, 0xc2ce8ed0, v34
	v_cmp_nlt_f32_e64 s6, 0x42b17218, v34
	s_delay_alu instid0(VALU_DEP_4) | instskip(SKIP_1) | instid1(VALU_DEP_1)
	v_fma_f32 v36, 0x3fb8aa3b, v34, -v35
	v_rndne_f32_e32 v37, v35
	v_dual_fmac_f32 v36, 0x32a5705f, v34 :: v_dual_sub_f32 v35, v35, v37
	v_cvt_i32_f32_e32 v32, v37
	s_delay_alu instid0(VALU_DEP_2) | instskip(NEXT) | instid1(VALU_DEP_1)
	v_add_f32_e32 v35, v35, v36
	v_exp_f32_e32 v35, v35
	s_waitcnt_depctr 0xfff
	v_ldexp_f32 v32, v35, v32
	v_mul_f32_e32 v35, 0.5, v28
	s_delay_alu instid0(VALU_DEP_2) | instskip(NEXT) | instid1(VALU_DEP_2)
	v_cndmask_b32_e64 v31, 0, v32, s5
	v_trunc_f32_e32 v32, v35
	v_cmp_eq_f32_e64 s5, v27, v28
	s_delay_alu instid0(VALU_DEP_3) | instskip(NEXT) | instid1(VALU_DEP_3)
	v_cndmask_b32_e64 v27, 0x7f800000, v31, s6
	v_cmp_neq_f32_e64 s6, v32, v35
	v_cndmask_b32_e64 v31, |s30|, 1.0, s4
	s_delay_alu instid0(VALU_DEP_3) | instskip(NEXT) | instid1(VALU_DEP_3)
	v_fma_f32 v26, v27, v26, v27
	s_and_b32 s4, s5, s6
	v_cmp_gt_f32_e64 s6, 1.0, v30
	v_cndmask_b32_e64 v32, 0, v29, s4
	v_cndmask_b32_e64 v33, 1.0, v29, s4
	v_cmp_class_f32_e64 s4, v27, 0x204
	s_delay_alu instid0(VALU_DEP_1) | instskip(SKIP_1) | instid1(VALU_DEP_2)
	v_cndmask_b32_e64 v26, v26, v27, s4
	v_cmp_neq_f32_e64 s4, v28, v31
	v_bfi_b32 v26, 0x7fffffff, v26, v33
	s_delay_alu instid0(VALU_DEP_2) | instskip(NEXT) | instid1(SALU_CYCLE_1)
	s_xor_b32 s4, s4, s6
	v_cndmask_b32_e64 v27, v31, 0, s4
	s_xor_b32 s4, s7, s8
	s_delay_alu instid0(VALU_DEP_2) | instskip(SKIP_3) | instid1(VALU_DEP_2)
	v_cndmask_b32_e64 v33, 0x7fc00000, v26, s5
	v_cndmask_b32_e64 v34, 0x7f800000, 0, s4
	v_cmp_eq_f32_e64 s4, 1.0, v30
	v_cmp_eq_f32_e64 s5, 0x7f800000, v31
	v_cndmask_b32_e64 v27, v27, v30, s4
	v_cmp_gt_f32_e64 s4, 0, v29
	s_delay_alu instid0(VALU_DEP_1) | instskip(SKIP_2) | instid1(VALU_DEP_3)
	v_cndmask_b32_e64 v26, v26, v33, s4
	v_cmp_eq_f32_e64 s4, 0x7f800000, v30
	v_bfi_b32 v30, 0x7fffffff, v34, v32
	v_cndmask_b32_e64 v26, v26, v27, s5
	s_delay_alu instid0(VALU_DEP_3)
	s_or_b32 s4, s4, s8
	s_delay_alu instid0(VALU_DEP_1) | instid1(SALU_CYCLE_1)
	v_cndmask_b32_e64 v30, v26, v30, s4
	v_add_co_u32 v26, s4, v3, s10
	s_delay_alu instid0(VALU_DEP_1) | instskip(SKIP_1) | instid1(VALU_DEP_1)
	v_add_co_ci_u32_e64 v27, s4, s11, v4, s4
	v_cmp_o_f32_e64 s4, v29, v28
	v_cndmask_b32_e64 v28, 0x7fc00000, v30, s4
	global_store_b32 v[26:27], v28, off
	s_or_b32 exec_lo, exec_lo, s18
	s_and_saveexec_b32 s8, s3
	s_cbranch_execz .LBB91_13
.LBB91_17:                              ;   in Loop: Header=BB91_4 Depth=1
	s_waitcnt vmcnt(0)
	v_cmp_eq_f32_e64 s4, 1.0, v25
	s_delay_alu instid0(VALU_DEP_1) | instskip(NEXT) | instid1(VALU_DEP_1)
	v_cndmask_b32_e64 v28, s30, 1.0, s4
	v_cmp_eq_f32_e64 s3, 0, v28
	s_delay_alu instid0(VALU_DEP_1) | instskip(SKIP_1) | instid1(VALU_DEP_2)
	v_cndmask_b32_e64 v29, |v25|, 1.0, s3
	v_cndmask_b32_e64 v25, v25, 1.0, s3
	v_frexp_mant_f32_e32 v26, v29
	v_cmp_gt_f32_e64 s6, 1.0, v29
	s_delay_alu instid0(VALU_DEP_2) | instskip(NEXT) | instid1(VALU_DEP_1)
	v_cmp_gt_f32_e64 s5, 0x3f2aaaab, v26
	v_cndmask_b32_e64 v27, 1.0, 2.0, s5
	s_delay_alu instid0(VALU_DEP_1) | instskip(NEXT) | instid1(VALU_DEP_1)
	v_mul_f32_e32 v26, v26, v27
	v_add_f32_e32 v27, 1.0, v26
	v_add_f32_e32 v31, -1.0, v26
	s_delay_alu instid0(VALU_DEP_2) | instskip(NEXT) | instid1(VALU_DEP_1)
	v_add_f32_e32 v33, -1.0, v27
	v_sub_f32_e32 v26, v26, v33
	v_rcp_f32_e32 v30, v27
	s_waitcnt_depctr 0xfff
	v_mul_f32_e32 v32, v31, v30
	s_delay_alu instid0(VALU_DEP_1) | instskip(NEXT) | instid1(VALU_DEP_1)
	v_mul_f32_e32 v34, v27, v32
	v_fma_f32 v27, v32, v27, -v34
	s_delay_alu instid0(VALU_DEP_1) | instskip(NEXT) | instid1(VALU_DEP_1)
	v_fmac_f32_e32 v27, v32, v26
	v_add_f32_e32 v26, v34, v27
	s_delay_alu instid0(VALU_DEP_1) | instskip(NEXT) | instid1(VALU_DEP_1)
	v_sub_f32_e32 v33, v31, v26
	v_dual_sub_f32 v34, v26, v34 :: v_dual_sub_f32 v31, v31, v33
	s_delay_alu instid0(VALU_DEP_1) | instskip(NEXT) | instid1(VALU_DEP_1)
	v_dual_sub_f32 v27, v34, v27 :: v_dual_sub_f32 v26, v31, v26
	v_add_f32_e32 v26, v27, v26
	s_delay_alu instid0(VALU_DEP_1) | instskip(NEXT) | instid1(VALU_DEP_1)
	v_add_f32_e32 v26, v33, v26
	v_mul_f32_e32 v26, v30, v26
	s_delay_alu instid0(VALU_DEP_1) | instskip(NEXT) | instid1(VALU_DEP_1)
	v_add_f32_e32 v30, v32, v26
	v_sub_f32_e32 v27, v30, v32
	s_delay_alu instid0(VALU_DEP_1) | instskip(NEXT) | instid1(VALU_DEP_1)
	v_sub_f32_e32 v32, v26, v27
	v_dual_mul_f32 v31, v30, v30 :: v_dual_add_f32 v26, v32, v32
	s_delay_alu instid0(VALU_DEP_1) | instskip(NEXT) | instid1(VALU_DEP_1)
	v_fma_f32 v33, v30, v30, -v31
	v_fmac_f32_e32 v33, v30, v26
	v_cvt_f64_f32_e32 v[26:27], v29
	s_delay_alu instid0(VALU_DEP_2) | instskip(NEXT) | instid1(VALU_DEP_1)
	v_add_f32_e32 v34, v31, v33
	v_fmaak_f32 v35, s17, v34, 0x3e91f4c4
	v_sub_f32_e32 v31, v34, v31
	s_delay_alu instid0(VALU_DEP_2) | instskip(NEXT) | instid1(VALU_DEP_2)
	v_fmaak_f32 v35, v34, v35, 0x3ecccdef
	v_sub_f32_e32 v31, v33, v31
	s_delay_alu instid0(VALU_DEP_2) | instskip(NEXT) | instid1(VALU_DEP_1)
	v_mul_f32_e32 v36, v34, v35
	v_fma_f32 v33, v34, v35, -v36
	s_delay_alu instid0(VALU_DEP_1) | instskip(NEXT) | instid1(VALU_DEP_1)
	v_dual_fmac_f32 v33, v31, v35 :: v_dual_mul_f32 v38, v30, v34
	v_add_f32_e32 v35, v36, v33
	v_frexp_exp_i32_f64_e32 v26, v[26:27]
	s_delay_alu instid0(VALU_DEP_2) | instskip(NEXT) | instid1(VALU_DEP_1)
	v_sub_f32_e32 v36, v35, v36
	v_sub_f32_e32 v27, v33, v36
	v_fma_f32 v36, v34, v30, -v38
	s_delay_alu instid0(VALU_DEP_1) | instskip(NEXT) | instid1(VALU_DEP_1)
	v_dual_add_f32 v37, 0x3f2aaaaa, v35 :: v_dual_fmac_f32 v36, v34, v32
	v_add_f32_e32 v33, 0xbf2aaaaa, v37
	v_ldexp_f32 v32, v32, 1
	s_delay_alu instid0(VALU_DEP_3) | instskip(NEXT) | instid1(VALU_DEP_3)
	v_dual_fmac_f32 v36, v31, v30 :: v_dual_add_f32 v27, 0x31739010, v27
	v_sub_f32_e32 v33, v35, v33
	s_delay_alu instid0(VALU_DEP_1) | instskip(NEXT) | instid1(VALU_DEP_1)
	v_add_f32_e32 v27, v27, v33
	v_add_f32_e32 v31, v37, v27
	s_delay_alu instid0(VALU_DEP_1) | instskip(SKIP_1) | instid1(VALU_DEP_2)
	v_sub_f32_e32 v34, v37, v31
	v_subrev_co_ci_u32_e64 v26, s5, 0, v26, s5
	v_add_f32_e32 v27, v27, v34
	s_delay_alu instid0(VALU_DEP_2) | instskip(SKIP_1) | instid1(VALU_DEP_1)
	v_cvt_f32_i32_e32 v26, v26
	v_add_f32_e32 v33, v38, v36
	v_mul_f32_e32 v35, v33, v31
	v_sub_f32_e32 v37, v33, v38
	s_delay_alu instid0(VALU_DEP_2) | instskip(NEXT) | instid1(VALU_DEP_2)
	v_fma_f32 v34, v33, v31, -v35
	v_sub_f32_e32 v36, v36, v37
	s_delay_alu instid0(VALU_DEP_2) | instskip(SKIP_1) | instid1(VALU_DEP_2)
	v_fmac_f32_e32 v34, v33, v27
	v_ldexp_f32 v27, v30, 1
	v_fmac_f32_e32 v34, v36, v31
	s_delay_alu instid0(VALU_DEP_1) | instskip(NEXT) | instid1(VALU_DEP_1)
	v_add_f32_e32 v30, v35, v34
	v_add_f32_e32 v31, v27, v30
	v_sub_f32_e32 v33, v30, v35
	v_mul_f32_e32 v35, 0x3f317218, v26
	s_delay_alu instid0(VALU_DEP_3) | instskip(NEXT) | instid1(VALU_DEP_3)
	v_sub_f32_e32 v27, v31, v27
	v_sub_f32_e32 v33, v34, v33
	s_delay_alu instid0(VALU_DEP_3) | instskip(NEXT) | instid1(VALU_DEP_2)
	v_fma_f32 v34, 0x3f317218, v26, -v35
	v_dual_sub_f32 v27, v30, v27 :: v_dual_add_f32 v30, v32, v33
	s_delay_alu instid0(VALU_DEP_2) | instskip(NEXT) | instid1(VALU_DEP_2)
	v_fmac_f32_e32 v34, 0xb102e308, v26
	v_add_f32_e32 v26, v30, v27
	s_delay_alu instid0(VALU_DEP_1) | instskip(NEXT) | instid1(VALU_DEP_1)
	v_add_f32_e32 v30, v31, v26
	v_sub_f32_e32 v31, v30, v31
	s_delay_alu instid0(VALU_DEP_1) | instskip(NEXT) | instid1(VALU_DEP_1)
	v_dual_sub_f32 v26, v26, v31 :: v_dual_add_f32 v27, v35, v34
	v_sub_f32_e32 v35, v27, v35
	s_delay_alu instid0(VALU_DEP_1) | instskip(SKIP_1) | instid1(VALU_DEP_2)
	v_sub_f32_e32 v34, v34, v35
	v_add_f32_e32 v32, v27, v30
	v_add_f32_e32 v31, v34, v26
	s_delay_alu instid0(VALU_DEP_2) | instskip(NEXT) | instid1(VALU_DEP_1)
	v_sub_f32_e32 v33, v32, v27
	v_sub_f32_e32 v36, v32, v33
	s_delay_alu instid0(VALU_DEP_1) | instskip(NEXT) | instid1(VALU_DEP_1)
	v_dual_sub_f32 v30, v30, v33 :: v_dual_sub_f32 v27, v27, v36
	v_dual_add_f32 v27, v30, v27 :: v_dual_sub_f32 v30, v31, v34
	s_delay_alu instid0(VALU_DEP_1) | instskip(NEXT) | instid1(VALU_DEP_2)
	v_add_f32_e32 v27, v31, v27
	v_sub_f32_e32 v31, v31, v30
	s_delay_alu instid0(VALU_DEP_2) | instskip(NEXT) | instid1(VALU_DEP_1)
	v_dual_sub_f32 v26, v26, v30 :: v_dual_add_f32 v33, v32, v27
	v_dual_sub_f32 v30, v34, v31 :: v_dual_sub_f32 v31, v33, v32
	s_delay_alu instid0(VALU_DEP_1) | instskip(NEXT) | instid1(VALU_DEP_1)
	v_dual_add_f32 v26, v26, v30 :: v_dual_sub_f32 v27, v27, v31
	v_add_f32_e32 v26, v26, v27
	s_delay_alu instid0(VALU_DEP_1) | instskip(NEXT) | instid1(VALU_DEP_1)
	v_add_f32_e32 v27, v33, v26
	v_dual_sub_f32 v30, v27, v33 :: v_dual_mul_f32 v31, v28, v27
	s_delay_alu instid0(VALU_DEP_1) | instskip(NEXT) | instid1(VALU_DEP_2)
	v_sub_f32_e32 v26, v26, v30
	v_fma_f32 v27, v28, v27, -v31
	v_cmp_class_f32_e64 s5, v31, 0x204
	s_delay_alu instid0(VALU_DEP_2) | instskip(NEXT) | instid1(VALU_DEP_1)
	v_fmac_f32_e32 v27, v28, v26
	v_add_f32_e32 v26, v31, v27
	s_delay_alu instid0(VALU_DEP_1) | instskip(NEXT) | instid1(VALU_DEP_1)
	v_cndmask_b32_e64 v30, v26, v31, s5
	v_cmp_eq_f32_e64 s5, 0x42b17218, v30
	s_delay_alu instid0(VALU_DEP_1) | instskip(SKIP_1) | instid1(VALU_DEP_2)
	v_cndmask_b32_e64 v32, 0, 0x37000000, s5
	v_cmp_neq_f32_e64 s5, 0x7f800000, |v30|
	v_sub_f32_e32 v33, v30, v32
	v_sub_f32_e32 v26, v26, v31
	s_delay_alu instid0(VALU_DEP_2) | instskip(NEXT) | instid1(VALU_DEP_2)
	v_mul_f32_e32 v34, 0x3fb8aa3b, v33
	v_sub_f32_e32 v26, v27, v26
	v_trunc_f32_e32 v27, v28
	s_delay_alu instid0(VALU_DEP_3) | instskip(SKIP_1) | instid1(VALU_DEP_4)
	v_fma_f32 v35, 0x3fb8aa3b, v33, -v34
	v_rndne_f32_e32 v36, v34
	v_cndmask_b32_e64 v26, 0, v26, s5
	v_cmp_ngt_f32_e64 s5, 0xc2ce8ed0, v33
	s_delay_alu instid0(VALU_DEP_3) | instskip(SKIP_1) | instid1(VALU_DEP_4)
	v_dual_fmac_f32 v35, 0x32a5705f, v33 :: v_dual_sub_f32 v34, v34, v36
	v_cvt_i32_f32_e32 v31, v36
	v_add_f32_e32 v26, v32, v26
	s_delay_alu instid0(VALU_DEP_3) | instskip(NEXT) | instid1(VALU_DEP_1)
	v_add_f32_e32 v34, v34, v35
	v_exp_f32_e32 v34, v34
	s_waitcnt_depctr 0xfff
	v_ldexp_f32 v31, v34, v31
	v_mul_f32_e32 v34, 0.5, v28
	s_delay_alu instid0(VALU_DEP_2) | instskip(SKIP_2) | instid1(VALU_DEP_4)
	v_cndmask_b32_e64 v30, 0, v31, s5
	v_cndmask_b32_e64 v31, |s30|, 1.0, s4
	v_cmp_nlt_f32_e64 s4, 0x42b17218, v33
	v_trunc_f32_e32 v35, v34
	s_delay_alu instid0(VALU_DEP_3) | instskip(NEXT) | instid1(VALU_DEP_3)
	v_cmp_neq_f32_e64 s3, v28, v31
	v_cndmask_b32_e64 v30, 0x7f800000, v30, s4
	v_cmp_eq_f32_e64 s4, v27, v28
	s_delay_alu instid0(VALU_DEP_4) | instskip(NEXT) | instid1(VALU_DEP_4)
	v_cmp_neq_f32_e64 s5, v35, v34
	s_xor_b32 s3, s3, s6
	s_delay_alu instid0(VALU_DEP_3) | instskip(SKIP_1) | instid1(VALU_DEP_3)
	v_fma_f32 v26, v30, v26, v30
	v_cmp_class_f32_e64 s7, v30, 0x204
	s_and_b32 s5, s4, s5
	v_cmp_eq_f32_e64 s6, 1.0, v29
	v_cndmask_b32_e64 v27, 1.0, v25, s5
	v_cndmask_b32_e64 v33, 0, v25, s5
	v_cndmask_b32_e64 v26, v26, v30, s7
	v_cmp_gt_f32_e64 s7, 0, v28
	v_cndmask_b32_e64 v30, v31, 0, s3
	v_cmp_eq_f32_e64 s3, 0, v25
	v_cmp_eq_f32_e64 s5, 0x7f800000, v31
	v_bfi_b32 v26, 0x7fffffff, v26, v27
	s_delay_alu instid0(VALU_DEP_4) | instskip(NEXT) | instid1(VALU_DEP_2)
	v_cndmask_b32_e64 v27, v30, v29, s6
	v_cndmask_b32_e64 v30, 0x7fc00000, v26, s4
	s_xor_b32 s4, s7, s3
	s_delay_alu instid0(SALU_CYCLE_1) | instskip(SKIP_1) | instid1(VALU_DEP_1)
	v_cndmask_b32_e64 v32, 0x7f800000, 0, s4
	v_cmp_gt_f32_e64 s4, 0, v25
	v_cndmask_b32_e64 v26, v26, v30, s4
	v_cmp_eq_f32_e64 s4, 0x7f800000, v29
	s_delay_alu instid0(VALU_DEP_4) | instskip(NEXT) | instid1(VALU_DEP_3)
	v_bfi_b32 v29, 0x7fffffff, v32, v33
	v_cndmask_b32_e64 v26, v26, v27, s5
	s_delay_alu instid0(VALU_DEP_3)
	s_or_b32 s3, s4, s3
	s_delay_alu instid0(VALU_DEP_1) | instid1(SALU_CYCLE_1)
	v_cndmask_b32_e64 v26, v26, v29, s3
	v_cmp_o_f32_e64 s3, v25, v28
	s_delay_alu instid0(VALU_DEP_1) | instskip(SKIP_1) | instid1(VALU_DEP_1)
	v_cndmask_b32_e64 v27, 0x7fc00000, v26, s3
	v_add_co_u32 v25, s3, v21, s10
	v_add_co_ci_u32_e64 v26, s3, s11, v22, s3
	global_store_b32 v[25:26], v27, off
	s_or_b32 exec_lo, exec_lo, s8
	s_and_saveexec_b32 s7, s2
	s_cbranch_execz .LBB91_14
.LBB91_18:                              ;   in Loop: Header=BB91_4 Depth=1
	s_waitcnt vmcnt(0)
	v_cmp_eq_f32_e64 s3, 1.0, v24
	s_delay_alu instid0(VALU_DEP_1) | instskip(NEXT) | instid1(VALU_DEP_1)
	v_cndmask_b32_e64 v27, s30, 1.0, s3
	v_cmp_eq_f32_e64 s2, 0, v27
	s_delay_alu instid0(VALU_DEP_1) | instskip(SKIP_1) | instid1(VALU_DEP_2)
	v_cndmask_b32_e64 v28, |v24|, 1.0, s2
	v_cndmask_b32_e64 v24, v24, 1.0, s2
	v_frexp_mant_f32_e32 v25, v28
	v_cmp_gt_f32_e64 s5, 1.0, v28
	s_delay_alu instid0(VALU_DEP_2) | instskip(NEXT) | instid1(VALU_DEP_1)
	v_cmp_gt_f32_e64 s4, 0x3f2aaaab, v25
	v_cndmask_b32_e64 v26, 1.0, 2.0, s4
	s_delay_alu instid0(VALU_DEP_1) | instskip(NEXT) | instid1(VALU_DEP_1)
	v_mul_f32_e32 v25, v25, v26
	v_add_f32_e32 v26, 1.0, v25
	v_add_f32_e32 v30, -1.0, v25
	s_delay_alu instid0(VALU_DEP_2) | instskip(NEXT) | instid1(VALU_DEP_1)
	v_add_f32_e32 v32, -1.0, v26
	v_sub_f32_e32 v25, v25, v32
	v_rcp_f32_e32 v29, v26
	s_waitcnt_depctr 0xfff
	v_mul_f32_e32 v31, v30, v29
	s_delay_alu instid0(VALU_DEP_1) | instskip(NEXT) | instid1(VALU_DEP_1)
	v_mul_f32_e32 v33, v26, v31
	v_fma_f32 v26, v31, v26, -v33
	s_delay_alu instid0(VALU_DEP_1) | instskip(NEXT) | instid1(VALU_DEP_1)
	v_fmac_f32_e32 v26, v31, v25
	v_add_f32_e32 v25, v33, v26
	s_delay_alu instid0(VALU_DEP_1) | instskip(NEXT) | instid1(VALU_DEP_1)
	v_sub_f32_e32 v32, v30, v25
	v_dual_sub_f32 v33, v25, v33 :: v_dual_sub_f32 v30, v30, v32
	s_delay_alu instid0(VALU_DEP_1) | instskip(NEXT) | instid1(VALU_DEP_1)
	v_dual_sub_f32 v26, v33, v26 :: v_dual_sub_f32 v25, v30, v25
	v_add_f32_e32 v25, v26, v25
	s_delay_alu instid0(VALU_DEP_1) | instskip(NEXT) | instid1(VALU_DEP_1)
	v_add_f32_e32 v25, v32, v25
	v_mul_f32_e32 v25, v29, v25
	s_delay_alu instid0(VALU_DEP_1) | instskip(NEXT) | instid1(VALU_DEP_1)
	v_add_f32_e32 v29, v31, v25
	v_sub_f32_e32 v26, v29, v31
	s_delay_alu instid0(VALU_DEP_1) | instskip(NEXT) | instid1(VALU_DEP_1)
	v_sub_f32_e32 v31, v25, v26
	v_dual_mul_f32 v30, v29, v29 :: v_dual_add_f32 v25, v31, v31
	s_delay_alu instid0(VALU_DEP_1) | instskip(NEXT) | instid1(VALU_DEP_1)
	v_fma_f32 v32, v29, v29, -v30
	v_fmac_f32_e32 v32, v29, v25
	v_cvt_f64_f32_e32 v[25:26], v28
	s_delay_alu instid0(VALU_DEP_2) | instskip(NEXT) | instid1(VALU_DEP_1)
	v_add_f32_e32 v33, v30, v32
	v_fmaak_f32 v34, s17, v33, 0x3e91f4c4
	v_sub_f32_e32 v30, v33, v30
	s_delay_alu instid0(VALU_DEP_2) | instskip(NEXT) | instid1(VALU_DEP_2)
	v_fmaak_f32 v34, v33, v34, 0x3ecccdef
	v_sub_f32_e32 v30, v32, v30
	s_delay_alu instid0(VALU_DEP_2) | instskip(NEXT) | instid1(VALU_DEP_1)
	v_mul_f32_e32 v35, v33, v34
	v_fma_f32 v32, v33, v34, -v35
	s_delay_alu instid0(VALU_DEP_1) | instskip(NEXT) | instid1(VALU_DEP_1)
	v_dual_fmac_f32 v32, v30, v34 :: v_dual_mul_f32 v37, v29, v33
	v_add_f32_e32 v34, v35, v32
	v_frexp_exp_i32_f64_e32 v25, v[25:26]
	s_delay_alu instid0(VALU_DEP_2) | instskip(NEXT) | instid1(VALU_DEP_1)
	v_sub_f32_e32 v35, v34, v35
	v_sub_f32_e32 v26, v32, v35
	v_fma_f32 v35, v33, v29, -v37
	s_delay_alu instid0(VALU_DEP_1) | instskip(NEXT) | instid1(VALU_DEP_1)
	v_dual_add_f32 v36, 0x3f2aaaaa, v34 :: v_dual_fmac_f32 v35, v33, v31
	v_add_f32_e32 v32, 0xbf2aaaaa, v36
	v_ldexp_f32 v31, v31, 1
	s_delay_alu instid0(VALU_DEP_3) | instskip(NEXT) | instid1(VALU_DEP_3)
	v_dual_fmac_f32 v35, v30, v29 :: v_dual_add_f32 v26, 0x31739010, v26
	v_sub_f32_e32 v32, v34, v32
	s_delay_alu instid0(VALU_DEP_1) | instskip(NEXT) | instid1(VALU_DEP_1)
	v_add_f32_e32 v26, v26, v32
	v_add_f32_e32 v30, v36, v26
	s_delay_alu instid0(VALU_DEP_1) | instskip(SKIP_1) | instid1(VALU_DEP_2)
	v_sub_f32_e32 v33, v36, v30
	v_subrev_co_ci_u32_e64 v25, s4, 0, v25, s4
	v_add_f32_e32 v26, v26, v33
	s_delay_alu instid0(VALU_DEP_2) | instskip(SKIP_1) | instid1(VALU_DEP_1)
	v_cvt_f32_i32_e32 v25, v25
	v_add_f32_e32 v32, v37, v35
	v_mul_f32_e32 v34, v32, v30
	v_sub_f32_e32 v36, v32, v37
	s_delay_alu instid0(VALU_DEP_2) | instskip(NEXT) | instid1(VALU_DEP_2)
	v_fma_f32 v33, v32, v30, -v34
	v_sub_f32_e32 v35, v35, v36
	s_delay_alu instid0(VALU_DEP_2) | instskip(SKIP_1) | instid1(VALU_DEP_2)
	v_fmac_f32_e32 v33, v32, v26
	v_ldexp_f32 v26, v29, 1
	v_fmac_f32_e32 v33, v35, v30
	s_delay_alu instid0(VALU_DEP_1) | instskip(NEXT) | instid1(VALU_DEP_1)
	v_add_f32_e32 v29, v34, v33
	v_add_f32_e32 v30, v26, v29
	v_sub_f32_e32 v32, v29, v34
	v_mul_f32_e32 v34, 0x3f317218, v25
	s_delay_alu instid0(VALU_DEP_3) | instskip(NEXT) | instid1(VALU_DEP_3)
	v_sub_f32_e32 v26, v30, v26
	v_sub_f32_e32 v32, v33, v32
	s_delay_alu instid0(VALU_DEP_3) | instskip(NEXT) | instid1(VALU_DEP_2)
	v_fma_f32 v33, 0x3f317218, v25, -v34
	v_dual_sub_f32 v26, v29, v26 :: v_dual_add_f32 v29, v31, v32
	s_delay_alu instid0(VALU_DEP_2) | instskip(NEXT) | instid1(VALU_DEP_2)
	v_fmac_f32_e32 v33, 0xb102e308, v25
	v_add_f32_e32 v25, v29, v26
	s_delay_alu instid0(VALU_DEP_1) | instskip(NEXT) | instid1(VALU_DEP_1)
	v_add_f32_e32 v29, v30, v25
	v_sub_f32_e32 v30, v29, v30
	s_delay_alu instid0(VALU_DEP_1) | instskip(NEXT) | instid1(VALU_DEP_1)
	v_dual_sub_f32 v25, v25, v30 :: v_dual_add_f32 v26, v34, v33
	v_sub_f32_e32 v34, v26, v34
	s_delay_alu instid0(VALU_DEP_1) | instskip(SKIP_1) | instid1(VALU_DEP_2)
	v_sub_f32_e32 v33, v33, v34
	v_add_f32_e32 v31, v26, v29
	v_add_f32_e32 v30, v33, v25
	s_delay_alu instid0(VALU_DEP_2) | instskip(NEXT) | instid1(VALU_DEP_1)
	v_sub_f32_e32 v32, v31, v26
	v_sub_f32_e32 v35, v31, v32
	s_delay_alu instid0(VALU_DEP_1) | instskip(NEXT) | instid1(VALU_DEP_1)
	v_dual_sub_f32 v29, v29, v32 :: v_dual_sub_f32 v26, v26, v35
	v_dual_add_f32 v26, v29, v26 :: v_dual_sub_f32 v29, v30, v33
	s_delay_alu instid0(VALU_DEP_1) | instskip(NEXT) | instid1(VALU_DEP_2)
	v_add_f32_e32 v26, v30, v26
	v_sub_f32_e32 v30, v30, v29
	s_delay_alu instid0(VALU_DEP_2) | instskip(NEXT) | instid1(VALU_DEP_1)
	v_dual_sub_f32 v25, v25, v29 :: v_dual_add_f32 v32, v31, v26
	v_dual_sub_f32 v29, v33, v30 :: v_dual_sub_f32 v30, v32, v31
	s_delay_alu instid0(VALU_DEP_1) | instskip(NEXT) | instid1(VALU_DEP_1)
	v_dual_add_f32 v25, v25, v29 :: v_dual_sub_f32 v26, v26, v30
	v_add_f32_e32 v25, v25, v26
	s_delay_alu instid0(VALU_DEP_1) | instskip(NEXT) | instid1(VALU_DEP_1)
	v_add_f32_e32 v26, v32, v25
	v_dual_sub_f32 v29, v26, v32 :: v_dual_mul_f32 v30, v27, v26
	s_delay_alu instid0(VALU_DEP_1) | instskip(NEXT) | instid1(VALU_DEP_2)
	v_sub_f32_e32 v25, v25, v29
	v_fma_f32 v26, v27, v26, -v30
	v_cmp_class_f32_e64 s4, v30, 0x204
	s_delay_alu instid0(VALU_DEP_2) | instskip(NEXT) | instid1(VALU_DEP_1)
	v_fmac_f32_e32 v26, v27, v25
	v_add_f32_e32 v25, v30, v26
	s_delay_alu instid0(VALU_DEP_1) | instskip(NEXT) | instid1(VALU_DEP_1)
	v_cndmask_b32_e64 v29, v25, v30, s4
	v_cmp_eq_f32_e64 s4, 0x42b17218, v29
	s_delay_alu instid0(VALU_DEP_1) | instskip(SKIP_1) | instid1(VALU_DEP_2)
	v_cndmask_b32_e64 v31, 0, 0x37000000, s4
	v_cmp_neq_f32_e64 s4, 0x7f800000, |v29|
	v_sub_f32_e32 v32, v29, v31
	v_sub_f32_e32 v25, v25, v30
	s_delay_alu instid0(VALU_DEP_2) | instskip(NEXT) | instid1(VALU_DEP_2)
	v_mul_f32_e32 v33, 0x3fb8aa3b, v32
	v_sub_f32_e32 v25, v26, v25
	v_trunc_f32_e32 v26, v27
	s_delay_alu instid0(VALU_DEP_3) | instskip(SKIP_1) | instid1(VALU_DEP_4)
	v_fma_f32 v34, 0x3fb8aa3b, v32, -v33
	v_rndne_f32_e32 v35, v33
	v_cndmask_b32_e64 v25, 0, v25, s4
	v_cmp_ngt_f32_e64 s4, 0xc2ce8ed0, v32
	s_delay_alu instid0(VALU_DEP_3) | instskip(SKIP_1) | instid1(VALU_DEP_4)
	v_dual_fmac_f32 v34, 0x32a5705f, v32 :: v_dual_sub_f32 v33, v33, v35
	v_cvt_i32_f32_e32 v30, v35
	v_add_f32_e32 v25, v31, v25
	s_delay_alu instid0(VALU_DEP_3) | instskip(NEXT) | instid1(VALU_DEP_1)
	v_add_f32_e32 v33, v33, v34
	v_exp_f32_e32 v33, v33
	s_waitcnt_depctr 0xfff
	v_ldexp_f32 v30, v33, v30
	v_mul_f32_e32 v33, 0.5, v27
	s_delay_alu instid0(VALU_DEP_2) | instskip(SKIP_2) | instid1(VALU_DEP_4)
	v_cndmask_b32_e64 v29, 0, v30, s4
	v_cndmask_b32_e64 v30, |s30|, 1.0, s3
	v_cmp_nlt_f32_e64 s3, 0x42b17218, v32
	v_trunc_f32_e32 v34, v33
	s_delay_alu instid0(VALU_DEP_3) | instskip(NEXT) | instid1(VALU_DEP_3)
	v_cmp_neq_f32_e64 s2, v27, v30
	v_cndmask_b32_e64 v29, 0x7f800000, v29, s3
	v_cmp_eq_f32_e64 s3, v26, v27
	s_delay_alu instid0(VALU_DEP_4) | instskip(NEXT) | instid1(VALU_DEP_4)
	v_cmp_neq_f32_e64 s4, v34, v33
	s_xor_b32 s2, s2, s5
	s_delay_alu instid0(VALU_DEP_3) | instskip(SKIP_1) | instid1(VALU_DEP_3)
	v_fma_f32 v25, v29, v25, v29
	v_cmp_class_f32_e64 s6, v29, 0x204
	s_and_b32 s4, s3, s4
	v_cmp_eq_f32_e64 s5, 1.0, v28
	v_cndmask_b32_e64 v26, 1.0, v24, s4
	v_cndmask_b32_e64 v32, 0, v24, s4
	v_cndmask_b32_e64 v25, v25, v29, s6
	v_cmp_gt_f32_e64 s6, 0, v27
	v_cndmask_b32_e64 v29, v30, 0, s2
	v_cmp_eq_f32_e64 s2, 0, v24
	v_cmp_eq_f32_e64 s4, 0x7f800000, v30
	v_bfi_b32 v25, 0x7fffffff, v25, v26
	s_delay_alu instid0(VALU_DEP_4) | instskip(NEXT) | instid1(VALU_DEP_2)
	v_cndmask_b32_e64 v26, v29, v28, s5
	v_cndmask_b32_e64 v29, 0x7fc00000, v25, s3
	s_xor_b32 s3, s6, s2
	s_delay_alu instid0(SALU_CYCLE_1) | instskip(SKIP_1) | instid1(VALU_DEP_1)
	v_cndmask_b32_e64 v31, 0x7f800000, 0, s3
	v_cmp_gt_f32_e64 s3, 0, v24
	v_cndmask_b32_e64 v25, v25, v29, s3
	v_cmp_eq_f32_e64 s3, 0x7f800000, v28
	s_delay_alu instid0(VALU_DEP_4) | instskip(NEXT) | instid1(VALU_DEP_3)
	v_bfi_b32 v28, 0x7fffffff, v31, v32
	v_cndmask_b32_e64 v25, v25, v26, s4
	s_delay_alu instid0(VALU_DEP_3)
	s_or_b32 s2, s3, s2
	s_delay_alu instid0(VALU_DEP_1) | instid1(SALU_CYCLE_1)
	v_cndmask_b32_e64 v25, v25, v28, s2
	v_cmp_o_f32_e64 s2, v24, v27
	s_delay_alu instid0(VALU_DEP_1) | instskip(SKIP_1) | instid1(VALU_DEP_1)
	v_cndmask_b32_e64 v26, 0x7fc00000, v25, s2
	v_add_co_u32 v24, s2, v14, s10
	v_add_co_ci_u32_e64 v25, s2, s11, v15, s2
	global_store_b32 v[24:25], v26, off
	s_or_b32 exec_lo, exec_lo, s7
	s_and_saveexec_b32 s6, vcc_lo
	s_cbranch_execz .LBB91_3
.LBB91_19:                              ;   in Loop: Header=BB91_4 Depth=1
	s_waitcnt vmcnt(0)
	v_cmp_eq_f32_e64 s2, 1.0, v23
	s_delay_alu instid0(VALU_DEP_1) | instskip(NEXT) | instid1(VALU_DEP_1)
	v_cndmask_b32_e64 v26, s30, 1.0, s2
	v_cmp_eq_f32_e32 vcc_lo, 0, v26
	v_cndmask_b32_e64 v27, |v23|, 1.0, vcc_lo
	v_cndmask_b32_e64 v23, v23, 1.0, vcc_lo
	s_delay_alu instid0(VALU_DEP_2) | instskip(SKIP_1) | instid1(VALU_DEP_2)
	v_frexp_mant_f32_e32 v24, v27
	v_cmp_gt_f32_e64 s4, 1.0, v27
	v_cmp_gt_f32_e64 s3, 0x3f2aaaab, v24
	s_delay_alu instid0(VALU_DEP_1) | instskip(NEXT) | instid1(VALU_DEP_1)
	v_cndmask_b32_e64 v25, 1.0, 2.0, s3
	v_mul_f32_e32 v24, v24, v25
	s_delay_alu instid0(VALU_DEP_1) | instskip(SKIP_1) | instid1(VALU_DEP_2)
	v_add_f32_e32 v25, 1.0, v24
	v_add_f32_e32 v29, -1.0, v24
	v_add_f32_e32 v31, -1.0, v25
	s_delay_alu instid0(VALU_DEP_1) | instskip(SKIP_3) | instid1(VALU_DEP_1)
	v_sub_f32_e32 v24, v24, v31
	v_rcp_f32_e32 v28, v25
	s_waitcnt_depctr 0xfff
	v_mul_f32_e32 v30, v29, v28
	v_mul_f32_e32 v32, v25, v30
	s_delay_alu instid0(VALU_DEP_1) | instskip(NEXT) | instid1(VALU_DEP_1)
	v_fma_f32 v25, v30, v25, -v32
	v_fmac_f32_e32 v25, v30, v24
	s_delay_alu instid0(VALU_DEP_1) | instskip(NEXT) | instid1(VALU_DEP_1)
	v_add_f32_e32 v24, v32, v25
	v_sub_f32_e32 v31, v29, v24
	s_delay_alu instid0(VALU_DEP_1) | instskip(NEXT) | instid1(VALU_DEP_1)
	v_dual_sub_f32 v32, v24, v32 :: v_dual_sub_f32 v29, v29, v31
	v_dual_sub_f32 v25, v32, v25 :: v_dual_sub_f32 v24, v29, v24
	s_delay_alu instid0(VALU_DEP_1) | instskip(NEXT) | instid1(VALU_DEP_1)
	v_add_f32_e32 v24, v25, v24
	v_add_f32_e32 v24, v31, v24
	s_delay_alu instid0(VALU_DEP_1) | instskip(NEXT) | instid1(VALU_DEP_1)
	v_mul_f32_e32 v24, v28, v24
	v_add_f32_e32 v28, v30, v24
	s_delay_alu instid0(VALU_DEP_1) | instskip(NEXT) | instid1(VALU_DEP_1)
	v_sub_f32_e32 v25, v28, v30
	v_sub_f32_e32 v30, v24, v25
	s_delay_alu instid0(VALU_DEP_1) | instskip(NEXT) | instid1(VALU_DEP_1)
	v_dual_mul_f32 v29, v28, v28 :: v_dual_add_f32 v24, v30, v30
	v_fma_f32 v31, v28, v28, -v29
	s_delay_alu instid0(VALU_DEP_1) | instskip(SKIP_1) | instid1(VALU_DEP_2)
	v_fmac_f32_e32 v31, v28, v24
	v_cvt_f64_f32_e32 v[24:25], v27
	v_add_f32_e32 v32, v29, v31
	s_delay_alu instid0(VALU_DEP_1) | instskip(SKIP_1) | instid1(VALU_DEP_2)
	v_fmaak_f32 v33, s17, v32, 0x3e91f4c4
	v_sub_f32_e32 v29, v32, v29
	v_fmaak_f32 v33, v32, v33, 0x3ecccdef
	s_delay_alu instid0(VALU_DEP_2) | instskip(NEXT) | instid1(VALU_DEP_2)
	v_sub_f32_e32 v29, v31, v29
	v_mul_f32_e32 v34, v32, v33
	s_delay_alu instid0(VALU_DEP_1) | instskip(NEXT) | instid1(VALU_DEP_1)
	v_fma_f32 v31, v32, v33, -v34
	v_dual_fmac_f32 v31, v29, v33 :: v_dual_mul_f32 v36, v28, v32
	s_delay_alu instid0(VALU_DEP_1) | instskip(SKIP_1) | instid1(VALU_DEP_2)
	v_add_f32_e32 v33, v34, v31
	v_frexp_exp_i32_f64_e32 v24, v[24:25]
	v_sub_f32_e32 v34, v33, v34
	s_delay_alu instid0(VALU_DEP_1) | instskip(SKIP_1) | instid1(VALU_DEP_1)
	v_sub_f32_e32 v25, v31, v34
	v_fma_f32 v34, v32, v28, -v36
	v_dual_add_f32 v35, 0x3f2aaaaa, v33 :: v_dual_fmac_f32 v34, v32, v30
	s_delay_alu instid0(VALU_DEP_1) | instskip(SKIP_1) | instid1(VALU_DEP_3)
	v_add_f32_e32 v31, 0xbf2aaaaa, v35
	v_ldexp_f32 v30, v30, 1
	v_dual_fmac_f32 v34, v29, v28 :: v_dual_add_f32 v25, 0x31739010, v25
	s_delay_alu instid0(VALU_DEP_3) | instskip(NEXT) | instid1(VALU_DEP_1)
	v_sub_f32_e32 v31, v33, v31
	v_add_f32_e32 v25, v25, v31
	s_delay_alu instid0(VALU_DEP_1) | instskip(NEXT) | instid1(VALU_DEP_1)
	v_add_f32_e32 v29, v35, v25
	v_sub_f32_e32 v32, v35, v29
	v_subrev_co_ci_u32_e64 v24, s3, 0, v24, s3
	s_delay_alu instid0(VALU_DEP_2) | instskip(NEXT) | instid1(VALU_DEP_2)
	v_add_f32_e32 v25, v25, v32
	v_cvt_f32_i32_e32 v24, v24
	v_add_f32_e32 v31, v36, v34
	s_delay_alu instid0(VALU_DEP_1) | instskip(SKIP_1) | instid1(VALU_DEP_2)
	v_mul_f32_e32 v33, v31, v29
	v_sub_f32_e32 v35, v31, v36
	v_fma_f32 v32, v31, v29, -v33
	s_delay_alu instid0(VALU_DEP_2) | instskip(NEXT) | instid1(VALU_DEP_2)
	v_sub_f32_e32 v34, v34, v35
	v_fmac_f32_e32 v32, v31, v25
	v_ldexp_f32 v25, v28, 1
	s_delay_alu instid0(VALU_DEP_2) | instskip(NEXT) | instid1(VALU_DEP_1)
	v_fmac_f32_e32 v32, v34, v29
	v_add_f32_e32 v28, v33, v32
	s_delay_alu instid0(VALU_DEP_1) | instskip(SKIP_2) | instid1(VALU_DEP_3)
	v_add_f32_e32 v29, v25, v28
	v_sub_f32_e32 v31, v28, v33
	v_mul_f32_e32 v33, 0x3f317218, v24
	v_sub_f32_e32 v25, v29, v25
	s_delay_alu instid0(VALU_DEP_3) | instskip(NEXT) | instid1(VALU_DEP_3)
	v_sub_f32_e32 v31, v32, v31
	v_fma_f32 v32, 0x3f317218, v24, -v33
	s_delay_alu instid0(VALU_DEP_2) | instskip(NEXT) | instid1(VALU_DEP_2)
	v_dual_sub_f32 v25, v28, v25 :: v_dual_add_f32 v28, v30, v31
	v_fmac_f32_e32 v32, 0xb102e308, v24
	s_delay_alu instid0(VALU_DEP_2) | instskip(NEXT) | instid1(VALU_DEP_1)
	v_add_f32_e32 v24, v28, v25
	v_add_f32_e32 v28, v29, v24
	s_delay_alu instid0(VALU_DEP_1) | instskip(NEXT) | instid1(VALU_DEP_1)
	v_sub_f32_e32 v29, v28, v29
	v_dual_sub_f32 v24, v24, v29 :: v_dual_add_f32 v25, v33, v32
	s_delay_alu instid0(VALU_DEP_1) | instskip(NEXT) | instid1(VALU_DEP_1)
	v_sub_f32_e32 v33, v25, v33
	v_sub_f32_e32 v32, v32, v33
	v_add_f32_e32 v30, v25, v28
	s_delay_alu instid0(VALU_DEP_2) | instskip(NEXT) | instid1(VALU_DEP_2)
	v_add_f32_e32 v29, v32, v24
	v_sub_f32_e32 v31, v30, v25
	s_delay_alu instid0(VALU_DEP_1) | instskip(NEXT) | instid1(VALU_DEP_1)
	v_sub_f32_e32 v34, v30, v31
	v_dual_sub_f32 v28, v28, v31 :: v_dual_sub_f32 v25, v25, v34
	s_delay_alu instid0(VALU_DEP_1) | instskip(NEXT) | instid1(VALU_DEP_1)
	v_dual_add_f32 v25, v28, v25 :: v_dual_sub_f32 v28, v29, v32
	v_add_f32_e32 v25, v29, v25
	s_delay_alu instid0(VALU_DEP_2) | instskip(NEXT) | instid1(VALU_DEP_2)
	v_sub_f32_e32 v29, v29, v28
	v_dual_sub_f32 v24, v24, v28 :: v_dual_add_f32 v31, v30, v25
	s_delay_alu instid0(VALU_DEP_1) | instskip(NEXT) | instid1(VALU_DEP_1)
	v_dual_sub_f32 v28, v32, v29 :: v_dual_sub_f32 v29, v31, v30
	v_dual_add_f32 v24, v24, v28 :: v_dual_sub_f32 v25, v25, v29
	s_delay_alu instid0(VALU_DEP_1) | instskip(NEXT) | instid1(VALU_DEP_1)
	v_add_f32_e32 v24, v24, v25
	v_add_f32_e32 v25, v31, v24
	s_delay_alu instid0(VALU_DEP_1) | instskip(NEXT) | instid1(VALU_DEP_1)
	v_dual_sub_f32 v28, v25, v31 :: v_dual_mul_f32 v29, v26, v25
	v_sub_f32_e32 v24, v24, v28
	s_delay_alu instid0(VALU_DEP_2) | instskip(SKIP_1) | instid1(VALU_DEP_2)
	v_fma_f32 v25, v26, v25, -v29
	v_cmp_class_f32_e64 s3, v29, 0x204
	v_fmac_f32_e32 v25, v26, v24
	s_delay_alu instid0(VALU_DEP_1) | instskip(NEXT) | instid1(VALU_DEP_1)
	v_add_f32_e32 v24, v29, v25
	v_cndmask_b32_e64 v28, v24, v29, s3
	s_delay_alu instid0(VALU_DEP_1) | instskip(NEXT) | instid1(VALU_DEP_1)
	v_cmp_eq_f32_e64 s3, 0x42b17218, v28
	v_cndmask_b32_e64 v30, 0, 0x37000000, s3
	v_cmp_neq_f32_e64 s3, 0x7f800000, |v28|
	s_delay_alu instid0(VALU_DEP_2) | instskip(SKIP_1) | instid1(VALU_DEP_2)
	v_sub_f32_e32 v31, v28, v30
	v_sub_f32_e32 v24, v24, v29
	v_mul_f32_e32 v32, 0x3fb8aa3b, v31
	s_delay_alu instid0(VALU_DEP_2) | instskip(SKIP_1) | instid1(VALU_DEP_3)
	v_sub_f32_e32 v24, v25, v24
	v_trunc_f32_e32 v25, v26
	v_fma_f32 v33, 0x3fb8aa3b, v31, -v32
	v_rndne_f32_e32 v34, v32
	s_delay_alu instid0(VALU_DEP_4) | instskip(SKIP_1) | instid1(VALU_DEP_3)
	v_cndmask_b32_e64 v24, 0, v24, s3
	v_cmp_ngt_f32_e64 s3, 0xc2ce8ed0, v31
	v_dual_fmac_f32 v33, 0x32a5705f, v31 :: v_dual_sub_f32 v32, v32, v34
	v_cvt_i32_f32_e32 v29, v34
	s_delay_alu instid0(VALU_DEP_4) | instskip(NEXT) | instid1(VALU_DEP_3)
	v_add_f32_e32 v24, v30, v24
	v_add_f32_e32 v32, v32, v33
	s_delay_alu instid0(VALU_DEP_1) | instskip(SKIP_3) | instid1(VALU_DEP_2)
	v_exp_f32_e32 v32, v32
	s_waitcnt_depctr 0xfff
	v_ldexp_f32 v29, v32, v29
	v_mul_f32_e32 v32, 0.5, v26
	v_cndmask_b32_e64 v28, 0, v29, s3
	v_cndmask_b32_e64 v29, |s30|, 1.0, s2
	v_cmp_nlt_f32_e64 s2, 0x42b17218, v31
	s_delay_alu instid0(VALU_DEP_4) | instskip(NEXT) | instid1(VALU_DEP_3)
	v_trunc_f32_e32 v33, v32
	v_cmp_neq_f32_e32 vcc_lo, v26, v29
	s_delay_alu instid0(VALU_DEP_3) | instskip(SKIP_1) | instid1(VALU_DEP_4)
	v_cndmask_b32_e64 v28, 0x7f800000, v28, s2
	v_cmp_eq_f32_e64 s2, v25, v26
	v_cmp_neq_f32_e64 s3, v33, v32
	s_xor_b32 s4, vcc_lo, s4
	s_delay_alu instid0(VALU_DEP_3) | instskip(SKIP_1) | instid1(VALU_DEP_3)
	v_fma_f32 v24, v28, v24, v28
	v_cmp_class_f32_e64 s5, v28, 0x204
	s_and_b32 s3, s2, s3
	v_cmp_eq_f32_e32 vcc_lo, 0, v23
	v_cndmask_b32_e64 v25, 1.0, v23, s3
	v_cndmask_b32_e64 v31, 0, v23, s3
	v_cndmask_b32_e64 v24, v24, v28, s5
	v_cmp_gt_f32_e64 s5, 0, v26
	v_cndmask_b32_e64 v28, v29, 0, s4
	v_cmp_eq_f32_e64 s4, 1.0, v27
	v_cmp_eq_f32_e64 s3, 0x7f800000, v29
	v_bfi_b32 v24, 0x7fffffff, v24, v25
	s_delay_alu instid0(VALU_DEP_3) | instskip(NEXT) | instid1(VALU_DEP_2)
	v_cndmask_b32_e64 v25, v28, v27, s4
	v_cndmask_b32_e64 v28, 0x7fc00000, v24, s2
	s_xor_b32 s2, s5, vcc_lo
	s_delay_alu instid0(SALU_CYCLE_1) | instskip(SKIP_1) | instid1(VALU_DEP_1)
	v_cndmask_b32_e64 v30, 0x7f800000, 0, s2
	v_cmp_gt_f32_e64 s2, 0, v23
	v_cndmask_b32_e64 v24, v24, v28, s2
	v_cmp_eq_f32_e64 s2, 0x7f800000, v27
	s_delay_alu instid0(VALU_DEP_4) | instskip(NEXT) | instid1(VALU_DEP_3)
	v_bfi_b32 v27, 0x7fffffff, v30, v31
	v_cndmask_b32_e64 v24, v24, v25, s3
	s_delay_alu instid0(VALU_DEP_3) | instskip(NEXT) | instid1(VALU_DEP_1)
	s_or_b32 vcc_lo, s2, vcc_lo
	v_cndmask_b32_e32 v24, v24, v27, vcc_lo
	v_cmp_o_f32_e32 vcc_lo, v23, v26
	s_delay_alu instid0(VALU_DEP_2)
	v_cndmask_b32_e32 v25, 0x7fc00000, v24, vcc_lo
	v_add_co_u32 v23, vcc_lo, v7, s10
	v_add_co_ci_u32_e32 v24, vcc_lo, s11, v8, vcc_lo
	global_store_b32 v[23:24], v25, off
	s_branch .LBB91_3
.LBB91_20:
	s_mov_b32 s6, 0
.LBB91_21:
	s_delay_alu instid0(SALU_CYCLE_1)
	s_and_not1_b32 vcc_lo, exec_lo, s6
	s_cbranch_vccnz .LBB91_25
; %bb.22:
	v_dual_mov_b32 v5, 0 :: v_dual_lshlrev_b32 v4, 2, v0
	s_mov_b32 s36, 0
	s_mov_b32 s2, exec_lo
	s_delay_alu instid0(VALU_DEP_1)
	v_cmpx_gt_i64_e64 s[28:29], v[4:5]
	s_cbranch_execz .LBB91_25
; %bb.23:
	s_load_b32 s0, s[0:1], 0xd54
	v_lshlrev_b32_e32 v8, 4, v0
	s_mov_b32 s39, 0x3e76c4e1
	s_waitcnt lgkmcnt(0)
	s_and_b32 s0, s0, 0xffff
	s_delay_alu instid0(SALU_CYCLE_1)
	v_add_lshl_u32 v4, v0, s0, 2
	s_lshl_b32 s37, s0, 2
	s_lshl_b32 s38, s0, 4
.LBB91_24:                              ; =>This Inner Loop Header: Depth=1
	v_add_co_u32 v0, s0, s31, v8
	s_delay_alu instid0(VALU_DEP_1)
	v_add_co_ci_u32_e64 v1, null, s33, 0, s0
	v_cmp_le_i64_e32 vcc_lo, s[28:29], v[4:5]
	v_cmp_lt_u64_e64 s0, 0xffff, v[4:5]
	v_add_co_u32 v6, s1, s34, v8
	global_load_b128 v[0:3], v[0:1], off
	v_add_co_ci_u32_e64 v7, null, s35, 0, s1
	v_add_co_u32 v4, s1, v4, s37
	s_delay_alu instid0(VALU_DEP_1)
	v_add_co_ci_u32_e64 v5, s1, 0, v5, s1
	s_or_b32 s40, vcc_lo, s0
	s_waitcnt vmcnt(0)
	v_cmp_eq_f32_e32 vcc_lo, 1.0, v0
	v_cmp_eq_f32_e64 s1, 1.0, v2
	v_cmp_eq_f32_e64 s2, 1.0, v3
	;; [unrolled: 1-line block ×3, first 2 shown]
	v_cndmask_b32_e64 v9, s30, 1.0, vcc_lo
	s_delay_alu instid0(VALU_DEP_4) | instskip(NEXT) | instid1(VALU_DEP_4)
	v_cndmask_b32_e64 v11, s30, 1.0, s1
	v_cndmask_b32_e64 v12, s30, 1.0, s2
	s_delay_alu instid0(VALU_DEP_4)
	v_cndmask_b32_e64 v10, s30, 1.0, s0
	v_cndmask_b32_e64 v13, |s30|, 1.0, vcc_lo
	v_cmp_eq_f32_e64 s3, 0, v9
	v_cmp_eq_f32_e64 s5, 0, v11
	v_cmp_eq_f32_e64 s7, 0, v12
	v_cmp_eq_f32_e64 s4, 0, v10
	v_cndmask_b32_e64 v15, |s30|, 1.0, s1
	v_cndmask_b32_e64 v17, |v0|, 1.0, s3
	;; [unrolled: 1-line block ×5, first 2 shown]
	v_cmp_neq_f32_e64 s8, v9, v13
	v_cmp_gt_f32_e64 s9, 1.0, v17
	v_cmp_neq_f32_e64 s16, v11, v15
	v_cmp_gt_f32_e64 s17, 1.0, v23
	v_frexp_mant_f32_e32 v40, v37
	v_trunc_f32_e32 v18, v9
	v_dual_mul_f32 v19, 0.5, v9 :: v_dual_mul_f32 v22, 0.5, v10
	v_frexp_mant_f32_e32 v38, v20
	v_cndmask_b32_e64 v2, v2, 1.0, s5
	s_xor_b32 s5, s8, s9
	s_xor_b32 s9, s16, s17
	v_cmp_gt_f32_e64 s17, 0x3f2aaaab, v40
	v_cmp_eq_f32_e64 s1, v18, v9
	v_trunc_f32_e32 v18, v19
	v_cmp_gt_f32_e64 s23, 0x3f2aaaab, v38
	v_cndmask_b32_e64 v14, |s30|, 1.0, s0
	v_trunc_f32_e32 v24, v11
	v_cndmask_b32_e64 v16, |s30|, 1.0, s2
	v_cndmask_b32_e64 v42, 1.0, 2.0, s17
	v_mul_f32_e32 v25, 0.5, v11
	v_cvt_f64_f32_e32 v[29:30], v17
	v_cvt_f64_f32_e32 v[31:32], v20
	v_cvt_f64_f32_e32 v[35:36], v37
	v_mul_f32_e32 v40, v40, v42
	v_trunc_f32_e32 v21, v10
	v_trunc_f32_e32 v26, v12
	v_frexp_mant_f32_e32 v28, v17
	v_frexp_mant_f32_e32 v39, v23
	v_cmp_neq_f32_e64 s21, v18, v19
	v_cndmask_b32_e64 v19, 1.0, 2.0, s23
	v_mul_f32_e32 v27, 0.5, v12
	v_cndmask_b32_e64 v0, v0, 1.0, s3
	v_cmp_neq_f32_e64 s10, v10, v14
	v_cmp_gt_f32_e64 s15, 1.0, v20
	v_mul_f32_e32 v38, v38, v19
	v_cmp_eq_f32_e64 s6, v24, v11
	v_trunc_f32_e32 v24, v25
	v_cmp_neq_f32_e64 s18, v12, v16
	v_cmp_gt_f32_e64 s19, 1.0, v37
	v_cndmask_b32_e64 v1, v1, 1.0, s4
	v_cmp_eq_f32_e64 s4, v21, v10
	v_trunc_f32_e32 v21, v22
	v_cndmask_b32_e64 v3, v3, 1.0, s7
	v_cmp_eq_f32_e64 s7, v26, v12
	v_trunc_f32_e32 v26, v27
	v_cmp_gt_f32_e64 s20, 0x3f2aaaab, v28
	v_cmp_gt_f32_e64 s25, 0x3f2aaaab, v39
	;; [unrolled: 1-line block ×4, first 2 shown]
	v_cndmask_b32_e64 v18, v13, 0, s5
	v_cmp_eq_f32_e64 s5, 0, v0
	s_xor_b32 s8, s10, s15
	v_cmp_neq_f32_e64 s26, v24, v25
	v_cndmask_b32_e64 v24, v15, 0, s9
	v_cmp_eq_f32_e64 s9, 0, v2
	s_xor_b32 s10, s18, s19
	v_cvt_f64_f32_e32 v[33:34], v23
	v_cmp_gt_f32_e64 s12, 0, v10
	v_cmp_gt_f32_e64 s14, 0, v12
	v_cndmask_b32_e64 v41, 1.0, 2.0, s20
	v_cmp_neq_f32_e64 s24, v21, v22
	v_cndmask_b32_e64 v21, v14, 0, s8
	v_cmp_eq_f32_e64 s8, 0, v1
	v_cndmask_b32_e64 v22, 1.0, 2.0, s25
	v_cmp_neq_f32_e64 s27, v26, v27
	v_cndmask_b32_e64 v43, v16, 0, s10
	v_cmp_eq_f32_e64 s10, 0, v3
	v_cmp_eq_f32_e64 s22, 1.0, v17
	v_cmp_eq_f32_e64 s15, 1.0, v20
	;; [unrolled: 1-line block ×4, first 2 shown]
	v_dual_add_f32 v47, -1.0, v38 :: v_dual_add_f32 v52, 1.0, v40
	s_xor_b32 s11, s11, s5
	s_xor_b32 s13, s13, s9
	v_dual_mul_f32 v41, v28, v41 :: v_dual_add_f32 v48, 1.0, v38
	v_cndmask_b32_e64 v44, 0x7f800000, 0, s11
	s_and_b32 s11, s4, s24
	s_xor_b32 s12, s12, s8
	s_delay_alu instid0(VALU_DEP_2)
	v_dual_mul_f32 v39, v39, v22 :: v_dual_add_f32 v46, 1.0, v41
	v_cndmask_b32_e64 v22, 0x7f800000, 0, s13
	s_and_b32 s13, s7, s27
	s_xor_b32 s14, s14, s10
	v_cmp_eq_f32_e32 vcc_lo, 0x7f800000, v17
	v_cmp_eq_f32_e64 s0, 0x7f800000, v20
	v_cmp_eq_f32_e64 s3, 0x7f800000, v37
	v_cndmask_b32_e64 v17, v18, v17, s22
	v_cndmask_b32_e64 v18, v21, v20, s15
	;; [unrolled: 1-line block ×8, first 2 shown]
	v_rcp_f32_e32 v55, v52
	s_and_b32 s19, s1, s21
	v_cmp_eq_f32_e64 s2, 0x7f800000, v23
	v_cndmask_b32_e64 v23, 0, v0, s19
	v_dual_add_f32 v49, -1.0, v39 :: v_dual_add_f32 v56, -1.0, v52
	v_bfi_b32 v24, 0x7fffffff, v21, v24
	v_bfi_b32 v21, 0x7fffffff, v37, v43
	v_add_f32_e32 v43, -1.0, v48
	v_add_f32_e32 v51, -1.0, v40
	s_and_b32 s12, s6, s26
	v_bfi_b32 v23, 0x7fffffff, v44, v23
	v_cndmask_b32_e64 v42, 0, v2, s12
	v_dual_sub_f32 v38, v38, v43 :: v_dual_add_f32 v37, -1.0, v46
	v_sub_f32_e32 v40, v40, v56
	v_rcp_f32_e32 v44, v48
	v_dual_mul_f32 v56, v51, v55 :: v_dual_add_f32 v45, -1.0, v41
	v_add_f32_e32 v50, 1.0, v39
	v_bfi_b32 v22, 0x7fffffff, v22, v42
	v_rcp_f32_e32 v42, v46
	s_delay_alu instid0(VALU_DEP_3) | instskip(SKIP_2) | instid1(TRANS32_DEP_2)
	v_dual_sub_f32 v37, v41, v37 :: v_dual_mul_f32 v60, v52, v56
	v_frexp_exp_i32_f64_e32 v29, v[29:30]
	v_frexp_exp_i32_f64_e32 v30, v[31:32]
	v_mul_f32_e32 v43, v47, v44
	v_add_f32_e32 v53, -1.0, v50
	v_frexp_exp_i32_f64_e32 v32, v[35:36]
	v_fma_f32 v36, v56, v52, -v60
	v_rcp_f32_e32 v54, v50
	s_delay_alu instid0(VALU_DEP_3) | instskip(SKIP_1) | instid1(VALU_DEP_3)
	v_dual_mul_f32 v58, v48, v43 :: v_dual_sub_f32 v39, v39, v53
	v_frexp_exp_i32_f64_e32 v31, v[33:34]
	v_dual_fmac_f32 v36, v56, v40 :: v_dual_mul_f32 v41, v45, v42
	s_delay_alu instid0(VALU_DEP_3) | instskip(SKIP_2) | instid1(VALU_DEP_4)
	v_fma_f32 v34, v43, v48, -v58
	v_cndmask_b32_e64 v26, 1.0, v1, s11
	v_cndmask_b32_e64 v27, 1.0, v2, s12
	v_dual_add_f32 v40, v60, v36 :: v_dual_mul_f32 v57, v46, v41
	s_delay_alu instid0(VALU_DEP_4) | instskip(NEXT) | instid1(TRANS32_DEP_1)
	v_fmac_f32_e32 v34, v43, v38
	v_mul_f32_e32 v53, v49, v54
	v_cndmask_b32_e64 v28, 1.0, v3, s13
	v_cndmask_b32_e64 v25, 1.0, v0, s19
	v_fma_f32 v33, v41, v46, -v57
	v_add_f32_e32 v38, v58, v34
	v_mul_f32_e32 v59, v50, v53
	s_or_b32 s0, s0, s8
	s_or_b32 vcc_lo, vcc_lo, s5
	s_delay_alu instid0(VALU_DEP_2) | instskip(NEXT) | instid1(VALU_DEP_2)
	v_dual_fmac_f32 v33, v41, v37 :: v_dual_sub_f32 v52, v47, v38
	v_fma_f32 v35, v53, v50, -v59
	s_delay_alu instid0(VALU_DEP_2) | instskip(NEXT) | instid1(VALU_DEP_1)
	v_dual_sub_f32 v50, v38, v58 :: v_dual_add_f32 v37, v57, v33
	v_dual_fmac_f32 v35, v53, v39 :: v_dual_sub_f32 v34, v50, v34
	s_delay_alu instid0(VALU_DEP_2) | instskip(SKIP_3) | instid1(VALU_DEP_4)
	v_sub_f32_e32 v46, v37, v57
	v_sub_f32_e32 v48, v45, v37
	v_subrev_co_ci_u32_e64 v29, s11, 0, v29, s20
	v_subrev_co_ci_u32_e64 v30, s11, 0, v30, s23
	v_dual_sub_f32 v33, v46, v33 :: v_dual_sub_f32 v46, v47, v52
	v_add_f32_e32 v39, v59, v35
	v_sub_f32_e32 v45, v45, v48
	v_subrev_co_ci_u32_e64 v32, s11, 0, v32, s17
	s_delay_alu instid0(VALU_DEP_3) | instskip(SKIP_2) | instid1(VALU_DEP_3)
	v_dual_sub_f32 v38, v46, v38 :: v_dual_sub_f32 v57, v39, v59
	v_dual_sub_f32 v58, v49, v39 :: v_dual_sub_f32 v59, v40, v60
	v_sub_f32_e32 v60, v51, v40
	v_dual_add_f32 v34, v34, v38 :: v_dual_sub_f32 v35, v57, v35
	v_subrev_co_ci_u32_e64 v31, s11, 0, v31, s25
	s_delay_alu instid0(VALU_DEP_4) | instskip(NEXT) | instid1(VALU_DEP_3)
	v_dual_sub_f32 v36, v59, v36 :: v_dual_sub_f32 v47, v49, v58
	v_dual_sub_f32 v49, v51, v60 :: v_dual_add_f32 v34, v52, v34
	v_cvt_f32_i32_e32 v30, v30
	v_cvt_f32_i32_e32 v29, v29
	;; [unrolled: 1-line block ×3, first 2 shown]
	s_delay_alu instid0(VALU_DEP_4) | instskip(SKIP_3) | instid1(VALU_DEP_4)
	v_sub_f32_e32 v40, v49, v40
	v_mul_f32_e32 v34, v44, v34
	v_cvt_f32_i32_e32 v32, v32
	v_mul_f32_e32 v44, 0x3f317218, v30
	v_dual_add_f32 v36, v36, v40 :: v_dual_sub_f32 v37, v45, v37
	v_sub_f32_e32 v39, v47, v39
	v_add_f32_e32 v38, v43, v34
	v_mul_f32_e32 v46, 0x3f317218, v32
	s_delay_alu instid0(VALU_DEP_4) | instskip(NEXT) | instid1(VALU_DEP_4)
	v_dual_add_f32 v36, v60, v36 :: v_dual_add_f32 v33, v33, v37
	v_add_f32_e32 v35, v35, v39
	s_delay_alu instid0(VALU_DEP_4) | instskip(NEXT) | instid1(VALU_DEP_4)
	v_ldexp_f32 v50, v38, 1
	v_fma_f32 v60, 0x3f317218, v32, -v46
	s_delay_alu instid0(VALU_DEP_4) | instskip(NEXT) | instid1(VALU_DEP_4)
	v_dual_mul_f32 v36, v55, v36 :: v_dual_add_f32 v33, v48, v33
	v_add_f32_e32 v35, v58, v35
	v_fma_f32 v58, 0x3f317218, v30, -v44
	s_delay_alu instid0(VALU_DEP_3) | instskip(NEXT) | instid1(VALU_DEP_4)
	v_dual_sub_f32 v43, v38, v43 :: v_dual_add_f32 v40, v56, v36
	v_mul_f32_e32 v33, v42, v33
	s_delay_alu instid0(VALU_DEP_4) | instskip(SKIP_1) | instid1(VALU_DEP_3)
	v_dual_mul_f32 v35, v54, v35 :: v_dual_mul_f32 v42, 0x3f317218, v29
	v_dual_mul_f32 v49, v38, v38 :: v_dual_fmac_f32 v60, 0xb102e308, v32
	v_add_f32_e32 v37, v41, v33
	s_delay_alu instid0(VALU_DEP_3) | instskip(SKIP_1) | instid1(VALU_DEP_3)
	v_dual_add_f32 v39, v53, v35 :: v_dual_sub_f32 v54, v40, v56
	v_mul_f32_e32 v45, 0x3f317218, v31
	v_dual_fmac_f32 v58, 0xb102e308, v30 :: v_dual_mul_f32 v47, v37, v37
	v_sub_f32_e32 v34, v34, v43
	s_delay_alu instid0(VALU_DEP_4) | instskip(NEXT) | instid1(VALU_DEP_4)
	v_sub_f32_e32 v36, v36, v54
	v_fma_f32 v59, 0x3f317218, v31, -v45
	v_dual_sub_f32 v41, v37, v41 :: v_dual_mul_f32 v52, v39, v39
	v_fma_f32 v43, v38, v38, -v49
	v_dual_sub_f32 v51, v39, v53 :: v_dual_add_f32 v66, v44, v58
	s_delay_alu instid0(VALU_DEP_4) | instskip(SKIP_4) | instid1(VALU_DEP_4)
	v_fmac_f32_e32 v59, 0xb102e308, v31
	v_add_f32_e32 v31, v34, v34
	v_dual_sub_f32 v33, v33, v41 :: v_dual_add_f32 v68, v46, v60
	v_fma_f32 v57, 0x3f317218, v29, -v42
	v_sub_f32_e32 v35, v35, v51
	v_fmac_f32_e32 v43, v38, v31
	s_delay_alu instid0(VALU_DEP_4) | instskip(SKIP_2) | instid1(VALU_DEP_4)
	v_dual_sub_f32 v31, v66, v44 :: v_dual_sub_f32 v44, v68, v46
	v_fma_f32 v41, v37, v37, -v47
	v_fma_f32 v51, v39, v39, -v52
	v_dual_add_f32 v46, v49, v43 :: v_dual_add_f32 v63, v36, v36
	s_delay_alu instid0(VALU_DEP_4) | instskip(NEXT) | instid1(VALU_DEP_2)
	v_dual_sub_f32 v44, v60, v44 :: v_dual_add_f32 v67, v45, v59
	v_dual_mul_f32 v55, v40, v40 :: v_dual_mul_f32 v60, v38, v46
	v_fmac_f32_e32 v57, 0xb102e308, v29
	v_add_f32_e32 v29, v33, v33
	v_sub_f32_e32 v31, v58, v31
	v_ldexp_f32 v64, v36, 1
	v_ldexp_f32 v56, v40, 1
	v_add_f32_e32 v65, v42, v57
	v_fmac_f32_e32 v41, v37, v29
	v_ldexp_f32 v30, v33, 1
	v_ldexp_f32 v48, v37, 1
	;; [unrolled: 1-line block ×3, first 2 shown]
	v_dual_sub_f32 v29, v65, v42 :: v_dual_sub_f32 v42, v67, v45
	v_fma_f32 v54, v40, v40, -v55
	v_ldexp_f32 v62, v35, 1
	v_ldexp_f32 v53, v39, 1
	s_delay_alu instid0(VALU_DEP_4) | instskip(NEXT) | instid1(VALU_DEP_4)
	v_sub_f32_e32 v42, v59, v42
	v_dual_fmac_f32 v54, v40, v63 :: v_dual_fmaak_f32 v59, s39, v46, 0x3e91f4c4
	s_delay_alu instid0(VALU_DEP_1) | instskip(NEXT) | instid1(VALU_DEP_1)
	v_add_f32_e32 v63, v55, v54
	v_fmaak_f32 v71, s39, v63, 0x3e91f4c4
	v_sub_f32_e32 v55, v63, v55
	v_dual_mul_f32 v72, v40, v63 :: v_dual_add_f32 v45, v47, v41
	v_add_f32_e32 v61, v35, v35
	s_delay_alu instid0(VALU_DEP_4) | instskip(NEXT) | instid1(VALU_DEP_4)
	v_fmaak_f32 v71, v63, v71, 0x3ecccdef
	v_sub_f32_e32 v54, v54, v55
	s_delay_alu instid0(VALU_DEP_4)
	v_fma_f32 v55, v63, v40, -v72
	v_mul_f32_e32 v58, v37, v45
	v_fmac_f32_e32 v51, v39, v61
	v_sub_f32_e32 v29, v57, v29
	v_fmaak_f32 v57, s39, v45, 0x3e91f4c4
	v_fmac_f32_e32 v55, v63, v36
	v_mul_f32_e32 v36, v63, v71
	v_sub_f32_e32 v47, v45, v47
	s_delay_alu instid0(VALU_DEP_3) | instskip(NEXT) | instid1(VALU_DEP_3)
	v_fmac_f32_e32 v55, v54, v40
	v_fma_f32 v40, v63, v71, -v36
	s_delay_alu instid0(VALU_DEP_3) | instskip(SKIP_1) | instid1(VALU_DEP_3)
	v_sub_f32_e32 v41, v41, v47
	v_fma_f32 v47, v45, v37, -v58
	v_fmac_f32_e32 v40, v54, v71
	s_delay_alu instid0(VALU_DEP_1) | instskip(SKIP_1) | instid1(VALU_DEP_2)
	v_add_f32_e32 v63, v36, v40
	v_fmaak_f32 v59, v46, v59, 0x3ecccdef
	v_dual_sub_f32 v49, v46, v49 :: v_dual_sub_f32 v36, v63, v36
	s_delay_alu instid0(VALU_DEP_1) | instskip(SKIP_1) | instid1(VALU_DEP_2)
	v_dual_fmaak_f32 v57, v45, v57, 0x3ecccdef :: v_dual_sub_f32 v36, v40, v36
	v_fmac_f32_e32 v47, v45, v33
	v_dual_mul_f32 v33, v45, v57 :: v_dual_add_f32 v36, 0x31739010, v36
	s_delay_alu instid0(VALU_DEP_2) | instskip(NEXT) | instid1(VALU_DEP_2)
	v_fmac_f32_e32 v47, v41, v37
	v_fma_f32 v37, v45, v57, -v33
	s_delay_alu instid0(VALU_DEP_1) | instskip(NEXT) | instid1(VALU_DEP_1)
	v_fmac_f32_e32 v37, v41, v57
	v_add_f32_e32 v54, v33, v37
	v_sub_f32_e32 v43, v43, v49
	v_fma_f32 v49, v46, v38, -v60
	s_delay_alu instid0(VALU_DEP_1) | instskip(NEXT) | instid1(VALU_DEP_1)
	v_fmac_f32_e32 v49, v46, v34
	v_dual_mul_f32 v34, v46, v59 :: v_dual_fmac_f32 v49, v43, v38
	s_delay_alu instid0(VALU_DEP_1) | instskip(SKIP_1) | instid1(VALU_DEP_2)
	v_fma_f32 v38, v46, v59, -v34
	v_add_f32_e32 v46, v72, v55
	v_fmac_f32_e32 v38, v43, v59
	v_add_f32_e32 v61, v52, v51
	s_delay_alu instid0(VALU_DEP_1) | instskip(SKIP_1) | instid1(VALU_DEP_2)
	v_sub_f32_e32 v52, v61, v52
	v_mul_f32_e32 v70, v39, v61
	v_sub_f32_e32 v51, v51, v52
	s_delay_alu instid0(VALU_DEP_2) | instskip(NEXT) | instid1(VALU_DEP_1)
	v_fma_f32 v52, v61, v39, -v70
	v_fmac_f32_e32 v52, v61, v35
	s_delay_alu instid0(VALU_DEP_1) | instskip(NEXT) | instid1(VALU_DEP_1)
	v_fmac_f32_e32 v52, v51, v39
	v_add_f32_e32 v43, v70, v52
	s_delay_alu instid0(VALU_DEP_1) | instskip(NEXT) | instid1(VALU_DEP_1)
	v_sub_f32_e32 v59, v43, v70
	v_dual_fmaak_f32 v69, s39, v61, 0x3e91f4c4 :: v_dual_sub_f32 v52, v52, v59
	s_delay_alu instid0(VALU_DEP_1) | instskip(NEXT) | instid1(VALU_DEP_1)
	v_fmaak_f32 v69, v61, v69, 0x3ecccdef
	v_mul_f32_e32 v35, v61, v69
	s_delay_alu instid0(VALU_DEP_1) | instskip(SKIP_1) | instid1(VALU_DEP_2)
	v_fma_f32 v39, v61, v69, -v35
	v_sub_f32_e32 v61, v46, v72
	v_fmac_f32_e32 v39, v51, v69
	s_delay_alu instid0(VALU_DEP_2) | instskip(SKIP_1) | instid1(VALU_DEP_1)
	v_sub_f32_e32 v55, v55, v61
	v_add_f32_e32 v61, 0x3f2aaaaa, v63
	v_add_f32_e32 v40, 0xbf2aaaaa, v61
	s_delay_alu instid0(VALU_DEP_1) | instskip(NEXT) | instid1(VALU_DEP_1)
	v_sub_f32_e32 v40, v63, v40
	v_add_f32_e32 v36, v36, v40
	s_delay_alu instid0(VALU_DEP_1) | instskip(NEXT) | instid1(VALU_DEP_1)
	v_add_f32_e32 v40, v61, v36
	v_sub_f32_e32 v61, v61, v40
	s_delay_alu instid0(VALU_DEP_1) | instskip(NEXT) | instid1(VALU_DEP_1)
	v_dual_mul_f32 v63, v46, v40 :: v_dual_add_f32 v36, v36, v61
	v_fma_f32 v61, v46, v40, -v63
	s_delay_alu instid0(VALU_DEP_1) | instskip(NEXT) | instid1(VALU_DEP_1)
	v_fmac_f32_e32 v61, v46, v36
	v_fmac_f32_e32 v61, v55, v40
	s_delay_alu instid0(VALU_DEP_1) | instskip(NEXT) | instid1(VALU_DEP_1)
	v_add_f32_e32 v36, v63, v61
	v_dual_add_f32 v46, v56, v36 :: v_dual_add_f32 v45, v58, v47
	v_add_f32_e32 v41, v60, v49
	s_delay_alu instid0(VALU_DEP_2) | instskip(NEXT) | instid1(VALU_DEP_2)
	v_sub_f32_e32 v51, v45, v58
	v_dual_sub_f32 v57, v41, v60 :: v_dual_add_f32 v58, v34, v38
	s_delay_alu instid0(VALU_DEP_1) | instskip(NEXT) | instid1(VALU_DEP_2)
	v_sub_f32_e32 v49, v49, v57
	v_add_f32_e32 v57, 0x3f2aaaaa, v58
	v_sub_f32_e32 v34, v58, v34
	s_delay_alu instid0(VALU_DEP_1) | instskip(NEXT) | instid1(VALU_DEP_3)
	v_sub_f32_e32 v34, v38, v34
	v_add_f32_e32 v38, 0xbf2aaaaa, v57
	s_delay_alu instid0(VALU_DEP_2) | instskip(NEXT) | instid1(VALU_DEP_2)
	v_add_f32_e32 v34, 0x31739010, v34
	v_sub_f32_e32 v38, v58, v38
	s_delay_alu instid0(VALU_DEP_1) | instskip(NEXT) | instid1(VALU_DEP_1)
	v_add_f32_e32 v34, v34, v38
	v_add_f32_e32 v38, v57, v34
	s_delay_alu instid0(VALU_DEP_1) | instskip(SKIP_1) | instid1(VALU_DEP_2)
	v_sub_f32_e32 v57, v57, v38
	v_mul_f32_e32 v58, v41, v38
	v_add_f32_e32 v34, v34, v57
	s_delay_alu instid0(VALU_DEP_2) | instskip(SKIP_2) | instid1(VALU_DEP_3)
	v_fma_f32 v57, v41, v38, -v58
	v_sub_f32_e32 v47, v47, v51
	v_add_f32_e32 v51, 0x3f2aaaaa, v54
	v_fmac_f32_e32 v57, v41, v34
	s_delay_alu instid0(VALU_DEP_1) | instskip(NEXT) | instid1(VALU_DEP_1)
	v_fmac_f32_e32 v57, v49, v38
	v_add_f32_e32 v34, v58, v57
	s_delay_alu instid0(VALU_DEP_1) | instskip(SKIP_1) | instid1(VALU_DEP_1)
	v_add_f32_e32 v40, v50, v34
	v_add_f32_e32 v60, v35, v39
	;; [unrolled: 1-line block ×3, first 2 shown]
	v_sub_f32_e32 v35, v60, v35
	s_delay_alu instid0(VALU_DEP_1) | instskip(NEXT) | instid1(VALU_DEP_3)
	v_sub_f32_e32 v35, v39, v35
	v_add_f32_e32 v39, 0xbf2aaaaa, v59
	s_delay_alu instid0(VALU_DEP_2) | instskip(NEXT) | instid1(VALU_DEP_2)
	v_add_f32_e32 v35, 0x31739010, v35
	v_sub_f32_e32 v39, v60, v39
	s_delay_alu instid0(VALU_DEP_1) | instskip(NEXT) | instid1(VALU_DEP_1)
	v_add_f32_e32 v35, v35, v39
	v_add_f32_e32 v39, v59, v35
	s_delay_alu instid0(VALU_DEP_1) | instskip(SKIP_1) | instid1(VALU_DEP_2)
	v_sub_f32_e32 v59, v59, v39
	v_mul_f32_e32 v60, v43, v39
	v_add_f32_e32 v35, v35, v59
	s_delay_alu instid0(VALU_DEP_2) | instskip(NEXT) | instid1(VALU_DEP_1)
	v_fma_f32 v59, v43, v39, -v60
	v_fmac_f32_e32 v59, v43, v35
	s_delay_alu instid0(VALU_DEP_1) | instskip(SKIP_1) | instid1(VALU_DEP_1)
	v_fmac_f32_e32 v59, v52, v39
	v_sub_f32_e32 v39, v34, v58
	v_sub_f32_e32 v39, v57, v39
	s_delay_alu instid0(VALU_DEP_1) | instskip(NEXT) | instid1(VALU_DEP_1)
	v_dual_add_f32 v32, v32, v39 :: v_dual_sub_f32 v33, v54, v33
	v_sub_f32_e32 v33, v37, v33
	v_add_f32_e32 v37, 0xbf2aaaaa, v51
	s_delay_alu instid0(VALU_DEP_2) | instskip(NEXT) | instid1(VALU_DEP_2)
	v_add_f32_e32 v33, 0x31739010, v33
	v_sub_f32_e32 v37, v54, v37
	s_delay_alu instid0(VALU_DEP_1) | instskip(NEXT) | instid1(VALU_DEP_1)
	v_add_f32_e32 v33, v33, v37
	v_add_f32_e32 v37, v51, v33
	s_delay_alu instid0(VALU_DEP_1) | instskip(SKIP_1) | instid1(VALU_DEP_2)
	v_sub_f32_e32 v51, v51, v37
	v_mul_f32_e32 v54, v45, v37
	v_add_f32_e32 v33, v33, v51
	s_delay_alu instid0(VALU_DEP_2) | instskip(NEXT) | instid1(VALU_DEP_1)
	v_fma_f32 v51, v45, v37, -v54
	v_fmac_f32_e32 v51, v45, v33
	s_delay_alu instid0(VALU_DEP_1) | instskip(NEXT) | instid1(VALU_DEP_1)
	v_fmac_f32_e32 v51, v47, v37
	v_add_f32_e32 v33, v54, v51
	s_delay_alu instid0(VALU_DEP_1) | instskip(SKIP_1) | instid1(VALU_DEP_2)
	v_dual_sub_f32 v37, v33, v54 :: v_dual_add_f32 v38, v48, v33
	v_sub_f32_e32 v45, v36, v63
	v_dual_sub_f32 v47, v38, v48 :: v_dual_sub_f32 v48, v40, v50
	s_delay_alu instid0(VALU_DEP_2) | instskip(NEXT) | instid1(VALU_DEP_1)
	v_dual_sub_f32 v45, v61, v45 :: v_dual_sub_f32 v50, v46, v56
	v_dual_sub_f32 v34, v34, v48 :: v_dual_add_f32 v39, v64, v45
	s_delay_alu instid0(VALU_DEP_2) | instskip(NEXT) | instid1(VALU_DEP_2)
	v_sub_f32_e32 v36, v36, v50
	v_add_f32_e32 v32, v32, v34
	s_delay_alu instid0(VALU_DEP_2) | instskip(NEXT) | instid1(VALU_DEP_1)
	v_add_f32_e32 v34, v39, v36
	v_dual_add_f32 v36, v40, v32 :: v_dual_add_f32 v39, v46, v34
	s_delay_alu instid0(VALU_DEP_1) | instskip(NEXT) | instid1(VALU_DEP_2)
	v_sub_f32_e32 v40, v36, v40
	v_dual_add_f32 v45, v66, v36 :: v_dual_sub_f32 v46, v39, v46
	v_add_f32_e32 v48, v68, v39
	s_delay_alu instid0(VALU_DEP_3) | instskip(NEXT) | instid1(VALU_DEP_3)
	v_sub_f32_e32 v32, v32, v40
	v_sub_f32_e32 v40, v45, v66
	s_delay_alu instid0(VALU_DEP_4) | instskip(NEXT) | instid1(VALU_DEP_4)
	v_sub_f32_e32 v34, v34, v46
	v_sub_f32_e32 v46, v48, v68
	s_delay_alu instid0(VALU_DEP_3) | instskip(SKIP_2) | instid1(VALU_DEP_4)
	v_sub_f32_e32 v50, v45, v40
	v_sub_f32_e32 v36, v36, v40
	v_add_f32_e32 v40, v31, v32
	v_sub_f32_e32 v52, v48, v46
	v_sub_f32_e32 v39, v39, v46
	v_add_f32_e32 v46, v44, v34
	v_sub_f32_e32 v50, v66, v50
	v_sub_f32_e32 v54, v40, v31
	;; [unrolled: 1-line block ×3, first 2 shown]
	s_delay_alu instid0(VALU_DEP_4) | instskip(NEXT) | instid1(VALU_DEP_4)
	v_sub_f32_e32 v56, v46, v44
	v_add_f32_e32 v36, v36, v50
	s_delay_alu instid0(VALU_DEP_3) | instskip(SKIP_1) | instid1(VALU_DEP_4)
	v_dual_sub_f32 v50, v40, v54 :: v_dual_add_f32 v39, v39, v52
	v_sub_f32_e32 v32, v32, v54
	v_sub_f32_e32 v52, v46, v56
	s_delay_alu instid0(VALU_DEP_3) | instskip(NEXT) | instid1(VALU_DEP_4)
	v_dual_sub_f32 v34, v34, v56 :: v_dual_sub_f32 v31, v31, v50
	v_dual_add_f32 v36, v40, v36 :: v_dual_add_f32 v39, v46, v39
	s_delay_alu instid0(VALU_DEP_3) | instskip(NEXT) | instid1(VALU_DEP_2)
	v_sub_f32_e32 v40, v44, v52
	v_dual_add_f32 v31, v32, v31 :: v_dual_add_f32 v32, v45, v36
	s_delay_alu instid0(VALU_DEP_2) | instskip(NEXT) | instid1(VALU_DEP_4)
	v_dual_add_f32 v35, v60, v59 :: v_dual_add_f32 v34, v34, v40
	v_add_f32_e32 v40, v48, v39
	s_delay_alu instid0(VALU_DEP_2) | instskip(SKIP_1) | instid1(VALU_DEP_2)
	v_add_f32_e32 v43, v53, v35
	v_sub_f32_e32 v41, v35, v60
	v_dual_sub_f32 v44, v40, v48 :: v_dual_sub_f32 v49, v43, v53
	s_delay_alu instid0(VALU_DEP_2) | instskip(NEXT) | instid1(VALU_DEP_2)
	v_sub_f32_e32 v41, v59, v41
	v_sub_f32_e32 v39, v39, v44
	s_delay_alu instid0(VALU_DEP_1) | instskip(NEXT) | instid1(VALU_DEP_1)
	v_dual_sub_f32 v37, v51, v37 :: v_dual_add_f32 v34, v34, v39
	v_dual_add_f32 v30, v30, v37 :: v_dual_add_f32 v39, v40, v34
	s_delay_alu instid0(VALU_DEP_1) | instskip(SKIP_1) | instid1(VALU_DEP_2)
	v_dual_sub_f32 v35, v35, v49 :: v_dual_mul_f32 v44, v12, v39
	v_dual_sub_f32 v40, v39, v40 :: v_dual_sub_f32 v33, v33, v47
	v_cmp_class_f32_e64 s13, v44, 0x204
	s_delay_alu instid0(VALU_DEP_2) | instskip(SKIP_1) | instid1(VALU_DEP_1)
	v_sub_f32_e32 v34, v34, v40
	v_add_f32_e32 v37, v62, v41
	v_dual_add_f32 v30, v30, v33 :: v_dual_add_f32 v33, v37, v35
	s_delay_alu instid0(VALU_DEP_1) | instskip(NEXT) | instid1(VALU_DEP_2)
	v_add_f32_e32 v35, v38, v30
	v_add_f32_e32 v37, v43, v33
	s_delay_alu instid0(VALU_DEP_2) | instskip(NEXT) | instid1(VALU_DEP_2)
	v_dual_sub_f32 v38, v35, v38 :: v_dual_add_f32 v41, v65, v35
	v_sub_f32_e32 v43, v37, v43
	s_delay_alu instid0(VALU_DEP_2) | instskip(NEXT) | instid1(VALU_DEP_3)
	v_dual_add_f32 v47, v67, v37 :: v_dual_sub_f32 v30, v30, v38
	v_sub_f32_e32 v38, v41, v65
	s_delay_alu instid0(VALU_DEP_3) | instskip(NEXT) | instid1(VALU_DEP_3)
	v_sub_f32_e32 v33, v33, v43
	v_sub_f32_e32 v43, v47, v67
	s_delay_alu instid0(VALU_DEP_3) | instskip(SKIP_1) | instid1(VALU_DEP_3)
	v_sub_f32_e32 v49, v41, v38
	v_sub_f32_e32 v35, v35, v38
	v_dual_add_f32 v38, v29, v30 :: v_dual_sub_f32 v51, v47, v43
	v_sub_f32_e32 v37, v37, v43
	v_add_f32_e32 v43, v42, v33
	v_sub_f32_e32 v49, v65, v49
	s_delay_alu instid0(VALU_DEP_4) | instskip(SKIP_1) | instid1(VALU_DEP_4)
	v_sub_f32_e32 v53, v38, v29
	v_sub_f32_e32 v51, v67, v51
	;; [unrolled: 1-line block ×3, first 2 shown]
	s_delay_alu instid0(VALU_DEP_4) | instskip(NEXT) | instid1(VALU_DEP_4)
	v_add_f32_e32 v35, v35, v49
	v_sub_f32_e32 v49, v38, v53
	s_delay_alu instid0(VALU_DEP_4) | instskip(NEXT) | instid1(VALU_DEP_4)
	v_dual_add_f32 v37, v37, v51 :: v_dual_sub_f32 v30, v30, v53
	v_sub_f32_e32 v51, v43, v55
	s_delay_alu instid0(VALU_DEP_4) | instskip(SKIP_1) | instid1(VALU_DEP_4)
	v_add_f32_e32 v35, v38, v35
	v_sub_f32_e32 v33, v33, v55
	v_add_f32_e32 v37, v43, v37
	s_delay_alu instid0(VALU_DEP_4) | instskip(SKIP_1) | instid1(VALU_DEP_2)
	v_dual_sub_f32 v29, v29, v49 :: v_dual_sub_f32 v38, v42, v51
	v_sub_f32_e32 v42, v32, v45
	v_add_f32_e32 v29, v30, v29
	s_delay_alu instid0(VALU_DEP_3) | instskip(NEXT) | instid1(VALU_DEP_3)
	v_add_f32_e32 v33, v33, v38
	v_sub_f32_e32 v36, v36, v42
	v_add_f32_e32 v38, v47, v37
	s_delay_alu instid0(VALU_DEP_2) | instskip(NEXT) | instid1(VALU_DEP_2)
	v_add_f32_e32 v31, v31, v36
	v_sub_f32_e32 v43, v38, v47
	s_delay_alu instid0(VALU_DEP_2) | instskip(NEXT) | instid1(VALU_DEP_1)
	v_add_f32_e32 v36, v32, v31
	v_dual_sub_f32 v37, v37, v43 :: v_dual_sub_f32 v32, v36, v32
	s_delay_alu instid0(VALU_DEP_1) | instskip(NEXT) | instid1(VALU_DEP_2)
	v_dual_mul_f32 v42, v10, v36 :: v_dual_add_f32 v33, v33, v37
	v_sub_f32_e32 v31, v31, v32
	s_delay_alu instid0(VALU_DEP_2) | instskip(NEXT) | instid1(VALU_DEP_3)
	v_fma_f32 v32, v10, v36, -v42
	v_add_f32_e32 v37, v38, v33
	v_fma_f32 v36, v12, v39, -v44
	v_cmp_class_f32_e64 s11, v42, 0x204
	s_delay_alu instid0(VALU_DEP_4) | instskip(NEXT) | instid1(VALU_DEP_4)
	v_fmac_f32_e32 v32, v10, v31
	v_dual_sub_f32 v38, v37, v38 :: v_dual_mul_f32 v43, v11, v37
	s_delay_alu instid0(VALU_DEP_2) | instskip(NEXT) | instid1(VALU_DEP_2)
	v_dual_fmac_f32 v36, v12, v34 :: v_dual_add_f32 v31, v42, v32
	v_sub_f32_e32 v33, v33, v38
	s_delay_alu instid0(VALU_DEP_3) | instskip(NEXT) | instid1(VALU_DEP_3)
	v_cmp_class_f32_e64 s12, v43, 0x204
	v_add_f32_e32 v34, v44, v36
	s_delay_alu instid0(VALU_DEP_4) | instskip(SKIP_2) | instid1(VALU_DEP_4)
	v_sub_f32_e32 v38, v31, v42
	v_add_f32_e32 v30, v41, v35
	v_cndmask_b32_e64 v31, v31, v42, s11
	v_sub_f32_e32 v40, v34, v44
	v_cndmask_b32_e64 v34, v34, v44, s13
	s_delay_alu instid0(VALU_DEP_4) | instskip(NEXT) | instid1(VALU_DEP_1)
	v_dual_sub_f32 v32, v32, v38 :: v_dual_sub_f32 v41, v30, v41
	v_dual_sub_f32 v36, v36, v40 :: v_dual_sub_f32 v35, v35, v41
	s_delay_alu instid0(VALU_DEP_1) | instskip(NEXT) | instid1(VALU_DEP_1)
	v_add_f32_e32 v29, v29, v35
	v_add_f32_e32 v35, v30, v29
	s_delay_alu instid0(VALU_DEP_1) | instskip(NEXT) | instid1(VALU_DEP_1)
	v_dual_sub_f32 v30, v35, v30 :: v_dual_mul_f32 v41, v9, v35
	v_sub_f32_e32 v29, v29, v30
	s_delay_alu instid0(VALU_DEP_2) | instskip(SKIP_2) | instid1(VALU_DEP_3)
	v_fma_f32 v30, v9, v35, -v41
	v_fma_f32 v35, v11, v37, -v43
	v_cmp_class_f32_e64 s14, v41, 0x204
	v_fmac_f32_e32 v30, v9, v29
	s_delay_alu instid0(VALU_DEP_3) | instskip(NEXT) | instid1(VALU_DEP_2)
	v_fmac_f32_e32 v35, v11, v33
	v_add_f32_e32 v29, v41, v30
	s_delay_alu instid0(VALU_DEP_2) | instskip(NEXT) | instid1(VALU_DEP_2)
	v_add_f32_e32 v33, v43, v35
	v_sub_f32_e32 v37, v29, v41
	v_cndmask_b32_e64 v29, v29, v41, s14
	s_delay_alu instid0(VALU_DEP_3)
	v_sub_f32_e32 v39, v33, v43
	v_cndmask_b32_e64 v33, v33, v43, s12
	v_cmp_eq_f32_e64 s12, 0x42b17218, v31
	v_cmp_eq_f32_e64 s14, 0x42b17218, v34
	;; [unrolled: 1-line block ×3, first 2 shown]
	v_sub_f32_e32 v30, v30, v37
	v_cmp_eq_f32_e64 s13, 0x42b17218, v33
	v_cndmask_b32_e64 v38, 0, 0x37000000, s12
	v_sub_f32_e32 v35, v35, v39
	v_cndmask_b32_e64 v37, 0, 0x37000000, s11
	v_cmp_neq_f32_e64 s11, 0x7f800000, |v31|
	v_cmp_neq_f32_e64 s12, 0x7f800000, |v33|
	v_cndmask_b32_e64 v39, 0, 0x37000000, s13
	v_cmp_neq_f32_e64 s13, 0x7f800000, |v34|
	v_cndmask_b32_e64 v40, 0, 0x37000000, s14
	v_cmp_neq_f32_e64 s14, 0x7f800000, |v29|
	v_sub_f32_e32 v29, v29, v37
	v_cndmask_b32_e64 v32, 0, v32, s11
	v_sub_f32_e32 v31, v31, v38
	v_cndmask_b32_e64 v35, 0, v35, s12
	v_cndmask_b32_e64 v30, 0, v30, s14
	v_sub_f32_e32 v33, v33, v39
	v_cndmask_b32_e64 v36, 0, v36, s13
	v_sub_f32_e32 v34, v34, v40
	v_add_f32_e32 v32, v38, v32
	v_dual_add_f32 v30, v37, v30 :: v_dual_mul_f32 v37, 0x3fb8aa3b, v29
	v_mul_f32_e32 v38, 0x3fb8aa3b, v31
	v_add_f32_e32 v35, v39, v35
	v_dual_mul_f32 v39, 0x3fb8aa3b, v33 :: v_dual_add_f32 v36, v40, v36
	v_mul_f32_e32 v40, 0x3fb8aa3b, v34
	v_fma_f32 v41, 0x3fb8aa3b, v29, -v37
	v_rndne_f32_e32 v42, v37
	v_fma_f32 v43, 0x3fb8aa3b, v31, -v38
	v_rndne_f32_e32 v44, v38
	;; [unrolled: 2-line block ×4, first 2 shown]
	v_fmac_f32_e32 v41, 0x32a5705f, v29
	v_sub_f32_e32 v37, v37, v42
	v_dual_fmac_f32 v43, 0x32a5705f, v31 :: v_dual_sub_f32 v38, v38, v44
	v_fmac_f32_e32 v45, 0x32a5705f, v33
	v_sub_f32_e32 v39, v39, v46
	v_dual_fmac_f32 v47, 0x32a5705f, v34 :: v_dual_sub_f32 v40, v40, v48
	s_delay_alu instid0(VALU_DEP_4) | instskip(NEXT) | instid1(VALU_DEP_3)
	v_dual_add_f32 v37, v37, v41 :: v_dual_add_f32 v38, v38, v43
	v_add_f32_e32 v39, v39, v45
	v_cvt_i32_f32_e32 v42, v42
	s_delay_alu instid0(VALU_DEP_4) | instskip(NEXT) | instid1(VALU_DEP_4)
	v_add_f32_e32 v40, v40, v47
	v_exp_f32_e32 v37, v37
	v_exp_f32_e32 v38, v38
	;; [unrolled: 1-line block ×3, first 2 shown]
	v_cvt_i32_f32_e32 v44, v44
	v_exp_f32_e32 v40, v40
	v_cvt_i32_f32_e32 v46, v46
	v_cvt_i32_f32_e32 v48, v48
	v_cmp_ngt_f32_e64 s11, 0xc2ce8ed0, v31
	v_cmp_ngt_f32_e64 s12, 0xc2ce8ed0, v33
	;; [unrolled: 1-line block ×3, first 2 shown]
	v_ldexp_f32 v37, v37, v42
	v_ldexp_f32 v38, v38, v44
	;; [unrolled: 1-line block ×3, first 2 shown]
	v_cmp_ngt_f32_e64 s14, 0xc2ce8ed0, v29
	v_ldexp_f32 v40, v40, v48
	s_delay_alu instid0(VALU_DEP_4) | instskip(SKIP_1) | instid1(VALU_DEP_4)
	v_cndmask_b32_e64 v38, 0, v38, s11
	v_cmp_nlt_f32_e64 s11, 0x42b17218, v31
	v_cndmask_b32_e64 v37, 0, v37, s14
	v_cndmask_b32_e64 v31, 0, v39, s12
	v_cmp_nlt_f32_e64 s12, 0x42b17218, v33
	v_cndmask_b32_e64 v33, 0, v40, s13
	v_cmp_nlt_f32_e64 s13, 0x42b17218, v34
	v_cmp_nlt_f32_e64 s14, 0x42b17218, v29
	v_cndmask_b32_e64 v34, 0x7f800000, v38, s11
	v_cndmask_b32_e64 v31, 0x7f800000, v31, s12
	s_delay_alu instid0(VALU_DEP_4) | instskip(NEXT) | instid1(VALU_DEP_4)
	v_cndmask_b32_e64 v33, 0x7f800000, v33, s13
	v_cndmask_b32_e64 v29, 0x7f800000, v37, s14
	s_delay_alu instid0(VALU_DEP_4)
	v_fma_f32 v32, v34, v32, v34
	v_cmp_class_f32_e64 s11, v34, 0x204
	v_fma_f32 v35, v31, v35, v31
	v_cmp_class_f32_e64 s12, v31, 0x204
	v_fma_f32 v30, v29, v30, v29
	v_fma_f32 v36, v33, v36, v33
	v_cmp_class_f32_e64 s13, v33, 0x204
	v_cmp_class_f32_e64 s14, v29, 0x204
	v_cndmask_b32_e64 v31, v35, v31, s12
	s_delay_alu instid0(VALU_DEP_2) | instskip(SKIP_2) | instid1(VALU_DEP_4)
	v_cndmask_b32_e64 v29, v30, v29, s14
	v_cndmask_b32_e64 v30, v32, v34, s11
	;; [unrolled: 1-line block ×3, first 2 shown]
	v_bfi_b32 v27, 0x7fffffff, v31, v27
	s_delay_alu instid0(VALU_DEP_4) | instskip(NEXT) | instid1(VALU_DEP_4)
	v_bfi_b32 v25, 0x7fffffff, v29, v25
	v_bfi_b32 v26, 0x7fffffff, v30, v26
	s_delay_alu instid0(VALU_DEP_4) | instskip(NEXT) | instid1(VALU_DEP_4)
	v_bfi_b32 v28, 0x7fffffff, v32, v28
	v_cndmask_b32_e64 v31, 0x7fc00000, v27, s6
	v_cmp_gt_f32_e64 s6, 0, v3
	v_cndmask_b32_e64 v29, 0x7fc00000, v25, s1
	v_cndmask_b32_e64 v30, 0x7fc00000, v26, s4
	v_cmp_gt_f32_e64 s1, 0, v1
	v_cmp_gt_f32_e64 s4, 0, v2
	v_cndmask_b32_e64 v32, 0x7fc00000, v28, s7
	v_cmp_gt_f32_e64 s7, 0, v0
	s_delay_alu instid0(VALU_DEP_4) | instskip(SKIP_2) | instid1(VALU_DEP_4)
	v_cndmask_b32_e64 v26, v26, v30, s1
	v_cmp_eq_f32_e64 s1, 0x7f800000, v14
	v_cndmask_b32_e64 v14, v27, v31, s4
	v_cndmask_b32_e64 v25, v25, v29, s7
	v_cmp_eq_f32_e64 s4, 0x7f800000, v15
	v_cndmask_b32_e64 v15, v28, v32, s6
	v_cmp_eq_f32_e64 s6, 0x7f800000, v16
	v_cmp_eq_f32_e64 s7, 0x7f800000, v13
	v_cndmask_b32_e64 v16, v26, v18, s1
	v_cndmask_b32_e64 v14, v14, v19, s4
	s_or_b32 s1, s2, s9
	v_cndmask_b32_e64 v15, v15, v20, s6
	v_cndmask_b32_e64 v13, v25, v17, s7
	s_or_b32 s2, s3, s10
	v_cndmask_b32_e64 v16, v16, v24, s0
	v_cmp_o_f32_e64 s0, v2, v11
	v_cndmask_b32_e64 v11, v15, v21, s2
	v_cndmask_b32_e32 v13, v13, v23, vcc_lo
	v_cmp_o_f32_e32 vcc_lo, v1, v10
	v_cndmask_b32_e64 v10, v14, v22, s1
	v_cmp_o_f32_e64 s1, v3, v12
	v_cmp_o_f32_e64 s2, v0, v9
	s_add_u32 s31, s31, s38
	s_addc_u32 s33, s33, 0
	s_add_u32 s34, s34, s38
	s_addc_u32 s35, s35, 0
	v_cndmask_b32_e64 v0, 0x7fc00000, v13, s2
	v_cndmask_b32_e32 v1, 0x7fc00000, v16, vcc_lo
	v_cndmask_b32_e64 v2, 0x7fc00000, v10, s0
	v_cndmask_b32_e64 v3, 0x7fc00000, v11, s1
	s_and_b32 s0, exec_lo, s40
	s_delay_alu instid0(SALU_CYCLE_1)
	s_or_b32 s36, s0, s36
	global_store_b128 v[6:7], v[0:3], off
	s_and_not1_b32 exec_lo, exec_lo, s36
	s_cbranch_execnz .LBB91_24
.LBB91_25:
	s_nop 0
	s_sendmsg sendmsg(MSG_DEALLOC_VGPRS)
	s_endpgm
	.section	.rodata,"a",@progbits
	.p2align	6, 0x0
	.amdhsa_kernel _ZN2at6native12_GLOBAL__N_125multi_tensor_apply_kernelINS1_28TensorListScalarListMetadataIfLi2EEENS1_25BinaryOpScalarListFunctorIfLi2ELi1ELi1EEEJNS1_13power_functorIfEEEEEvT_T0_DpT1_
		.amdhsa_group_segment_fixed_size 0
		.amdhsa_private_segment_fixed_size 0
		.amdhsa_kernarg_size 3656
		.amdhsa_user_sgpr_count 15
		.amdhsa_user_sgpr_dispatch_ptr 0
		.amdhsa_user_sgpr_queue_ptr 0
		.amdhsa_user_sgpr_kernarg_segment_ptr 1
		.amdhsa_user_sgpr_dispatch_id 0
		.amdhsa_user_sgpr_private_segment_size 0
		.amdhsa_wavefront_size32 1
		.amdhsa_uses_dynamic_stack 0
		.amdhsa_enable_private_segment 0
		.amdhsa_system_sgpr_workgroup_id_x 1
		.amdhsa_system_sgpr_workgroup_id_y 0
		.amdhsa_system_sgpr_workgroup_id_z 0
		.amdhsa_system_sgpr_workgroup_info 0
		.amdhsa_system_vgpr_workitem_id 0
		.amdhsa_next_free_vgpr 73
		.amdhsa_next_free_sgpr 41
		.amdhsa_reserve_vcc 1
		.amdhsa_float_round_mode_32 0
		.amdhsa_float_round_mode_16_64 0
		.amdhsa_float_denorm_mode_32 3
		.amdhsa_float_denorm_mode_16_64 3
		.amdhsa_dx10_clamp 1
		.amdhsa_ieee_mode 1
		.amdhsa_fp16_overflow 0
		.amdhsa_workgroup_processor_mode 1
		.amdhsa_memory_ordered 1
		.amdhsa_forward_progress 0
		.amdhsa_shared_vgpr_count 0
		.amdhsa_exception_fp_ieee_invalid_op 0
		.amdhsa_exception_fp_denorm_src 0
		.amdhsa_exception_fp_ieee_div_zero 0
		.amdhsa_exception_fp_ieee_overflow 0
		.amdhsa_exception_fp_ieee_underflow 0
		.amdhsa_exception_fp_ieee_inexact 0
		.amdhsa_exception_int_div_zero 0
	.end_amdhsa_kernel
	.section	.text._ZN2at6native12_GLOBAL__N_125multi_tensor_apply_kernelINS1_28TensorListScalarListMetadataIfLi2EEENS1_25BinaryOpScalarListFunctorIfLi2ELi1ELi1EEEJNS1_13power_functorIfEEEEEvT_T0_DpT1_,"axG",@progbits,_ZN2at6native12_GLOBAL__N_125multi_tensor_apply_kernelINS1_28TensorListScalarListMetadataIfLi2EEENS1_25BinaryOpScalarListFunctorIfLi2ELi1ELi1EEEJNS1_13power_functorIfEEEEEvT_T0_DpT1_,comdat
.Lfunc_end91:
	.size	_ZN2at6native12_GLOBAL__N_125multi_tensor_apply_kernelINS1_28TensorListScalarListMetadataIfLi2EEENS1_25BinaryOpScalarListFunctorIfLi2ELi1ELi1EEEJNS1_13power_functorIfEEEEEvT_T0_DpT1_, .Lfunc_end91-_ZN2at6native12_GLOBAL__N_125multi_tensor_apply_kernelINS1_28TensorListScalarListMetadataIfLi2EEENS1_25BinaryOpScalarListFunctorIfLi2ELi1ELi1EEEJNS1_13power_functorIfEEEEEvT_T0_DpT1_
                                        ; -- End function
	.section	.AMDGPU.csdata,"",@progbits
; Kernel info:
; codeLenInByte = 10784
; NumSgprs: 43
; NumVgprs: 73
; ScratchSize: 0
; MemoryBound: 0
; FloatMode: 240
; IeeeMode: 1
; LDSByteSize: 0 bytes/workgroup (compile time only)
; SGPRBlocks: 5
; VGPRBlocks: 9
; NumSGPRsForWavesPerEU: 43
; NumVGPRsForWavesPerEU: 73
; Occupancy: 16
; WaveLimiterHint : 0
; COMPUTE_PGM_RSRC2:SCRATCH_EN: 0
; COMPUTE_PGM_RSRC2:USER_SGPR: 15
; COMPUTE_PGM_RSRC2:TRAP_HANDLER: 0
; COMPUTE_PGM_RSRC2:TGID_X_EN: 1
; COMPUTE_PGM_RSRC2:TGID_Y_EN: 0
; COMPUTE_PGM_RSRC2:TGID_Z_EN: 0
; COMPUTE_PGM_RSRC2:TIDIG_COMP_CNT: 0
	.section	.text._ZN2at6native12_GLOBAL__N_125multi_tensor_apply_kernelINS1_28TensorListScalarListMetadataIN3c107complexIdEELi2EEENS1_25BinaryOpScalarListFunctorIS6_Li2ELi1ELi1EEEJNS1_13power_functorIS6_EEEEEvT_T0_DpT1_,"axG",@progbits,_ZN2at6native12_GLOBAL__N_125multi_tensor_apply_kernelINS1_28TensorListScalarListMetadataIN3c107complexIdEELi2EEENS1_25BinaryOpScalarListFunctorIS6_Li2ELi1ELi1EEEJNS1_13power_functorIS6_EEEEEvT_T0_DpT1_,comdat
	.globl	_ZN2at6native12_GLOBAL__N_125multi_tensor_apply_kernelINS1_28TensorListScalarListMetadataIN3c107complexIdEELi2EEENS1_25BinaryOpScalarListFunctorIS6_Li2ELi1ELi1EEEJNS1_13power_functorIS6_EEEEEvT_T0_DpT1_ ; -- Begin function _ZN2at6native12_GLOBAL__N_125multi_tensor_apply_kernelINS1_28TensorListScalarListMetadataIN3c107complexIdEELi2EEENS1_25BinaryOpScalarListFunctorIS6_Li2ELi1ELi1EEEJNS1_13power_functorIS6_EEEEEvT_T0_DpT1_
	.p2align	8
	.type	_ZN2at6native12_GLOBAL__N_125multi_tensor_apply_kernelINS1_28TensorListScalarListMetadataIN3c107complexIdEELi2EEENS1_25BinaryOpScalarListFunctorIS6_Li2ELi1ELi1EEEJNS1_13power_functorIS6_EEEEEvT_T0_DpT1_,@function
_ZN2at6native12_GLOBAL__N_125multi_tensor_apply_kernelINS1_28TensorListScalarListMetadataIN3c107complexIdEELi2EEENS1_25BinaryOpScalarListFunctorIS6_Li2ELi1ELi1EEEJNS1_13power_functorIS6_EEEEEvT_T0_DpT1_: ; @_ZN2at6native12_GLOBAL__N_125multi_tensor_apply_kernelINS1_28TensorListScalarListMetadataIN3c107complexIdEELi2EEENS1_25BinaryOpScalarListFunctorIS6_Li2ELi1ELi1EEEJNS1_13power_functorIS6_EEEEEvT_T0_DpT1_
; %bb.0:
	v_mov_b32_e32 v60, v0
	v_mov_b32_e32 v0, s15
	s_mov_b64 s[18:19], s[0:1]
	s_mov_b32 s32, 0
	global_load_u8 v0, v0, s[0:1] offset:2400
	s_add_u32 s0, s18, s15
	s_mul_hi_u32 s1, s15, 3
	s_mul_i32 s15, s15, 3
	s_addc_u32 s2, s19, 0
	s_add_u32 s0, s0, s15
	s_addc_u32 s1, s2, s1
	s_waitcnt vmcnt(0)
	v_lshlrev_b32_e32 v0, 3, v0
	s_delay_alu instid0(VALU_DEP_1)
	v_readfirstlane_b32 s5, v0
	v_add_co_u32 v0, s8, s18, v0
	s_clause 0x3
	s_load_b32 s4, s[0:1], 0xaa0
	s_load_b64 s[0:1], s[18:19], s5 offset:0x0
	s_load_b64 s[6:7], s[18:19], s5 offset:0x3c0
	s_load_b64 s[2:3], s[18:19], s5 offset:0x1e0
	v_add_co_ci_u32_e64 v1, null, s19, 0, s8
	v_readfirstlane_b32 s8, v0
	s_delay_alu instid0(VALU_DEP_2) | instskip(SKIP_4) | instid1(SALU_CYCLE_1)
	v_readfirstlane_b32 s9, v1
	s_load_b128 s[24:27], s[8:9], s5 offset:0x5a0
	s_mov_b32 s9, 0
	s_waitcnt lgkmcnt(0)
	s_ashr_i32 s5, s4, 31
	s_lshl_b64 s[34:35], s[4:5], 20
	s_delay_alu instid0(SALU_CYCLE_1)
	s_add_u32 s23, s0, s34
	s_addc_u32 s33, s1, s35
	s_add_u32 s42, s2, s34
	s_addc_u32 s43, s3, s35
	s_and_b32 s8, s23, 63
	s_and_b32 s10, s6, 3
	;; [unrolled: 1-line block ×3, first 2 shown]
	s_or_b32 s8, s8, s10
	s_lshl_b64 s[4:5], s[4:5], 16
	s_or_b32 s8, s11, s8
	s_sub_u32 s28, s6, s4
	s_subb_u32 s29, s7, s5
	s_cmp_eq_u64 s[8:9], 0
	s_mov_b32 s4, -1
	s_cbranch_scc1 .LBB92_21
; %bb.1:
	v_cmp_lt_i64_e64 s4, s[28:29], 1
	s_delay_alu instid0(VALU_DEP_1)
	s_and_b32 vcc_lo, exec_lo, s4
	s_cbranch_vccnz .LBB92_20
; %bb.2:
	s_load_b32 s4, s[18:19], 0xfb4
	v_mov_b32_e32 v61, 0
	v_lshl_or_b32 v0, v60, 4, 8
	v_cmp_gt_u64_e64 s5, 0x10000, s[28:29]
	s_mov_b32 s37, 0
	s_delay_alu instid0(VALU_DEP_3) | instskip(NEXT) | instid1(VALU_DEP_3)
	v_mov_b32_e32 v1, v61
	v_add_co_u32 v63, s6, s0, v0
	s_delay_alu instid0(VALU_DEP_1)
	v_add_co_ci_u32_e64 v68, null, s1, 0, s6
	v_add_co_u32 v69, s6, s2, v0
	v_mov_b32_e32 v62, v61
	v_add_co_ci_u32_e64 v70, null, s3, 0, s6
	v_mov_b32_e32 v61, v60
	s_waitcnt lgkmcnt(0)
	s_and_b32 s44, s4, 0xffff
	s_and_b32 s4, s5, exec_lo
	v_add_lshl_u32 v4, v60, s44, 4
	v_mad_u64_u32 v[2:3], null, s44, 48, v[0:1]
	s_cselect_b32 s39, s29, 0
	s_cselect_b32 s38, s28, 0x10000
	s_delay_alu instid0(VALU_DEP_2) | instskip(NEXT) | instid1(VALU_DEP_1)
	v_add_co_u32 v71, s4, s2, v4
	v_add_co_ci_u32_e64 v72, null, s3, 0, s4
	v_add_co_u32 v75, s4, s0, v4
	s_delay_alu instid0(VALU_DEP_1)
	v_add_co_ci_u32_e64 v76, null, s1, 0, s4
	s_lshl_b32 s4, s44, 5
	v_add_co_u32 v73, vcc_lo, s0, v2
	v_add_co_u32 v0, s4, v0, s4
	v_add_co_ci_u32_e32 v74, vcc_lo, s1, v3, vcc_lo
	v_add_co_ci_u32_e64 v1, null, 0, 0, s4
	v_add_co_u32 v77, vcc_lo, s2, v2
	v_add_co_ci_u32_e32 v78, vcc_lo, s3, v3, vcc_lo
	v_add_co_u32 v79, vcc_lo, s0, v0
	s_delay_alu instid0(VALU_DEP_4)
	v_add_co_ci_u32_e32 v80, vcc_lo, s1, v1, vcc_lo
	v_add_co_u32 v81, vcc_lo, s2, v0
	v_add_co_ci_u32_e32 v82, vcc_lo, s3, v1, vcc_lo
	s_lshl_b32 s36, s44, 2
	s_lshl_b32 s45, s44, 1
	s_mul_i32 s46, s44, 3
	s_lshl_b32 s47, s44, 6
	s_mov_b64 s[40:41], s[36:37]
	s_branch .LBB92_4
.LBB92_3:                               ;   in Loop: Header=BB92_4 Depth=1
	s_or_b32 exec_lo, exec_lo, s21
	v_add_co_u32 v61, vcc_lo, v61, s36
	v_add_co_ci_u32_e32 v62, vcc_lo, 0, v62, vcc_lo
	v_add_co_u32 v63, vcc_lo, v63, s47
	v_add_co_ci_u32_e32 v68, vcc_lo, 0, v68, vcc_lo
	;; [unrolled: 2-line block ×7, first 2 shown]
	v_cmp_lt_i64_e64 s0, s[40:41], s[28:29]
	v_cmp_gt_u64_e64 s1, 0x10000, s[40:41]
	v_add_co_u32 v79, vcc_lo, v79, s47
	v_add_co_ci_u32_e32 v80, vcc_lo, 0, v80, vcc_lo
	v_add_co_u32 v81, vcc_lo, v81, s47
	v_add_co_ci_u32_e32 v82, vcc_lo, 0, v82, vcc_lo
	s_and_b32 s0, s0, s1
	s_add_u32 s40, s40, s36
	s_addc_u32 s41, s41, 0
	s_and_b32 vcc_lo, exec_lo, s0
	s_cbranch_vccz .LBB92_20
.LBB92_4:                               ; =>This Inner Loop Header: Depth=1
	s_waitcnt vmcnt(0)
	v_mov_b32_e32 v46, 0
	v_mov_b32_e32 v47, 0
	v_cmp_gt_u64_e32 vcc_lo, s[38:39], v[61:62]
	s_delay_alu instid0(VALU_DEP_3) | instskip(NEXT) | instid1(VALU_DEP_3)
	v_mov_b32_e32 v2, v46
	v_dual_mov_b32 v0, v46 :: v_dual_mov_b32 v1, v47
	v_mov_b32_e32 v3, v47
	s_and_saveexec_b32 s1, vcc_lo
	s_cbranch_execz .LBB92_6
; %bb.5:                                ;   in Loop: Header=BB92_4 Depth=1
	v_add_co_u32 v0, s0, v63, s34
	s_delay_alu instid0(VALU_DEP_1)
	v_add_co_ci_u32_e64 v1, s0, s35, v68, s0
	global_load_b128 v[0:3], v[0:1], off offset:-8
.LBB92_6:                               ;   in Loop: Header=BB92_4 Depth=1
	s_or_b32 exec_lo, exec_lo, s1
	v_add_co_u32 v4, s0, s44, v61
	s_delay_alu instid0(VALU_DEP_1) | instskip(SKIP_1) | instid1(VALU_DEP_2)
	v_add_co_ci_u32_e64 v5, s0, 0, v62, s0
	v_dual_mov_b32 v44, v46 :: v_dual_mov_b32 v45, v47
	v_cmp_gt_u64_e64 s22, s[38:39], v[4:5]
	s_delay_alu instid0(VALU_DEP_1)
	s_and_saveexec_b32 s1, s22
	s_cbranch_execz .LBB92_8
; %bb.7:                                ;   in Loop: Header=BB92_4 Depth=1
	v_add_co_u32 v4, s0, v75, s34
	s_delay_alu instid0(VALU_DEP_1)
	v_add_co_ci_u32_e64 v5, s0, s35, v76, s0
	global_load_b128 v[44:47], v[4:5], off
.LBB92_8:                               ;   in Loop: Header=BB92_4 Depth=1
	s_or_b32 exec_lo, exec_lo, s1
	v_add_co_u32 v4, s0, s45, v61
	s_delay_alu instid0(VALU_DEP_1) | instskip(SKIP_2) | instid1(VALU_DEP_3)
	v_add_co_ci_u32_e64 v5, s0, 0, v62, s0
	v_mov_b32_e32 v42, 0
	v_mov_b32_e32 v43, 0
	v_cmp_gt_u64_e64 s21, s[38:39], v[4:5]
	s_delay_alu instid0(VALU_DEP_2) | instskip(SKIP_1) | instid1(VALU_DEP_3)
	v_dual_mov_b32 v59, v43 :: v_dual_mov_b32 v58, v42
	v_dual_mov_b32 v57, v43 :: v_dual_mov_b32 v56, v42
	s_and_saveexec_b32 s1, s21
	s_cbranch_execz .LBB92_10
; %bb.9:                                ;   in Loop: Header=BB92_4 Depth=1
	v_add_co_u32 v4, s0, v79, s34
	s_delay_alu instid0(VALU_DEP_1)
	v_add_co_ci_u32_e64 v5, s0, s35, v80, s0
	global_load_b128 v[56:59], v[4:5], off offset:-8
.LBB92_10:                              ;   in Loop: Header=BB92_4 Depth=1
	s_or_b32 exec_lo, exec_lo, s1
	v_add_co_u32 v4, s0, s46, v61
	s_delay_alu instid0(VALU_DEP_1) | instskip(SKIP_1) | instid1(VALU_DEP_2)
	v_add_co_ci_u32_e64 v5, s0, 0, v62, s0
	v_dual_mov_b32 v40, v42 :: v_dual_mov_b32 v41, v43
	v_cmp_gt_u64_e64 s20, s[38:39], v[4:5]
	s_delay_alu instid0(VALU_DEP_1)
	s_and_saveexec_b32 s1, s20
	s_cbranch_execnz .LBB92_15
; %bb.11:                               ;   in Loop: Header=BB92_4 Depth=1
	s_or_b32 exec_lo, exec_lo, s1
	s_and_saveexec_b32 s37, vcc_lo
	s_cbranch_execnz .LBB92_16
.LBB92_12:                              ;   in Loop: Header=BB92_4 Depth=1
	s_or_b32 exec_lo, exec_lo, s37
	s_and_saveexec_b32 s37, s22
	s_cbranch_execnz .LBB92_17
.LBB92_13:                              ;   in Loop: Header=BB92_4 Depth=1
	s_or_b32 exec_lo, exec_lo, s37
	s_and_saveexec_b32 s22, s21
	s_cbranch_execnz .LBB92_18
.LBB92_14:                              ;   in Loop: Header=BB92_4 Depth=1
	s_or_b32 exec_lo, exec_lo, s22
	s_and_saveexec_b32 s21, s20
	s_cbranch_execz .LBB92_3
	s_branch .LBB92_19
.LBB92_15:                              ;   in Loop: Header=BB92_4 Depth=1
	v_add_co_u32 v4, s0, v73, s34
	s_delay_alu instid0(VALU_DEP_1)
	v_add_co_ci_u32_e64 v5, s0, s35, v74, s0
	global_load_b128 v[40:43], v[4:5], off offset:-8
	s_or_b32 exec_lo, exec_lo, s1
	s_and_saveexec_b32 s37, vcc_lo
	s_cbranch_execz .LBB92_12
.LBB92_16:                              ;   in Loop: Header=BB92_4 Depth=1
	v_dual_mov_b32 v4, s24 :: v_dual_mov_b32 v5, s25
	v_dual_mov_b32 v6, s26 :: v_dual_mov_b32 v7, s27
	s_getpc_b64 s[0:1]
	s_add_u32 s0, s0, _ZNK2at6native12_GLOBAL__N_113power_functorIN3c107complexIdEEEclERKS5_S8_@rel32@lo+4
	s_addc_u32 s1, s1, _ZNK2at6native12_GLOBAL__N_113power_functorIN3c107complexIdEEEclERKS5_S8_@rel32@hi+12
	s_delay_alu instid0(SALU_CYCLE_1)
	s_swappc_b64 s[30:31], s[0:1]
	v_add_co_u32 v4, vcc_lo, v69, s34
	v_add_co_ci_u32_e32 v5, vcc_lo, s35, v70, vcc_lo
	global_store_b128 v[4:5], v[0:3], off offset:-8
	s_or_b32 exec_lo, exec_lo, s37
	s_and_saveexec_b32 s37, s22
	s_cbranch_execz .LBB92_13
.LBB92_17:                              ;   in Loop: Header=BB92_4 Depth=1
	s_waitcnt vmcnt(0)
	v_dual_mov_b32 v0, v44 :: v_dual_mov_b32 v1, v45
	v_dual_mov_b32 v2, v46 :: v_dual_mov_b32 v3, v47
	;; [unrolled: 1-line block ×4, first 2 shown]
	s_getpc_b64 s[0:1]
	s_add_u32 s0, s0, _ZNK2at6native12_GLOBAL__N_113power_functorIN3c107complexIdEEEclERKS5_S8_@rel32@lo+4
	s_addc_u32 s1, s1, _ZNK2at6native12_GLOBAL__N_113power_functorIN3c107complexIdEEEclERKS5_S8_@rel32@hi+12
	s_delay_alu instid0(SALU_CYCLE_1)
	s_swappc_b64 s[30:31], s[0:1]
	v_add_co_u32 v4, vcc_lo, v71, s34
	v_add_co_ci_u32_e32 v5, vcc_lo, s35, v72, vcc_lo
	global_store_b128 v[4:5], v[0:3], off
	s_or_b32 exec_lo, exec_lo, s37
	s_and_saveexec_b32 s22, s21
	s_cbranch_execz .LBB92_14
.LBB92_18:                              ;   in Loop: Header=BB92_4 Depth=1
	s_waitcnt vmcnt(0)
	v_dual_mov_b32 v0, v56 :: v_dual_mov_b32 v1, v57
	v_dual_mov_b32 v2, v58 :: v_dual_mov_b32 v3, v59
	;; [unrolled: 1-line block ×4, first 2 shown]
	s_getpc_b64 s[0:1]
	s_add_u32 s0, s0, _ZNK2at6native12_GLOBAL__N_113power_functorIN3c107complexIdEEEclERKS5_S8_@rel32@lo+4
	s_addc_u32 s1, s1, _ZNK2at6native12_GLOBAL__N_113power_functorIN3c107complexIdEEEclERKS5_S8_@rel32@hi+12
	s_delay_alu instid0(SALU_CYCLE_1)
	s_swappc_b64 s[30:31], s[0:1]
	v_add_co_u32 v4, vcc_lo, v81, s34
	v_add_co_ci_u32_e32 v5, vcc_lo, s35, v82, vcc_lo
	global_store_b128 v[4:5], v[0:3], off offset:-8
	s_or_b32 exec_lo, exec_lo, s22
	s_and_saveexec_b32 s21, s20
	s_cbranch_execz .LBB92_3
.LBB92_19:                              ;   in Loop: Header=BB92_4 Depth=1
	s_waitcnt vmcnt(0)
	v_dual_mov_b32 v0, v40 :: v_dual_mov_b32 v1, v41
	v_dual_mov_b32 v2, v42 :: v_dual_mov_b32 v3, v43
	;; [unrolled: 1-line block ×4, first 2 shown]
	s_getpc_b64 s[0:1]
	s_add_u32 s0, s0, _ZNK2at6native12_GLOBAL__N_113power_functorIN3c107complexIdEEEclERKS5_S8_@rel32@lo+4
	s_addc_u32 s1, s1, _ZNK2at6native12_GLOBAL__N_113power_functorIN3c107complexIdEEEclERKS5_S8_@rel32@hi+12
	s_delay_alu instid0(SALU_CYCLE_1)
	s_swappc_b64 s[30:31], s[0:1]
	v_add_co_u32 v4, vcc_lo, v77, s34
	v_add_co_ci_u32_e32 v5, vcc_lo, s35, v78, vcc_lo
	global_store_b128 v[4:5], v[0:3], off offset:-8
	s_branch .LBB92_3
.LBB92_20:
	s_mov_b32 s4, 0
.LBB92_21:
	s_delay_alu instid0(SALU_CYCLE_1)
	s_and_not1_b32 vcc_lo, exec_lo, s4
	s_cbranch_vccnz .LBB92_25
; %bb.22:
	v_dual_mov_b32 v69, 0 :: v_dual_lshlrev_b32 v68, 2, v60
	s_mov_b32 s20, 0
	s_mov_b32 s0, exec_lo
	s_delay_alu instid0(VALU_DEP_1)
	v_cmpx_gt_i64_e64 s[28:29], v[68:69]
	s_cbranch_execz .LBB92_25
; %bb.23:
	s_load_b32 s0, s[18:19], 0xfb4
	v_lshlrev_b32_e32 v70, 6, v60
	s_waitcnt lgkmcnt(0)
	s_and_b32 s0, s0, 0xffff
	s_delay_alu instid0(SALU_CYCLE_1)
	v_add_lshl_u32 v68, v60, s0, 2
	s_lshl_b32 s18, s0, 2
	s_lshl_b32 s19, s0, 6
.LBB92_24:                              ; =>This Inner Loop Header: Depth=1
	v_add_co_u32 v4, s0, s23, v70
	s_delay_alu instid0(VALU_DEP_1)
	v_add_co_ci_u32_e64 v5, null, s33, 0, s0
	v_dual_mov_b32 v6, s26 :: v_dual_mov_b32 v7, s27
	s_getpc_b64 s[34:35]
	s_add_u32 s34, s34, _ZNK2at6native12_GLOBAL__N_113power_functorIN3c107complexIdEEEclERKS5_S8_@rel32@lo+4
	s_addc_u32 s35, s35, _ZNK2at6native12_GLOBAL__N_113power_functorIN3c107complexIdEEEclERKS5_S8_@rel32@hi+12
	s_clause 0x3
	global_load_b128 v[0:3], v[4:5], off
	global_load_b128 v[40:43], v[4:5], off offset:16
	global_load_b128 v[44:47], v[4:5], off offset:48
	;; [unrolled: 1-line block ×3, first 2 shown]
	v_dual_mov_b32 v4, s24 :: v_dual_mov_b32 v5, s25
	s_swappc_b64 s[30:31], s[34:35]
	v_dual_mov_b32 v60, v0 :: v_dual_mov_b32 v61, v1
	v_dual_mov_b32 v62, v2 :: v_dual_mov_b32 v63, v3
	v_dual_mov_b32 v0, v40 :: v_dual_mov_b32 v1, v41
	v_dual_mov_b32 v2, v42 :: v_dual_mov_b32 v3, v43
	v_dual_mov_b32 v4, s24 :: v_dual_mov_b32 v5, s25
	v_dual_mov_b32 v6, s26 :: v_dual_mov_b32 v7, s27
	s_swappc_b64 s[30:31], s[34:35]
	v_dual_mov_b32 v40, v0 :: v_dual_mov_b32 v41, v1
	v_dual_mov_b32 v42, v2 :: v_dual_mov_b32 v43, v3
	v_dual_mov_b32 v0, v56 :: v_dual_mov_b32 v1, v57
	v_dual_mov_b32 v2, v58 :: v_dual_mov_b32 v3, v59
	v_dual_mov_b32 v4, s24 :: v_dual_mov_b32 v5, s25
	;; [unrolled: 7-line block ×3, first 2 shown]
	v_dual_mov_b32 v6, s26 :: v_dual_mov_b32 v7, s27
	s_swappc_b64 s[30:31], s[34:35]
	v_add_co_u32 v4, s0, s42, v70
	s_delay_alu instid0(VALU_DEP_1) | instskip(SKIP_3) | instid1(VALU_DEP_1)
	v_add_co_ci_u32_e64 v5, null, s43, 0, s0
	v_cmp_le_i64_e32 vcc_lo, s[28:29], v[68:69]
	v_cmp_lt_u64_e64 s0, 0xffff, v[68:69]
	v_add_co_u32 v68, s1, v68, s18
	v_add_co_ci_u32_e64 v69, s1, 0, v69, s1
	s_clause 0x1
	global_store_b128 v[4:5], v[60:63], off
	global_store_b128 v[4:5], v[40:43], off offset:16
	s_or_b32 s0, vcc_lo, s0
	s_add_u32 s23, s23, s19
	s_addc_u32 s33, s33, 0
	s_add_u32 s42, s42, s19
	s_addc_u32 s43, s43, 0
	s_and_b32 s0, exec_lo, s0
	s_clause 0x1
	global_store_b128 v[4:5], v[56:59], off offset:32
	global_store_b128 v[4:5], v[0:3], off offset:48
	s_or_b32 s20, s0, s20
	s_delay_alu instid0(SALU_CYCLE_1)
	s_and_not1_b32 exec_lo, exec_lo, s20
	s_cbranch_execnz .LBB92_24
.LBB92_25:
	s_endpgm
	.section	.rodata,"a",@progbits
	.p2align	6, 0x0
	.amdhsa_kernel _ZN2at6native12_GLOBAL__N_125multi_tensor_apply_kernelINS1_28TensorListScalarListMetadataIN3c107complexIdEELi2EEENS1_25BinaryOpScalarListFunctorIS6_Li2ELi1ELi1EEEJNS1_13power_functorIS6_EEEEEvT_T0_DpT1_
		.amdhsa_group_segment_fixed_size 0
		.amdhsa_private_segment_fixed_size 0
		.amdhsa_kernarg_size 4264
		.amdhsa_user_sgpr_count 15
		.amdhsa_user_sgpr_dispatch_ptr 0
		.amdhsa_user_sgpr_queue_ptr 0
		.amdhsa_user_sgpr_kernarg_segment_ptr 1
		.amdhsa_user_sgpr_dispatch_id 0
		.amdhsa_user_sgpr_private_segment_size 0
		.amdhsa_wavefront_size32 1
		.amdhsa_uses_dynamic_stack 0
		.amdhsa_enable_private_segment 0
		.amdhsa_system_sgpr_workgroup_id_x 1
		.amdhsa_system_sgpr_workgroup_id_y 0
		.amdhsa_system_sgpr_workgroup_id_z 0
		.amdhsa_system_sgpr_workgroup_info 0
		.amdhsa_system_vgpr_workitem_id 0
		.amdhsa_next_free_vgpr 83
		.amdhsa_next_free_sgpr 48
		.amdhsa_reserve_vcc 1
		.amdhsa_float_round_mode_32 0
		.amdhsa_float_round_mode_16_64 0
		.amdhsa_float_denorm_mode_32 3
		.amdhsa_float_denorm_mode_16_64 3
		.amdhsa_dx10_clamp 1
		.amdhsa_ieee_mode 1
		.amdhsa_fp16_overflow 0
		.amdhsa_workgroup_processor_mode 1
		.amdhsa_memory_ordered 1
		.amdhsa_forward_progress 0
		.amdhsa_shared_vgpr_count 0
		.amdhsa_exception_fp_ieee_invalid_op 0
		.amdhsa_exception_fp_denorm_src 0
		.amdhsa_exception_fp_ieee_div_zero 0
		.amdhsa_exception_fp_ieee_overflow 0
		.amdhsa_exception_fp_ieee_underflow 0
		.amdhsa_exception_fp_ieee_inexact 0
		.amdhsa_exception_int_div_zero 0
	.end_amdhsa_kernel
	.section	.text._ZN2at6native12_GLOBAL__N_125multi_tensor_apply_kernelINS1_28TensorListScalarListMetadataIN3c107complexIdEELi2EEENS1_25BinaryOpScalarListFunctorIS6_Li2ELi1ELi1EEEJNS1_13power_functorIS6_EEEEEvT_T0_DpT1_,"axG",@progbits,_ZN2at6native12_GLOBAL__N_125multi_tensor_apply_kernelINS1_28TensorListScalarListMetadataIN3c107complexIdEELi2EEENS1_25BinaryOpScalarListFunctorIS6_Li2ELi1ELi1EEEJNS1_13power_functorIS6_EEEEEvT_T0_DpT1_,comdat
.Lfunc_end92:
	.size	_ZN2at6native12_GLOBAL__N_125multi_tensor_apply_kernelINS1_28TensorListScalarListMetadataIN3c107complexIdEELi2EEENS1_25BinaryOpScalarListFunctorIS6_Li2ELi1ELi1EEEJNS1_13power_functorIS6_EEEEEvT_T0_DpT1_, .Lfunc_end92-_ZN2at6native12_GLOBAL__N_125multi_tensor_apply_kernelINS1_28TensorListScalarListMetadataIN3c107complexIdEELi2EEENS1_25BinaryOpScalarListFunctorIS6_Li2ELi1ELi1EEEJNS1_13power_functorIS6_EEEEEvT_T0_DpT1_
                                        ; -- End function
	.section	.AMDGPU.csdata,"",@progbits
; Kernel info:
; codeLenInByte = 1884
; NumSgprs: 50
; NumVgprs: 83
; ScratchSize: 0
; MemoryBound: 1
; FloatMode: 240
; IeeeMode: 1
; LDSByteSize: 0 bytes/workgroup (compile time only)
; SGPRBlocks: 6
; VGPRBlocks: 10
; NumSGPRsForWavesPerEU: 50
; NumVGPRsForWavesPerEU: 83
; Occupancy: 16
; WaveLimiterHint : 0
; COMPUTE_PGM_RSRC2:SCRATCH_EN: 0
; COMPUTE_PGM_RSRC2:USER_SGPR: 15
; COMPUTE_PGM_RSRC2:TRAP_HANDLER: 0
; COMPUTE_PGM_RSRC2:TGID_X_EN: 1
; COMPUTE_PGM_RSRC2:TGID_Y_EN: 0
; COMPUTE_PGM_RSRC2:TGID_Z_EN: 0
; COMPUTE_PGM_RSRC2:TIDIG_COMP_CNT: 0
	.section	.text._ZN2at6native12_GLOBAL__N_125multi_tensor_apply_kernelINS1_28TensorListScalarListMetadataIN3c107complexIfEELi2EEENS1_25BinaryOpScalarListFunctorIS6_Li2ELi1ELi1EEEJNS1_13power_functorIS6_EEEEEvT_T0_DpT1_,"axG",@progbits,_ZN2at6native12_GLOBAL__N_125multi_tensor_apply_kernelINS1_28TensorListScalarListMetadataIN3c107complexIfEELi2EEENS1_25BinaryOpScalarListFunctorIS6_Li2ELi1ELi1EEEJNS1_13power_functorIS6_EEEEEvT_T0_DpT1_,comdat
	.globl	_ZN2at6native12_GLOBAL__N_125multi_tensor_apply_kernelINS1_28TensorListScalarListMetadataIN3c107complexIfEELi2EEENS1_25BinaryOpScalarListFunctorIS6_Li2ELi1ELi1EEEJNS1_13power_functorIS6_EEEEEvT_T0_DpT1_ ; -- Begin function _ZN2at6native12_GLOBAL__N_125multi_tensor_apply_kernelINS1_28TensorListScalarListMetadataIN3c107complexIfEELi2EEENS1_25BinaryOpScalarListFunctorIS6_Li2ELi1ELi1EEEJNS1_13power_functorIS6_EEEEEvT_T0_DpT1_
	.p2align	8
	.type	_ZN2at6native12_GLOBAL__N_125multi_tensor_apply_kernelINS1_28TensorListScalarListMetadataIN3c107complexIfEELi2EEENS1_25BinaryOpScalarListFunctorIS6_Li2ELi1ELi1EEEJNS1_13power_functorIS6_EEEEEvT_T0_DpT1_,@function
_ZN2at6native12_GLOBAL__N_125multi_tensor_apply_kernelINS1_28TensorListScalarListMetadataIN3c107complexIfEELi2EEENS1_25BinaryOpScalarListFunctorIS6_Li2ELi1ELi1EEEJNS1_13power_functorIS6_EEEEEvT_T0_DpT1_: ; @_ZN2at6native12_GLOBAL__N_125multi_tensor_apply_kernelINS1_28TensorListScalarListMetadataIN3c107complexIfEELi2EEENS1_25BinaryOpScalarListFunctorIS6_Li2ELi1ELi1EEEJNS1_13power_functorIS6_EEEEEvT_T0_DpT1_
; %bb.0:
	v_mov_b32_e32 v1, s15
	s_load_b64 s[4:5], s[0:1], 0x4
	s_mov_b64 s[16:17], s[2:3]
	s_mul_i32 s0, s15, 3
	s_mul_hi_u32 s1, s15, 3
	global_load_u8 v1, v1, s[2:3] offset:2048
	v_and_b32_e32 v29, 0x3ff, v0
	v_bfe_u32 v2, v0, 10, 10
	s_mov_b32 s9, 0
	v_bfe_u32 v0, v0, 20, 10
	s_mov_b32 s11, s9
	s_mov_b32 s13, s9
	;; [unrolled: 1-line block ×3, first 2 shown]
	s_waitcnt lgkmcnt(0)
	s_lshr_b32 s6, s4, 16
	s_add_u32 s2, s16, s15
	s_addc_u32 s3, s17, 0
	s_add_u32 s0, s2, s0
	s_addc_u32 s1, s3, s1
	s_mul_i32 s8, s6, s5
	s_load_b32 s4, s[0:1], 0x940
	s_waitcnt vmcnt(0)
	v_lshlrev_b32_e32 v1, 3, v1
	s_delay_alu instid0(VALU_DEP_1)
	v_readfirstlane_b32 s7, v1
	v_mul_lo_u32 v1, s8, v29
	s_clause 0x3
	s_load_b64 s[0:1], s[16:17], s7 offset:0x0
	s_load_b64 s[22:23], s[16:17], s7 offset:0x600
	s_load_b64 s[2:3], s[16:17], s7 offset:0x200
	s_load_b64 s[6:7], s[16:17], s7 offset:0x400
	s_delay_alu instid0(VALU_DEP_1) | instskip(SKIP_2) | instid1(SALU_CYCLE_1)
	v_mad_u32_u24 v1, v2, s5, v1
	s_waitcnt lgkmcnt(0)
	s_ashr_i32 s5, s4, 31
	s_lshl_b64 s[26:27], s[4:5], 19
	s_delay_alu instid0(VALU_DEP_1)
	v_add_lshl_u32 v35, v1, v0, 3
	s_add_u32 s33, s0, s26
	s_addc_u32 s40, s1, s27
	s_add_u32 s41, s2, s26
	s_addc_u32 s42, s3, s27
	s_and_b32 s10, s33, 31
	s_and_b32 s12, s6, 3
	;; [unrolled: 1-line block ×3, first 2 shown]
	s_or_b64 s[10:11], s[10:11], s[12:13]
	s_lshl_b64 s[4:5], s[4:5], 16
	s_or_b64 s[8:9], s[8:9], s[10:11]
	s_sub_u32 s24, s6, s4
	s_subb_u32 s25, s7, s5
	s_cmp_eq_u64 s[8:9], 0
	s_mov_b32 s4, -1
	s_cbranch_scc1 .LBB93_19
; %bb.1:
	v_cmp_lt_i64_e64 s4, s[24:25], 1
	s_delay_alu instid0(VALU_DEP_1)
	s_and_b32 vcc_lo, exec_lo, s4
	s_cbranch_vccnz .LBB93_18
; %bb.2:
	s_load_b32 s6, s[16:17], 0xe54
	v_mov_b32_e32 v30, 0
	v_lshlrev_b32_e32 v0, 3, v29
	s_mov_b64 s[4:5], src_shared_base
	v_cmp_gt_u64_e64 s4, 0x10000, s[24:25]
	s_delay_alu instid0(VALU_DEP_3)
	v_dual_mov_b32 v36, s5 :: v_dual_mov_b32 v31, v30
	v_mov_b32_e32 v1, v30
	v_or_b32_e32 v4, 4, v0
	v_mov_b32_e32 v34, v30
	v_dual_mov_b32 v32, v30 :: v_dual_mov_b32 v33, v29
	s_mov_b32 s29, 0
	s_delay_alu instid0(VALU_DEP_3) | instskip(NEXT) | instid1(VALU_DEP_1)
	v_add_co_u32 v37, s5, s0, v4
	v_add_co_ci_u32_e64 v38, null, s1, 0, s5
	v_add_co_u32 v39, s5, s2, v4
	s_delay_alu instid0(VALU_DEP_1)
	v_add_co_ci_u32_e64 v40, null, s3, 0, s5
	s_waitcnt lgkmcnt(0)
	s_and_b32 s43, s6, 0xffff
	s_and_b32 s4, s4, exec_lo
	v_mad_u64_u32 v[2:3], null, s43, 24, v[0:1]
	s_cselect_b32 s35, s25, 0
	s_cselect_b32 s34, s24, 0x10000
	s_lshl_b32 s4, s43, 4
	v_add_lshl_u32 v0, v29, s43, 3
	v_add_co_u32 v1, s4, v4, s4
	s_delay_alu instid0(VALU_DEP_3) | instskip(NEXT) | instid1(VALU_DEP_4)
	v_add_co_u32 v41, vcc_lo, s0, v2
	v_add_co_ci_u32_e32 v42, vcc_lo, s1, v3, vcc_lo
	v_add_co_u32 v43, vcc_lo, s2, v2
	v_add_co_ci_u32_e64 v2, null, 0, 0, s4
	v_add_co_ci_u32_e32 v44, vcc_lo, s3, v3, vcc_lo
	v_add_co_u32 v47, vcc_lo, s0, v1
	s_delay_alu instid0(VALU_DEP_3)
	v_add_co_ci_u32_e32 v48, vcc_lo, s1, v2, vcc_lo
	v_add_co_u32 v45, s4, s2, v0
	v_add_co_u32 v49, s0, s0, v0
	v_add_co_u32 v51, vcc_lo, s2, v1
	v_add_co_ci_u32_e64 v46, null, s3, 0, s4
	v_add_co_ci_u32_e64 v50, null, s1, 0, s0
	v_add_co_ci_u32_e32 v52, vcc_lo, s3, v2, vcc_lo
	s_lshl_b32 s28, s43, 2
	s_lshl_b32 s44, s43, 1
	s_mul_i32 s45, s43, 3
	s_lshl_b32 s46, s43, 5
	s_mov_b64 s[36:37], s[28:29]
	s_branch .LBB93_4
.LBB93_3:                               ;   in Loop: Header=BB93_4 Depth=1
	s_or_b32 exec_lo, exec_lo, s0
	v_add_co_u32 v33, vcc_lo, v33, s28
	v_add_co_ci_u32_e32 v34, vcc_lo, 0, v34, vcc_lo
	v_add_co_u32 v37, vcc_lo, v37, s46
	v_add_co_ci_u32_e32 v38, vcc_lo, 0, v38, vcc_lo
	;; [unrolled: 2-line block ×7, first 2 shown]
	v_cmp_lt_i64_e64 s0, s[36:37], s[24:25]
	v_cmp_gt_u64_e64 s1, 0x10000, s[36:37]
	v_add_co_u32 v49, vcc_lo, v49, s46
	v_add_co_ci_u32_e32 v50, vcc_lo, 0, v50, vcc_lo
	v_add_co_u32 v51, vcc_lo, v51, s46
	v_add_co_ci_u32_e32 v52, vcc_lo, 0, v52, vcc_lo
	s_and_b32 s0, s0, s1
	s_add_u32 s36, s36, s28
	s_addc_u32 s37, s37, 0
	s_and_b32 vcc_lo, exec_lo, s0
	s_cbranch_vccz .LBB93_18
.LBB93_4:                               ; =>This Inner Loop Header: Depth=1
	v_cmp_gt_u64_e64 s19, s[34:35], v[33:34]
	v_dual_mov_b32 v26, 0 :: v_dual_mov_b32 v25, 0
	s_delay_alu instid0(VALU_DEP_2)
	s_and_saveexec_b32 s0, s19
	s_cbranch_execz .LBB93_6
; %bb.5:                                ;   in Loop: Header=BB93_4 Depth=1
	v_add_co_u32 v0, vcc_lo, v37, s26
	v_add_co_ci_u32_e32 v1, vcc_lo, s27, v38, vcc_lo
	global_load_b64 v[25:26], v[0:1], off offset:-4
.LBB93_6:                               ;   in Loop: Header=BB93_4 Depth=1
	s_or_b32 exec_lo, exec_lo, s0
	v_add_co_u32 v0, vcc_lo, s43, v33
	v_add_co_ci_u32_e32 v1, vcc_lo, 0, v34, vcc_lo
	v_dual_mov_b32 v24, 0 :: v_dual_mov_b32 v27, 0
	v_mov_b32_e32 v28, 0
	s_delay_alu instid0(VALU_DEP_3) | instskip(NEXT) | instid1(VALU_DEP_1)
	v_cmp_gt_u64_e64 s20, s[34:35], v[0:1]
	s_and_saveexec_b32 s0, s20
	s_cbranch_execz .LBB93_8
; %bb.7:                                ;   in Loop: Header=BB93_4 Depth=1
	v_add_co_u32 v0, vcc_lo, v49, s26
	v_add_co_ci_u32_e32 v1, vcc_lo, s27, v50, vcc_lo
	global_load_b64 v[27:28], v[0:1], off
.LBB93_8:                               ;   in Loop: Header=BB93_4 Depth=1
	s_or_b32 exec_lo, exec_lo, s0
	v_add_co_u32 v0, vcc_lo, s44, v33
	v_add_co_ci_u32_e32 v1, vcc_lo, 0, v34, vcc_lo
	v_mov_b32_e32 v23, 0
	s_delay_alu instid0(VALU_DEP_2) | instskip(NEXT) | instid1(VALU_DEP_1)
	v_cmp_gt_u64_e64 s18, s[34:35], v[0:1]
	s_and_saveexec_b32 s0, s18
	s_cbranch_execz .LBB93_10
; %bb.9:                                ;   in Loop: Header=BB93_4 Depth=1
	v_add_co_u32 v0, vcc_lo, v47, s26
	v_add_co_ci_u32_e32 v1, vcc_lo, s27, v48, vcc_lo
	global_load_b64 v[23:24], v[0:1], off offset:-4
.LBB93_10:                              ;   in Loop: Header=BB93_4 Depth=1
	s_or_b32 exec_lo, exec_lo, s0
	v_add_co_u32 v0, vcc_lo, s45, v33
	v_add_co_ci_u32_e32 v1, vcc_lo, 0, v34, vcc_lo
	v_add_co_u32 v2, vcc_lo, v41, s26
	v_add_co_ci_u32_e32 v3, vcc_lo, s27, v42, vcc_lo
	s_delay_alu instid0(VALU_DEP_3)
	v_cmp_gt_u64_e64 s21, s[34:35], v[0:1]
	ds_store_b64 v35, v[31:32]
	s_getpc_b64 s[38:39]
	s_add_u32 s38, s38, _ZNK2at6native12_GLOBAL__N_113power_functorIN3c107complexIfEEEclERKS5_S8_@rel32@lo+4
	s_addc_u32 s39, s39, _ZNK2at6native12_GLOBAL__N_113power_functorIN3c107complexIfEEEclERKS5_S8_@rel32@hi+12
	v_cndmask_b32_e64 v1, v36, v3, s21
	v_cndmask_b32_e64 v0, v35, v2, s21
	v_dual_mov_b32 v2, s22 :: v_dual_mov_b32 v3, s23
	flat_load_b64 v[0:1], v[0:1]
	s_swappc_b64 s[30:31], s[38:39]
	ds_store_b64 v35, v[0:1]
	s_and_saveexec_b32 s29, s19
	s_cbranch_execnz .LBB93_14
; %bb.11:                               ;   in Loop: Header=BB93_4 Depth=1
	s_or_b32 exec_lo, exec_lo, s29
	s_and_saveexec_b32 s19, s20
	s_cbranch_execnz .LBB93_15
.LBB93_12:                              ;   in Loop: Header=BB93_4 Depth=1
	s_or_b32 exec_lo, exec_lo, s19
	s_and_saveexec_b32 s19, s18
	s_cbranch_execnz .LBB93_16
.LBB93_13:                              ;   in Loop: Header=BB93_4 Depth=1
	s_or_b32 exec_lo, exec_lo, s19
	s_and_saveexec_b32 s0, s21
	s_cbranch_execz .LBB93_3
	s_branch .LBB93_17
.LBB93_14:                              ;   in Loop: Header=BB93_4 Depth=1
	v_dual_mov_b32 v0, v25 :: v_dual_mov_b32 v1, v26
	v_dual_mov_b32 v2, s22 :: v_dual_mov_b32 v3, s23
	s_swappc_b64 s[30:31], s[38:39]
	v_add_co_u32 v2, vcc_lo, v39, s26
	v_add_co_ci_u32_e32 v3, vcc_lo, s27, v40, vcc_lo
	global_store_b64 v[2:3], v[0:1], off offset:-4
	s_or_b32 exec_lo, exec_lo, s29
	s_and_saveexec_b32 s19, s20
	s_cbranch_execz .LBB93_12
.LBB93_15:                              ;   in Loop: Header=BB93_4 Depth=1
	v_dual_mov_b32 v0, v27 :: v_dual_mov_b32 v1, v28
	v_dual_mov_b32 v2, s22 :: v_dual_mov_b32 v3, s23
	s_getpc_b64 s[0:1]
	s_add_u32 s0, s0, _ZNK2at6native12_GLOBAL__N_113power_functorIN3c107complexIfEEEclERKS5_S8_@rel32@lo+4
	s_addc_u32 s1, s1, _ZNK2at6native12_GLOBAL__N_113power_functorIN3c107complexIfEEEclERKS5_S8_@rel32@hi+12
	s_delay_alu instid0(SALU_CYCLE_1)
	s_swappc_b64 s[30:31], s[0:1]
	v_add_co_u32 v2, vcc_lo, v45, s26
	v_add_co_ci_u32_e32 v3, vcc_lo, s27, v46, vcc_lo
	global_store_b64 v[2:3], v[0:1], off
	s_or_b32 exec_lo, exec_lo, s19
	s_and_saveexec_b32 s19, s18
	s_cbranch_execz .LBB93_13
.LBB93_16:                              ;   in Loop: Header=BB93_4 Depth=1
	v_dual_mov_b32 v0, v23 :: v_dual_mov_b32 v1, v24
	v_dual_mov_b32 v2, s22 :: v_dual_mov_b32 v3, s23
	s_getpc_b64 s[0:1]
	s_add_u32 s0, s0, _ZNK2at6native12_GLOBAL__N_113power_functorIN3c107complexIfEEEclERKS5_S8_@rel32@lo+4
	s_addc_u32 s1, s1, _ZNK2at6native12_GLOBAL__N_113power_functorIN3c107complexIfEEEclERKS5_S8_@rel32@hi+12
	s_delay_alu instid0(SALU_CYCLE_1)
	s_swappc_b64 s[30:31], s[0:1]
	v_add_co_u32 v2, vcc_lo, v51, s26
	v_add_co_ci_u32_e32 v3, vcc_lo, s27, v52, vcc_lo
	global_store_b64 v[2:3], v[0:1], off offset:-4
	s_or_b32 exec_lo, exec_lo, s19
	s_and_saveexec_b32 s0, s21
	s_cbranch_execz .LBB93_3
.LBB93_17:                              ;   in Loop: Header=BB93_4 Depth=1
	ds_load_b64 v[0:1], v35
	v_add_co_u32 v2, vcc_lo, v43, s26
	v_add_co_ci_u32_e32 v3, vcc_lo, s27, v44, vcc_lo
	s_waitcnt lgkmcnt(0)
	global_store_b64 v[2:3], v[0:1], off
	s_branch .LBB93_3
.LBB93_18:
	s_mov_b32 s4, 0
.LBB93_19:
	s_delay_alu instid0(SALU_CYCLE_1)
	s_and_not1_b32 vcc_lo, exec_lo, s4
	s_cbranch_vccnz .LBB93_23
; %bb.20:
	v_dual_mov_b32 v32, 0 :: v_dual_lshlrev_b32 v31, 2, v29
	s_mov_b32 s18, 0
	s_mov_b32 s0, exec_lo
	s_delay_alu instid0(VALU_DEP_1)
	v_cmpx_gt_i64_e64 s[24:25], v[31:32]
	s_cbranch_execz .LBB93_23
; %bb.21:
	s_load_b32 s0, s[16:17], 0xe54
	v_lshlrev_b32_e32 v33, 5, v29
	s_waitcnt lgkmcnt(0)
	s_and_b32 s0, s0, 0xffff
	s_delay_alu instid0(SALU_CYCLE_1)
	v_add_lshl_u32 v31, v29, s0, 2
	s_lshl_b32 s16, s0, 2
	s_lshl_b32 s17, s0, 5
.LBB93_22:                              ; =>This Inner Loop Header: Depth=1
	v_add_co_u32 v0, s0, s33, v33
	s_delay_alu instid0(VALU_DEP_1)
	v_add_co_ci_u32_e64 v1, null, s40, 0, s0
	s_getpc_b64 s[20:21]
	s_add_u32 s20, s20, _ZNK2at6native12_GLOBAL__N_113power_functorIN3c107complexIfEEEclERKS5_S8_@rel32@lo+4
	s_addc_u32 s21, s21, _ZNK2at6native12_GLOBAL__N_113power_functorIN3c107complexIfEEEclERKS5_S8_@rel32@hi+12
	s_clause 0x1
	global_load_b128 v[23:26], v[0:1], off
	global_load_b128 v[27:30], v[0:1], off offset:16
	v_dual_mov_b32 v2, s22 :: v_dual_mov_b32 v3, s23
	s_waitcnt vmcnt(1)
	v_dual_mov_b32 v1, v24 :: v_dual_mov_b32 v0, v23
	s_swappc_b64 s[30:31], s[20:21]
	s_delay_alu instid0(VALU_DEP_1) | instskip(SKIP_3) | instid1(VALU_DEP_2)
	v_dual_mov_b32 v23, v0 :: v_dual_mov_b32 v24, v1
	v_dual_mov_b32 v0, v25 :: v_dual_mov_b32 v1, v26
	;; [unrolled: 1-line block ×3, first 2 shown]
	s_swappc_b64 s[30:31], s[20:21]
	v_dual_mov_b32 v25, v0 :: v_dual_mov_b32 v26, v1
	v_dual_mov_b32 v0, v27 :: v_dual_mov_b32 v1, v28
	;; [unrolled: 1-line block ×3, first 2 shown]
	s_swappc_b64 s[30:31], s[20:21]
	s_delay_alu instid0(VALU_DEP_2)
	v_dual_mov_b32 v27, v0 :: v_dual_mov_b32 v28, v1
	v_dual_mov_b32 v0, v29 :: v_dual_mov_b32 v1, v30
	;; [unrolled: 1-line block ×3, first 2 shown]
	s_swappc_b64 s[30:31], s[20:21]
	v_cmp_le_i64_e32 vcc_lo, s[24:25], v[31:32]
	v_cmp_lt_u64_e64 s0, 0xffff, v[31:32]
	v_dual_mov_b32 v29, v0 :: v_dual_mov_b32 v30, v1
	v_add_co_u32 v0, s1, s41, v33
	s_delay_alu instid0(VALU_DEP_1) | instskip(NEXT) | instid1(VALU_DEP_4)
	v_add_co_ci_u32_e64 v1, null, s42, 0, s1
	s_or_b32 s0, vcc_lo, s0
	s_add_u32 s33, s33, s17
	v_add_co_u32 v31, s1, v31, s16
	s_addc_u32 s40, s40, 0
	s_add_u32 s41, s41, s17
	v_add_co_ci_u32_e64 v32, s1, 0, v32, s1
	s_addc_u32 s42, s42, 0
	s_and_b32 s0, exec_lo, s0
	ds_store_b64 v35, v[29:30]
	s_or_b32 s18, s0, s18
	s_clause 0x1
	global_store_b128 v[0:1], v[23:26], off
	global_store_b128 v[0:1], v[27:30], off offset:16
	s_and_not1_b32 exec_lo, exec_lo, s18
	s_cbranch_execnz .LBB93_22
.LBB93_23:
	s_endpgm
	.section	.rodata,"a",@progbits
	.p2align	6, 0x0
	.amdhsa_kernel _ZN2at6native12_GLOBAL__N_125multi_tensor_apply_kernelINS1_28TensorListScalarListMetadataIN3c107complexIfEELi2EEENS1_25BinaryOpScalarListFunctorIS6_Li2ELi1ELi1EEEJNS1_13power_functorIS6_EEEEEvT_T0_DpT1_
		.amdhsa_group_segment_fixed_size 4096
		.amdhsa_private_segment_fixed_size 0
		.amdhsa_kernarg_size 3912
		.amdhsa_user_sgpr_count 15
		.amdhsa_user_sgpr_dispatch_ptr 1
		.amdhsa_user_sgpr_queue_ptr 0
		.amdhsa_user_sgpr_kernarg_segment_ptr 1
		.amdhsa_user_sgpr_dispatch_id 0
		.amdhsa_user_sgpr_private_segment_size 0
		.amdhsa_wavefront_size32 1
		.amdhsa_uses_dynamic_stack 0
		.amdhsa_enable_private_segment 0
		.amdhsa_system_sgpr_workgroup_id_x 1
		.amdhsa_system_sgpr_workgroup_id_y 0
		.amdhsa_system_sgpr_workgroup_id_z 0
		.amdhsa_system_sgpr_workgroup_info 0
		.amdhsa_system_vgpr_workitem_id 2
		.amdhsa_next_free_vgpr 53
		.amdhsa_next_free_sgpr 47
		.amdhsa_reserve_vcc 1
		.amdhsa_float_round_mode_32 0
		.amdhsa_float_round_mode_16_64 0
		.amdhsa_float_denorm_mode_32 3
		.amdhsa_float_denorm_mode_16_64 3
		.amdhsa_dx10_clamp 1
		.amdhsa_ieee_mode 1
		.amdhsa_fp16_overflow 0
		.amdhsa_workgroup_processor_mode 1
		.amdhsa_memory_ordered 1
		.amdhsa_forward_progress 0
		.amdhsa_shared_vgpr_count 0
		.amdhsa_exception_fp_ieee_invalid_op 0
		.amdhsa_exception_fp_denorm_src 0
		.amdhsa_exception_fp_ieee_div_zero 0
		.amdhsa_exception_fp_ieee_overflow 0
		.amdhsa_exception_fp_ieee_underflow 0
		.amdhsa_exception_fp_ieee_inexact 0
		.amdhsa_exception_int_div_zero 0
	.end_amdhsa_kernel
	.section	.text._ZN2at6native12_GLOBAL__N_125multi_tensor_apply_kernelINS1_28TensorListScalarListMetadataIN3c107complexIfEELi2EEENS1_25BinaryOpScalarListFunctorIS6_Li2ELi1ELi1EEEJNS1_13power_functorIS6_EEEEEvT_T0_DpT1_,"axG",@progbits,_ZN2at6native12_GLOBAL__N_125multi_tensor_apply_kernelINS1_28TensorListScalarListMetadataIN3c107complexIfEELi2EEENS1_25BinaryOpScalarListFunctorIS6_Li2ELi1ELi1EEEJNS1_13power_functorIS6_EEEEEvT_T0_DpT1_,comdat
.Lfunc_end93:
	.size	_ZN2at6native12_GLOBAL__N_125multi_tensor_apply_kernelINS1_28TensorListScalarListMetadataIN3c107complexIfEELi2EEENS1_25BinaryOpScalarListFunctorIS6_Li2ELi1ELi1EEEJNS1_13power_functorIS6_EEEEEvT_T0_DpT1_, .Lfunc_end93-_ZN2at6native12_GLOBAL__N_125multi_tensor_apply_kernelINS1_28TensorListScalarListMetadataIN3c107complexIfEELi2EEENS1_25BinaryOpScalarListFunctorIS6_Li2ELi1ELi1EEEJNS1_13power_functorIS6_EEEEEvT_T0_DpT1_
                                        ; -- End function
	.section	.AMDGPU.csdata,"",@progbits
; Kernel info:
; codeLenInByte = 1692
; NumSgprs: 49
; NumVgprs: 53
; ScratchSize: 0
; MemoryBound: 0
; FloatMode: 240
; IeeeMode: 1
; LDSByteSize: 4096 bytes/workgroup (compile time only)
; SGPRBlocks: 6
; VGPRBlocks: 6
; NumSGPRsForWavesPerEU: 49
; NumVGPRsForWavesPerEU: 53
; Occupancy: 16
; WaveLimiterHint : 0
; COMPUTE_PGM_RSRC2:SCRATCH_EN: 0
; COMPUTE_PGM_RSRC2:USER_SGPR: 15
; COMPUTE_PGM_RSRC2:TRAP_HANDLER: 0
; COMPUTE_PGM_RSRC2:TGID_X_EN: 1
; COMPUTE_PGM_RSRC2:TGID_Y_EN: 0
; COMPUTE_PGM_RSRC2:TGID_Z_EN: 0
; COMPUTE_PGM_RSRC2:TIDIG_COMP_CNT: 2
	.section	.text._ZN2at6native12_GLOBAL__N_125multi_tensor_apply_kernelINS1_28TensorListScalarListMetadataIfLi2EEENS1_25BinaryOpScalarListFunctorIN3c104HalfELi2ELi1ELi1EEEJNS1_13power_functorIfEEEEEvT_T0_DpT1_,"axG",@progbits,_ZN2at6native12_GLOBAL__N_125multi_tensor_apply_kernelINS1_28TensorListScalarListMetadataIfLi2EEENS1_25BinaryOpScalarListFunctorIN3c104HalfELi2ELi1ELi1EEEJNS1_13power_functorIfEEEEEvT_T0_DpT1_,comdat
	.globl	_ZN2at6native12_GLOBAL__N_125multi_tensor_apply_kernelINS1_28TensorListScalarListMetadataIfLi2EEENS1_25BinaryOpScalarListFunctorIN3c104HalfELi2ELi1ELi1EEEJNS1_13power_functorIfEEEEEvT_T0_DpT1_ ; -- Begin function _ZN2at6native12_GLOBAL__N_125multi_tensor_apply_kernelINS1_28TensorListScalarListMetadataIfLi2EEENS1_25BinaryOpScalarListFunctorIN3c104HalfELi2ELi1ELi1EEEJNS1_13power_functorIfEEEEEvT_T0_DpT1_
	.p2align	8
	.type	_ZN2at6native12_GLOBAL__N_125multi_tensor_apply_kernelINS1_28TensorListScalarListMetadataIfLi2EEENS1_25BinaryOpScalarListFunctorIN3c104HalfELi2ELi1ELi1EEEJNS1_13power_functorIfEEEEEvT_T0_DpT1_,@function
_ZN2at6native12_GLOBAL__N_125multi_tensor_apply_kernelINS1_28TensorListScalarListMetadataIfLi2EEENS1_25BinaryOpScalarListFunctorIN3c104HalfELi2ELi1ELi1EEEJNS1_13power_functorIfEEEEEvT_T0_DpT1_: ; @_ZN2at6native12_GLOBAL__N_125multi_tensor_apply_kernelINS1_28TensorListScalarListMetadataIfLi2EEENS1_25BinaryOpScalarListFunctorIN3c104HalfELi2ELi1ELi1EEEJNS1_13power_functorIfEEEEEvT_T0_DpT1_
; %bb.0:
	v_mov_b32_e32 v1, s15
	s_add_u32 s2, s0, s15
	s_mul_hi_u32 s3, s15, 3
	s_mul_i32 s15, s15, 3
	s_addc_u32 s4, s1, 0
	global_load_u8 v1, v1, s[0:1] offset:1792
	s_add_u32 s2, s2, s15
	s_addc_u32 s3, s4, s3
	s_mov_b32 s13, 0
	s_load_b32 s6, s[2:3], 0x840
	s_waitcnt lgkmcnt(0)
	s_ashr_i32 s7, s6, 31
	s_waitcnt vmcnt(0)
	v_readfirstlane_b32 s2, v1
	v_lshlrev_b32_e32 v1, 2, v1
	s_delay_alu instid0(VALU_DEP_2)
	s_lshl_b32 s10, s2, 3
	s_clause 0x2
	s_load_b64 s[8:9], s[0:1], s10 offset:0x400
	s_load_b64 s[4:5], s[0:1], s10 offset:0x0
	;; [unrolled: 1-line block ×3, first 2 shown]
	s_add_u32 s10, s0, s10
	s_addc_u32 s11, s1, 0
	v_sub_co_u32 v1, s10, s10, v1
	s_delay_alu instid0(VALU_DEP_1) | instskip(NEXT) | instid1(VALU_DEP_2)
	v_sub_co_ci_u32_e64 v2, null, s11, 0, s10
	v_readfirstlane_b32 s10, v1
	s_delay_alu instid0(VALU_DEP_2)
	v_readfirstlane_b32 s11, v2
	s_load_b32 s28, s[10:11], 0x600
	s_lshl_b64 s[10:11], s[6:7], 17
	s_waitcnt lgkmcnt(0)
	s_add_u32 s29, s4, s10
	s_addc_u32 s30, s5, s11
	s_and_b32 s12, s29, 7
	s_add_u32 s31, s2, s10
	s_addc_u32 s33, s3, s11
	s_and_b32 s14, s8, 3
	s_and_b32 s15, s31, 7
	s_or_b32 s12, s12, s14
	s_lshl_b64 s[6:7], s[6:7], 16
	s_or_b32 s12, s15, s12
	s_sub_u32 s26, s8, s6
	s_subb_u32 s27, s9, s7
	s_cmp_eq_u64 s[12:13], 0
	s_mov_b32 s6, -1
	s_cbranch_scc1 .LBB94_21
; %bb.1:
	v_cmp_lt_i64_e64 s6, s[26:27], 1
	s_delay_alu instid0(VALU_DEP_1)
	s_and_b32 vcc_lo, exec_lo, s6
	s_cbranch_vccnz .LBB94_20
; %bb.2:
	s_load_b32 s6, s[0:1], 0xd54
	v_dual_mov_b32 v10, 0 :: v_dual_lshlrev_b32 v9, 1, v0
	v_cmp_gt_u64_e64 s7, 0x10000, s[26:27]
	s_mov_b32 s17, 0x3e76c4e1
	s_delay_alu instid0(VALU_DEP_2) | instskip(NEXT) | instid1(VALU_DEP_1)
	v_add_co_u32 v1, s8, s4, v9
	v_add_co_ci_u32_e64 v2, null, s5, 0, s8
	v_add_co_u32 v3, s8, s2, v9
	s_delay_alu instid0(VALU_DEP_1)
	v_add_co_ci_u32_e64 v4, null, s3, 0, s8
	s_waitcnt lgkmcnt(0)
	s_and_b32 s6, s6, 0xffff
	s_and_b32 s7, s7, exec_lo
	v_mad_u64_u32 v[7:8], null, s6, 6, v[9:10]
	s_cselect_b32 s13, s27, 0
	s_cselect_b32 s12, s26, 0x10000
	s_mul_i32 s8, s6, 3
	s_lshl_b32 s9, s6, 2
	s_lshl_b32 s7, s6, 1
	v_add_co_u32 v14, s14, s9, v9
	v_add_co_u32 v9, s8, s8, v0
	s_delay_alu instid0(VALU_DEP_1)
	v_add_co_ci_u32_e64 v10, null, 0, 0, s8
	v_add_co_u32 v13, s8, v0, s6
	v_add_co_u32 v5, vcc_lo, s4, v7
	v_add_co_ci_u32_e32 v6, vcc_lo, s5, v8, vcc_lo
	v_add_co_u32 v7, vcc_lo, s2, v7
	v_add_co_ci_u32_e64 v15, null, 0, 0, s14
	v_lshlrev_b32_e32 v21, 1, v13
	v_add_co_ci_u32_e32 v8, vcc_lo, s3, v8, vcc_lo
	v_add_co_u32 v11, vcc_lo, s4, v14
	s_delay_alu instid0(VALU_DEP_4)
	v_add_co_ci_u32_e32 v12, vcc_lo, s5, v15, vcc_lo
	v_add_co_u32 v14, vcc_lo, s2, v14
	v_add_co_u32 v17, s7, s7, v0
	v_add_co_u32 v19, s4, s4, v21
	;; [unrolled: 1-line block ×3, first 2 shown]
	v_add_co_ci_u32_e32 v15, vcc_lo, s3, v15, vcc_lo
	v_add_co_ci_u32_e64 v16, null, 0, 0, s8
	v_add_co_ci_u32_e64 v18, null, 0, 0, s7
	;; [unrolled: 1-line block ×4, first 2 shown]
	s_lshl_b32 s16, s6, 3
	s_mov_b64 s[14:15], 0
	s_branch .LBB94_4
.LBB94_3:                               ;   in Loop: Header=BB94_4 Depth=1
	s_or_b32 exec_lo, exec_lo, s6
	v_add_co_u32 v1, vcc_lo, v1, s16
	v_add_co_ci_u32_e32 v2, vcc_lo, 0, v2, vcc_lo
	v_add_co_u32 v3, vcc_lo, v3, s16
	v_add_co_ci_u32_e32 v4, vcc_lo, 0, v4, vcc_lo
	;; [unrolled: 2-line block ×5, first 2 shown]
	s_add_u32 s14, s14, s9
	v_add_co_u32 v14, vcc_lo, v14, s16
	s_addc_u32 s15, s15, 0
	v_add_co_ci_u32_e32 v15, vcc_lo, 0, v15, vcc_lo
	v_cmp_lt_i64_e64 s2, s[14:15], s[26:27]
	v_cmp_gt_u64_e64 s3, 0x10000, s[14:15]
	v_add_co_u32 v19, vcc_lo, v19, s16
	v_add_co_ci_u32_e32 v20, vcc_lo, 0, v20, vcc_lo
	v_add_co_u32 v21, vcc_lo, v21, s16
	v_add_co_ci_u32_e32 v22, vcc_lo, 0, v22, vcc_lo
	s_and_b32 s2, s2, s3
	s_delay_alu instid0(SALU_CYCLE_1)
	s_and_b32 vcc_lo, exec_lo, s2
	s_cbranch_vccz .LBB94_20
.LBB94_4:                               ; =>This Inner Loop Header: Depth=1
	s_waitcnt vmcnt(0)
	v_add_co_u32 v23, s2, v0, s14
	s_delay_alu instid0(VALU_DEP_1) | instskip(SKIP_1) | instid1(VALU_DEP_2)
	v_add_co_ci_u32_e64 v24, null, 0, s15, s2
	v_mov_b32_e32 v26, 0
	v_cmp_gt_u64_e64 s4, s[12:13], v[23:24]
	s_delay_alu instid0(VALU_DEP_1)
	s_and_saveexec_b32 s2, s4
	s_cbranch_execz .LBB94_6
; %bb.5:                                ;   in Loop: Header=BB94_4 Depth=1
	v_add_co_u32 v23, vcc_lo, v1, s10
	v_add_co_ci_u32_e32 v24, vcc_lo, s11, v2, vcc_lo
	global_load_u16 v26, v[23:24], off
.LBB94_6:                               ;   in Loop: Header=BB94_4 Depth=1
	s_or_b32 exec_lo, exec_lo, s2
	v_add_co_u32 v23, vcc_lo, v13, s14
	v_add_co_ci_u32_e32 v24, vcc_lo, s15, v16, vcc_lo
	v_mov_b32_e32 v25, 0
	s_delay_alu instid0(VALU_DEP_2) | instskip(NEXT) | instid1(VALU_DEP_1)
	v_cmp_gt_u64_e64 s3, s[12:13], v[23:24]
	s_and_saveexec_b32 s2, s3
	s_cbranch_execz .LBB94_8
; %bb.7:                                ;   in Loop: Header=BB94_4 Depth=1
	v_add_co_u32 v23, vcc_lo, v19, s10
	v_add_co_ci_u32_e32 v24, vcc_lo, s11, v20, vcc_lo
	global_load_u16 v25, v[23:24], off
.LBB94_8:                               ;   in Loop: Header=BB94_4 Depth=1
	s_or_b32 exec_lo, exec_lo, s2
	v_add_co_u32 v23, vcc_lo, v17, s14
	v_add_co_ci_u32_e32 v24, vcc_lo, s15, v18, vcc_lo
	s_delay_alu instid0(VALU_DEP_1) | instskip(SKIP_1) | instid1(VALU_DEP_2)
	v_cmp_gt_u64_e64 s2, s[12:13], v[23:24]
	v_dual_mov_b32 v23, 0 :: v_dual_mov_b32 v24, 0
	s_and_saveexec_b32 s5, s2
	s_cbranch_execz .LBB94_10
; %bb.9:                                ;   in Loop: Header=BB94_4 Depth=1
	v_add_co_u32 v27, vcc_lo, v11, s10
	v_add_co_ci_u32_e32 v28, vcc_lo, s11, v12, vcc_lo
	global_load_u16 v24, v[27:28], off
.LBB94_10:                              ;   in Loop: Header=BB94_4 Depth=1
	s_or_b32 exec_lo, exec_lo, s5
	v_add_co_u32 v27, vcc_lo, v9, s14
	v_add_co_ci_u32_e32 v28, vcc_lo, s15, v10, vcc_lo
	s_delay_alu instid0(VALU_DEP_1)
	v_cmp_gt_u64_e32 vcc_lo, s[12:13], v[27:28]
	s_and_saveexec_b32 s6, vcc_lo
	s_cbranch_execnz .LBB94_15
; %bb.11:                               ;   in Loop: Header=BB94_4 Depth=1
	s_or_b32 exec_lo, exec_lo, s6
	s_and_saveexec_b32 s18, s4
	s_cbranch_execnz .LBB94_16
.LBB94_12:                              ;   in Loop: Header=BB94_4 Depth=1
	s_or_b32 exec_lo, exec_lo, s18
	s_and_saveexec_b32 s8, s3
	s_cbranch_execnz .LBB94_17
.LBB94_13:                              ;   in Loop: Header=BB94_4 Depth=1
	s_or_b32 exec_lo, exec_lo, s8
	s_and_saveexec_b32 s7, s2
	s_cbranch_execnz .LBB94_18
.LBB94_14:                              ;   in Loop: Header=BB94_4 Depth=1
	s_or_b32 exec_lo, exec_lo, s7
	s_and_saveexec_b32 s6, vcc_lo
	s_cbranch_execz .LBB94_3
	s_branch .LBB94_19
.LBB94_15:                              ;   in Loop: Header=BB94_4 Depth=1
	v_add_co_u32 v27, s5, v5, s10
	s_delay_alu instid0(VALU_DEP_1)
	v_add_co_ci_u32_e64 v28, s5, s11, v6, s5
	global_load_u16 v23, v[27:28], off
	s_or_b32 exec_lo, exec_lo, s6
	s_and_saveexec_b32 s18, s4
	s_cbranch_execz .LBB94_12
.LBB94_16:                              ;   in Loop: Header=BB94_4 Depth=1
	s_waitcnt vmcnt(0)
	v_cmp_eq_f16_e64 s4, 1.0, v26
	v_cvt_f32_f16_e32 v26, v26
	s_delay_alu instid0(VALU_DEP_2) | instskip(NEXT) | instid1(VALU_DEP_1)
	v_cndmask_b32_e64 v28, s28, 1.0, s4
	v_cmp_eq_f32_e64 s5, 0, v28
	v_cmp_gt_f32_e64 s7, 0, v28
	s_delay_alu instid0(VALU_DEP_2) | instskip(SKIP_1) | instid1(VALU_DEP_2)
	v_cndmask_b32_e64 v30, |v26|, 1.0, s5
	v_cndmask_b32_e64 v29, v26, 1.0, s5
	v_cvt_f64_f32_e32 v[26:27], v30
	s_delay_alu instid0(VALU_DEP_2) | instskip(NEXT) | instid1(VALU_DEP_2)
	v_cmp_eq_f32_e64 s8, 0, v29
	v_frexp_exp_i32_f64_e32 v26, v[26:27]
	v_frexp_mant_f32_e32 v27, v30
	s_delay_alu instid0(VALU_DEP_1) | instskip(NEXT) | instid1(VALU_DEP_1)
	v_cmp_gt_f32_e64 s5, 0x3f2aaaab, v27
	v_cndmask_b32_e64 v31, 1.0, 2.0, s5
	s_delay_alu instid0(VALU_DEP_1) | instskip(NEXT) | instid1(VALU_DEP_1)
	v_mul_f32_e32 v27, v27, v31
	v_add_f32_e32 v31, 1.0, v27
	v_add_f32_e32 v33, -1.0, v27
	s_delay_alu instid0(VALU_DEP_2) | instskip(SKIP_3) | instid1(VALU_DEP_2)
	v_rcp_f32_e32 v32, v31
	s_waitcnt_depctr 0xfff
	v_dual_mul_f32 v34, v33, v32 :: v_dual_add_f32 v35, -1.0, v31
	v_subrev_co_ci_u32_e64 v26, s6, 0, v26, s5
	v_mul_f32_e32 v36, v31, v34
	s_delay_alu instid0(VALU_DEP_3) | instskip(NEXT) | instid1(VALU_DEP_3)
	v_sub_f32_e32 v27, v27, v35
	v_cvt_f32_i32_e32 v26, v26
	s_delay_alu instid0(VALU_DEP_3) | instskip(NEXT) | instid1(VALU_DEP_1)
	v_fma_f32 v31, v34, v31, -v36
	v_fmac_f32_e32 v31, v34, v27
	s_delay_alu instid0(VALU_DEP_1) | instskip(NEXT) | instid1(VALU_DEP_1)
	v_add_f32_e32 v27, v36, v31
	v_dual_sub_f32 v35, v33, v27 :: v_dual_sub_f32 v36, v27, v36
	s_delay_alu instid0(VALU_DEP_1) | instskip(NEXT) | instid1(VALU_DEP_2)
	v_sub_f32_e32 v33, v33, v35
	v_sub_f32_e32 v31, v36, v31
	s_delay_alu instid0(VALU_DEP_2) | instskip(NEXT) | instid1(VALU_DEP_1)
	v_sub_f32_e32 v27, v33, v27
	v_add_f32_e32 v27, v31, v27
	s_delay_alu instid0(VALU_DEP_1) | instskip(NEXT) | instid1(VALU_DEP_1)
	v_add_f32_e32 v27, v35, v27
	v_mul_f32_e32 v27, v32, v27
	s_delay_alu instid0(VALU_DEP_1) | instskip(NEXT) | instid1(VALU_DEP_1)
	v_add_f32_e32 v31, v34, v27
	v_sub_f32_e32 v32, v31, v34
	v_mul_f32_e32 v33, v31, v31
	s_delay_alu instid0(VALU_DEP_2) | instskip(NEXT) | instid1(VALU_DEP_2)
	v_sub_f32_e32 v27, v27, v32
	v_fma_f32 v32, v31, v31, -v33
	s_delay_alu instid0(VALU_DEP_2) | instskip(NEXT) | instid1(VALU_DEP_1)
	v_add_f32_e32 v34, v27, v27
	v_fmac_f32_e32 v32, v31, v34
	s_delay_alu instid0(VALU_DEP_1) | instskip(NEXT) | instid1(VALU_DEP_1)
	v_add_f32_e32 v34, v33, v32
	v_mul_f32_e32 v38, v31, v34
	v_fmaak_f32 v35, s17, v34, 0x3e91f4c4
	v_sub_f32_e32 v33, v34, v33
	s_delay_alu instid0(VALU_DEP_3) | instskip(NEXT) | instid1(VALU_DEP_2)
	v_fma_f32 v39, v34, v31, -v38
	v_dual_fmaak_f32 v35, v34, v35, 0x3ecccdef :: v_dual_sub_f32 v32, v32, v33
	s_delay_alu instid0(VALU_DEP_1) | instskip(NEXT) | instid1(VALU_DEP_3)
	v_mul_f32_e32 v36, v34, v35
	v_fmac_f32_e32 v39, v34, v27
	v_ldexp_f32 v27, v27, 1
	s_delay_alu instid0(VALU_DEP_3) | instskip(NEXT) | instid1(VALU_DEP_3)
	v_fma_f32 v33, v34, v35, -v36
	v_fmac_f32_e32 v39, v32, v31
	v_ldexp_f32 v31, v31, 1
	s_delay_alu instid0(VALU_DEP_3) | instskip(NEXT) | instid1(VALU_DEP_1)
	v_fmac_f32_e32 v33, v32, v35
	v_dual_add_f32 v34, v38, v39 :: v_dual_add_f32 v35, v36, v33
	s_delay_alu instid0(VALU_DEP_1) | instskip(NEXT) | instid1(VALU_DEP_1)
	v_dual_sub_f32 v36, v35, v36 :: v_dual_add_f32 v37, 0x3f2aaaaa, v35
	v_dual_sub_f32 v33, v33, v36 :: v_dual_add_f32 v36, 0xbf2aaaaa, v37
	s_delay_alu instid0(VALU_DEP_1) | instskip(NEXT) | instid1(VALU_DEP_2)
	v_add_f32_e32 v33, 0x31739010, v33
	v_sub_f32_e32 v35, v35, v36
	s_delay_alu instid0(VALU_DEP_1) | instskip(NEXT) | instid1(VALU_DEP_1)
	v_add_f32_e32 v33, v33, v35
	v_add_f32_e32 v32, v37, v33
	s_delay_alu instid0(VALU_DEP_1) | instskip(SKIP_2) | instid1(VALU_DEP_3)
	v_sub_f32_e32 v35, v37, v32
	v_mul_f32_e32 v36, v34, v32
	v_sub_f32_e32 v37, v34, v38
	v_add_f32_e32 v33, v33, v35
	s_delay_alu instid0(VALU_DEP_3) | instskip(NEXT) | instid1(VALU_DEP_3)
	v_fma_f32 v35, v34, v32, -v36
	v_sub_f32_e32 v37, v39, v37
	s_delay_alu instid0(VALU_DEP_2) | instskip(NEXT) | instid1(VALU_DEP_1)
	v_fmac_f32_e32 v35, v34, v33
	v_fmac_f32_e32 v35, v37, v32
	s_delay_alu instid0(VALU_DEP_1) | instskip(NEXT) | instid1(VALU_DEP_1)
	v_add_f32_e32 v32, v36, v35
	v_sub_f32_e32 v33, v32, v36
	v_add_f32_e32 v34, v31, v32
	s_delay_alu instid0(VALU_DEP_2) | instskip(NEXT) | instid1(VALU_DEP_2)
	v_dual_mul_f32 v36, 0x3f317218, v26 :: v_dual_sub_f32 v33, v35, v33
	v_sub_f32_e32 v31, v34, v31
	s_delay_alu instid0(VALU_DEP_2) | instskip(NEXT) | instid1(VALU_DEP_3)
	v_fma_f32 v35, 0x3f317218, v26, -v36
	v_add_f32_e32 v27, v27, v33
	s_delay_alu instid0(VALU_DEP_3) | instskip(NEXT) | instid1(VALU_DEP_1)
	v_sub_f32_e32 v31, v32, v31
	v_dual_fmac_f32 v35, 0xb102e308, v26 :: v_dual_add_f32 v26, v27, v31
	s_delay_alu instid0(VALU_DEP_1) | instskip(NEXT) | instid1(VALU_DEP_1)
	v_add_f32_e32 v27, v36, v35
	v_dual_add_f32 v31, v34, v26 :: v_dual_sub_f32 v36, v27, v36
	s_delay_alu instid0(VALU_DEP_1) | instskip(SKIP_1) | instid1(VALU_DEP_3)
	v_add_f32_e32 v32, v27, v31
	v_sub_f32_e32 v34, v31, v34
	v_sub_f32_e32 v35, v35, v36
	s_delay_alu instid0(VALU_DEP_2) | instskip(NEXT) | instid1(VALU_DEP_1)
	v_dual_sub_f32 v33, v32, v27 :: v_dual_sub_f32 v26, v26, v34
	v_sub_f32_e32 v37, v32, v33
	v_sub_f32_e32 v31, v31, v33
	s_delay_alu instid0(VALU_DEP_3) | instskip(NEXT) | instid1(VALU_DEP_3)
	v_add_f32_e32 v33, v35, v26
	v_sub_f32_e32 v27, v27, v37
	s_delay_alu instid0(VALU_DEP_1) | instskip(NEXT) | instid1(VALU_DEP_3)
	v_add_f32_e32 v27, v31, v27
	v_sub_f32_e32 v31, v33, v35
	s_delay_alu instid0(VALU_DEP_2) | instskip(NEXT) | instid1(VALU_DEP_2)
	v_add_f32_e32 v27, v33, v27
	v_sub_f32_e32 v33, v33, v31
	v_sub_f32_e32 v26, v26, v31
	s_delay_alu instid0(VALU_DEP_2) | instskip(NEXT) | instid1(VALU_DEP_1)
	v_dual_add_f32 v34, v32, v27 :: v_dual_sub_f32 v31, v35, v33
	v_sub_f32_e32 v32, v34, v32
	s_delay_alu instid0(VALU_DEP_1) | instskip(NEXT) | instid1(VALU_DEP_1)
	v_dual_add_f32 v26, v26, v31 :: v_dual_sub_f32 v27, v27, v32
	v_add_f32_e32 v26, v26, v27
	s_delay_alu instid0(VALU_DEP_1) | instskip(NEXT) | instid1(VALU_DEP_1)
	v_add_f32_e32 v27, v34, v26
	v_dual_sub_f32 v31, v27, v34 :: v_dual_mul_f32 v32, v28, v27
	s_delay_alu instid0(VALU_DEP_1) | instskip(NEXT) | instid1(VALU_DEP_2)
	v_sub_f32_e32 v26, v26, v31
	v_fma_f32 v27, v28, v27, -v32
	v_cmp_class_f32_e64 s5, v32, 0x204
	s_delay_alu instid0(VALU_DEP_2) | instskip(NEXT) | instid1(VALU_DEP_1)
	v_fmac_f32_e32 v27, v28, v26
	v_add_f32_e32 v26, v32, v27
	s_delay_alu instid0(VALU_DEP_1) | instskip(SKIP_1) | instid1(VALU_DEP_2)
	v_cndmask_b32_e64 v31, v26, v32, s5
	v_sub_f32_e32 v26, v26, v32
	v_cmp_eq_f32_e64 s5, 0x42b17218, v31
	s_delay_alu instid0(VALU_DEP_2) | instskip(SKIP_1) | instid1(VALU_DEP_3)
	v_sub_f32_e32 v26, v27, v26
	v_trunc_f32_e32 v27, v28
	v_cndmask_b32_e64 v33, 0, 0x37000000, s5
	v_cmp_neq_f32_e64 s5, 0x7f800000, |v31|
	s_delay_alu instid0(VALU_DEP_2) | instskip(NEXT) | instid1(VALU_DEP_2)
	v_sub_f32_e32 v34, v31, v33
	v_cndmask_b32_e64 v26, 0, v26, s5
	s_delay_alu instid0(VALU_DEP_2) | instskip(NEXT) | instid1(VALU_DEP_2)
	v_mul_f32_e32 v35, 0x3fb8aa3b, v34
	v_add_f32_e32 v26, v33, v26
	v_cmp_ngt_f32_e64 s5, 0xc2ce8ed0, v34
	v_cmp_nlt_f32_e64 s6, 0x42b17218, v34
	s_delay_alu instid0(VALU_DEP_4) | instskip(SKIP_1) | instid1(VALU_DEP_1)
	v_fma_f32 v36, 0x3fb8aa3b, v34, -v35
	v_rndne_f32_e32 v37, v35
	v_dual_fmac_f32 v36, 0x32a5705f, v34 :: v_dual_sub_f32 v35, v35, v37
	v_cvt_i32_f32_e32 v32, v37
	s_delay_alu instid0(VALU_DEP_2) | instskip(NEXT) | instid1(VALU_DEP_1)
	v_add_f32_e32 v35, v35, v36
	v_exp_f32_e32 v35, v35
	s_waitcnt_depctr 0xfff
	v_ldexp_f32 v32, v35, v32
	v_mul_f32_e32 v35, 0.5, v28
	s_delay_alu instid0(VALU_DEP_2) | instskip(NEXT) | instid1(VALU_DEP_2)
	v_cndmask_b32_e64 v31, 0, v32, s5
	v_trunc_f32_e32 v32, v35
	v_cmp_eq_f32_e64 s5, v27, v28
	s_delay_alu instid0(VALU_DEP_3) | instskip(NEXT) | instid1(VALU_DEP_3)
	v_cndmask_b32_e64 v27, 0x7f800000, v31, s6
	v_cmp_neq_f32_e64 s6, v32, v35
	v_cndmask_b32_e64 v31, |s28|, 1.0, s4
	s_delay_alu instid0(VALU_DEP_3) | instskip(NEXT) | instid1(VALU_DEP_3)
	v_fma_f32 v26, v27, v26, v27
	s_and_b32 s4, s5, s6
	v_cmp_gt_f32_e64 s6, 1.0, v30
	v_cndmask_b32_e64 v32, 0, v29, s4
	v_cndmask_b32_e64 v33, 1.0, v29, s4
	v_cmp_class_f32_e64 s4, v27, 0x204
	s_delay_alu instid0(VALU_DEP_1) | instskip(SKIP_1) | instid1(VALU_DEP_2)
	v_cndmask_b32_e64 v26, v26, v27, s4
	v_cmp_neq_f32_e64 s4, v28, v31
	v_bfi_b32 v26, 0x7fffffff, v26, v33
	s_delay_alu instid0(VALU_DEP_2) | instskip(NEXT) | instid1(SALU_CYCLE_1)
	s_xor_b32 s4, s4, s6
	v_cndmask_b32_e64 v27, v31, 0, s4
	s_xor_b32 s4, s7, s8
	s_delay_alu instid0(VALU_DEP_2) | instskip(SKIP_3) | instid1(VALU_DEP_2)
	v_cndmask_b32_e64 v33, 0x7fc00000, v26, s5
	v_cndmask_b32_e64 v34, 0x7f800000, 0, s4
	v_cmp_eq_f32_e64 s4, 1.0, v30
	v_cmp_eq_f32_e64 s5, 0x7f800000, v31
	v_cndmask_b32_e64 v27, v27, v30, s4
	v_cmp_gt_f32_e64 s4, 0, v29
	s_delay_alu instid0(VALU_DEP_1) | instskip(SKIP_2) | instid1(VALU_DEP_3)
	v_cndmask_b32_e64 v26, v26, v33, s4
	v_cmp_eq_f32_e64 s4, 0x7f800000, v30
	v_bfi_b32 v30, 0x7fffffff, v34, v32
	v_cndmask_b32_e64 v26, v26, v27, s5
	s_delay_alu instid0(VALU_DEP_3)
	s_or_b32 s4, s4, s8
	s_delay_alu instid0(VALU_DEP_1) | instid1(SALU_CYCLE_1)
	v_cndmask_b32_e64 v26, v26, v30, s4
	v_cmp_o_f32_e64 s4, v29, v28
	s_delay_alu instid0(VALU_DEP_1) | instskip(SKIP_1) | instid1(VALU_DEP_1)
	v_cndmask_b32_e64 v28, 0x7fc00000, v26, s4
	v_add_co_u32 v26, s4, v3, s10
	v_add_co_ci_u32_e64 v27, s4, s11, v4, s4
	s_delay_alu instid0(VALU_DEP_3)
	v_cvt_f16_f32_e32 v28, v28
	global_store_b16 v[26:27], v28, off
	s_or_b32 exec_lo, exec_lo, s18
	s_and_saveexec_b32 s8, s3
	s_cbranch_execz .LBB94_13
.LBB94_17:                              ;   in Loop: Header=BB94_4 Depth=1
	s_waitcnt vmcnt(0)
	v_cmp_eq_f16_e64 s4, 1.0, v25
	v_cvt_f32_f16_e32 v28, v25
	s_delay_alu instid0(VALU_DEP_2) | instskip(NEXT) | instid1(VALU_DEP_1)
	v_cndmask_b32_e64 v27, s28, 1.0, s4
	v_cmp_eq_f32_e64 s3, 0, v27
	s_delay_alu instid0(VALU_DEP_1) | instskip(NEXT) | instid1(VALU_DEP_1)
	v_cndmask_b32_e64 v29, |v28|, 1.0, s3
	v_frexp_mant_f32_e32 v25, v29
	v_cmp_gt_f32_e64 s6, 1.0, v29
	s_delay_alu instid0(VALU_DEP_2) | instskip(NEXT) | instid1(VALU_DEP_1)
	v_cmp_gt_f32_e64 s5, 0x3f2aaaab, v25
	v_cndmask_b32_e64 v26, 1.0, 2.0, s5
	s_delay_alu instid0(VALU_DEP_1) | instskip(NEXT) | instid1(VALU_DEP_1)
	v_mul_f32_e32 v25, v25, v26
	v_add_f32_e32 v26, 1.0, v25
	v_add_f32_e32 v31, -1.0, v25
	s_delay_alu instid0(VALU_DEP_2) | instskip(SKIP_3) | instid1(VALU_DEP_1)
	v_rcp_f32_e32 v30, v26
	v_add_f32_e32 v33, -1.0, v26
	s_waitcnt_depctr 0xfff
	v_mul_f32_e32 v32, v31, v30
	v_dual_mul_f32 v34, v26, v32 :: v_dual_sub_f32 v25, v25, v33
	s_delay_alu instid0(VALU_DEP_1) | instskip(NEXT) | instid1(VALU_DEP_1)
	v_fma_f32 v26, v32, v26, -v34
	v_fmac_f32_e32 v26, v32, v25
	s_delay_alu instid0(VALU_DEP_1) | instskip(NEXT) | instid1(VALU_DEP_1)
	v_add_f32_e32 v25, v34, v26
	v_dual_sub_f32 v34, v25, v34 :: v_dual_sub_f32 v33, v31, v25
	s_delay_alu instid0(VALU_DEP_1) | instskip(NEXT) | instid1(VALU_DEP_1)
	v_dual_sub_f32 v26, v34, v26 :: v_dual_sub_f32 v31, v31, v33
	v_sub_f32_e32 v25, v31, v25
	s_delay_alu instid0(VALU_DEP_1) | instskip(NEXT) | instid1(VALU_DEP_1)
	v_add_f32_e32 v25, v26, v25
	v_add_f32_e32 v25, v33, v25
	s_delay_alu instid0(VALU_DEP_1) | instskip(NEXT) | instid1(VALU_DEP_1)
	v_mul_f32_e32 v25, v30, v25
	v_add_f32_e32 v30, v32, v25
	s_delay_alu instid0(VALU_DEP_1) | instskip(SKIP_1) | instid1(VALU_DEP_1)
	v_sub_f32_e32 v26, v30, v32
	v_mul_f32_e32 v31, v30, v30
	v_fma_f32 v33, v30, v30, -v31
	s_delay_alu instid0(VALU_DEP_3) | instskip(NEXT) | instid1(VALU_DEP_1)
	v_sub_f32_e32 v32, v25, v26
	v_add_f32_e32 v25, v32, v32
	s_delay_alu instid0(VALU_DEP_1) | instskip(SKIP_1) | instid1(VALU_DEP_2)
	v_fmac_f32_e32 v33, v30, v25
	v_cvt_f64_f32_e32 v[25:26], v29
	v_add_f32_e32 v34, v31, v33
	s_delay_alu instid0(VALU_DEP_1) | instskip(SKIP_1) | instid1(VALU_DEP_1)
	v_fmaak_f32 v35, s17, v34, 0x3e91f4c4
	v_sub_f32_e32 v31, v34, v31
	v_dual_mul_f32 v38, v30, v34 :: v_dual_sub_f32 v31, v33, v31
	s_delay_alu instid0(VALU_DEP_3) | instskip(NEXT) | instid1(VALU_DEP_1)
	v_fmaak_f32 v35, v34, v35, 0x3ecccdef
	v_mul_f32_e32 v36, v34, v35
	s_delay_alu instid0(VALU_DEP_1) | instskip(NEXT) | instid1(VALU_DEP_1)
	v_fma_f32 v33, v34, v35, -v36
	v_fmac_f32_e32 v33, v31, v35
	s_delay_alu instid0(VALU_DEP_1) | instskip(SKIP_1) | instid1(VALU_DEP_2)
	v_add_f32_e32 v35, v36, v33
	v_frexp_exp_i32_f64_e32 v25, v[25:26]
	v_sub_f32_e32 v36, v35, v36
	s_delay_alu instid0(VALU_DEP_1) | instskip(SKIP_1) | instid1(VALU_DEP_2)
	v_sub_f32_e32 v26, v33, v36
	v_fma_f32 v36, v34, v30, -v38
	v_add_f32_e32 v26, 0x31739010, v26
	s_delay_alu instid0(VALU_DEP_2) | instskip(SKIP_1) | instid1(VALU_DEP_2)
	v_dual_add_f32 v37, 0x3f2aaaaa, v35 :: v_dual_fmac_f32 v36, v34, v32
	v_ldexp_f32 v32, v32, 1
	v_dual_add_f32 v33, 0xbf2aaaaa, v37 :: v_dual_fmac_f32 v36, v31, v30
	s_delay_alu instid0(VALU_DEP_1) | instskip(NEXT) | instid1(VALU_DEP_1)
	v_sub_f32_e32 v33, v35, v33
	v_add_f32_e32 v26, v26, v33
	s_delay_alu instid0(VALU_DEP_3) | instskip(NEXT) | instid1(VALU_DEP_2)
	v_add_f32_e32 v33, v38, v36
	v_add_f32_e32 v31, v37, v26
	v_subrev_co_ci_u32_e64 v25, s5, 0, v25, s5
	s_delay_alu instid0(VALU_DEP_2) | instskip(NEXT) | instid1(VALU_DEP_4)
	v_sub_f32_e32 v34, v37, v31
	v_mul_f32_e32 v35, v33, v31
	s_delay_alu instid0(VALU_DEP_3) | instskip(SKIP_1) | instid1(VALU_DEP_4)
	v_cvt_f32_i32_e32 v25, v25
	v_sub_f32_e32 v37, v33, v38
	v_add_f32_e32 v26, v26, v34
	s_delay_alu instid0(VALU_DEP_4) | instskip(NEXT) | instid1(VALU_DEP_3)
	v_fma_f32 v34, v33, v31, -v35
	v_sub_f32_e32 v36, v36, v37
	s_delay_alu instid0(VALU_DEP_2) | instskip(SKIP_1) | instid1(VALU_DEP_2)
	v_fmac_f32_e32 v34, v33, v26
	v_ldexp_f32 v26, v30, 1
	v_fmac_f32_e32 v34, v36, v31
	s_delay_alu instid0(VALU_DEP_1) | instskip(NEXT) | instid1(VALU_DEP_1)
	v_add_f32_e32 v30, v35, v34
	v_add_f32_e32 v31, v26, v30
	s_delay_alu instid0(VALU_DEP_1) | instskip(NEXT) | instid1(VALU_DEP_1)
	v_dual_sub_f32 v26, v31, v26 :: v_dual_sub_f32 v33, v30, v35
	v_dual_mul_f32 v35, 0x3f317218, v25 :: v_dual_sub_f32 v26, v30, v26
	s_delay_alu instid0(VALU_DEP_2) | instskip(NEXT) | instid1(VALU_DEP_2)
	v_sub_f32_e32 v33, v34, v33
	v_fma_f32 v34, 0x3f317218, v25, -v35
	s_delay_alu instid0(VALU_DEP_2) | instskip(NEXT) | instid1(VALU_DEP_1)
	v_add_f32_e32 v30, v32, v33
	v_dual_fmac_f32 v34, 0xb102e308, v25 :: v_dual_add_f32 v25, v30, v26
	s_delay_alu instid0(VALU_DEP_1) | instskip(NEXT) | instid1(VALU_DEP_2)
	v_add_f32_e32 v26, v35, v34
	v_add_f32_e32 v30, v31, v25
	s_delay_alu instid0(VALU_DEP_1) | instskip(SKIP_1) | instid1(VALU_DEP_1)
	v_add_f32_e32 v32, v26, v30
	v_sub_f32_e32 v35, v26, v35
	v_dual_sub_f32 v33, v32, v26 :: v_dual_sub_f32 v34, v34, v35
	s_delay_alu instid0(VALU_DEP_1) | instskip(NEXT) | instid1(VALU_DEP_1)
	v_dual_sub_f32 v36, v32, v33 :: v_dual_sub_f32 v31, v30, v31
	v_dual_sub_f32 v30, v30, v33 :: v_dual_sub_f32 v25, v25, v31
	s_delay_alu instid0(VALU_DEP_2) | instskip(NEXT) | instid1(VALU_DEP_2)
	v_sub_f32_e32 v26, v26, v36
	v_add_f32_e32 v31, v34, v25
	s_delay_alu instid0(VALU_DEP_2) | instskip(NEXT) | instid1(VALU_DEP_2)
	v_add_f32_e32 v26, v30, v26
	v_sub_f32_e32 v30, v31, v34
	s_delay_alu instid0(VALU_DEP_2) | instskip(NEXT) | instid1(VALU_DEP_2)
	v_add_f32_e32 v26, v31, v26
	v_sub_f32_e32 v31, v31, v30
	s_delay_alu instid0(VALU_DEP_2) | instskip(NEXT) | instid1(VALU_DEP_2)
	v_add_f32_e32 v33, v32, v26
	v_dual_sub_f32 v25, v25, v30 :: v_dual_sub_f32 v30, v34, v31
	s_delay_alu instid0(VALU_DEP_2) | instskip(NEXT) | instid1(VALU_DEP_1)
	v_sub_f32_e32 v31, v33, v32
	v_dual_add_f32 v25, v25, v30 :: v_dual_sub_f32 v26, v26, v31
	s_delay_alu instid0(VALU_DEP_1) | instskip(NEXT) | instid1(VALU_DEP_1)
	v_add_f32_e32 v25, v25, v26
	v_add_f32_e32 v26, v33, v25
	s_delay_alu instid0(VALU_DEP_1) | instskip(NEXT) | instid1(VALU_DEP_1)
	v_dual_sub_f32 v30, v26, v33 :: v_dual_mul_f32 v31, v27, v26
	v_sub_f32_e32 v25, v25, v30
	s_delay_alu instid0(VALU_DEP_2) | instskip(SKIP_1) | instid1(VALU_DEP_2)
	v_fma_f32 v26, v27, v26, -v31
	v_cmp_class_f32_e64 s5, v31, 0x204
	v_fmac_f32_e32 v26, v27, v25
	s_delay_alu instid0(VALU_DEP_1) | instskip(NEXT) | instid1(VALU_DEP_1)
	v_add_f32_e32 v25, v31, v26
	v_cndmask_b32_e64 v30, v25, v31, s5
	s_delay_alu instid0(VALU_DEP_1) | instskip(NEXT) | instid1(VALU_DEP_1)
	v_cmp_eq_f32_e64 s5, 0x42b17218, v30
	v_cndmask_b32_e64 v32, 0, 0x37000000, s5
	v_cmp_neq_f32_e64 s5, 0x7f800000, |v30|
	s_delay_alu instid0(VALU_DEP_2) | instskip(NEXT) | instid1(VALU_DEP_1)
	v_sub_f32_e32 v33, v30, v32
	v_mul_f32_e32 v34, 0x3fb8aa3b, v33
	s_delay_alu instid0(VALU_DEP_1) | instskip(SKIP_1) | instid1(VALU_DEP_1)
	v_fma_f32 v35, 0x3fb8aa3b, v33, -v34
	v_rndne_f32_e32 v36, v34
	v_dual_fmac_f32 v35, 0x32a5705f, v33 :: v_dual_sub_f32 v34, v34, v36
	v_sub_f32_e32 v25, v25, v31
	v_cvt_i32_f32_e32 v31, v36
	s_delay_alu instid0(VALU_DEP_3) | instskip(NEXT) | instid1(VALU_DEP_3)
	v_add_f32_e32 v34, v34, v35
	v_sub_f32_e32 v25, v26, v25
	v_trunc_f32_e32 v26, v27
	s_delay_alu instid0(VALU_DEP_3) | instskip(NEXT) | instid1(VALU_DEP_2)
	v_exp_f32_e32 v34, v34
	v_cndmask_b32_e64 v25, 0, v25, s5
	v_cmp_ngt_f32_e64 s5, 0xc2ce8ed0, v33
	s_delay_alu instid0(VALU_DEP_2) | instskip(SKIP_3) | instid1(VALU_DEP_2)
	v_add_f32_e32 v25, v32, v25
	s_waitcnt_depctr 0xfff
	v_ldexp_f32 v31, v34, v31
	v_mul_f32_e32 v34, 0.5, v27
	v_cndmask_b32_e64 v30, 0, v31, s5
	v_cndmask_b32_e64 v31, |s28|, 1.0, s4
	v_cmp_nlt_f32_e64 s4, 0x42b17218, v33
	s_delay_alu instid0(VALU_DEP_4) | instskip(NEXT) | instid1(VALU_DEP_2)
	v_trunc_f32_e32 v35, v34
	v_cndmask_b32_e64 v30, 0x7f800000, v30, s4
	v_cmp_eq_f32_e64 s4, v26, v27
	s_delay_alu instid0(VALU_DEP_3)
	v_cmp_neq_f32_e64 s5, v35, v34
	v_cndmask_b32_e64 v26, v28, 1.0, s3
	v_cmp_neq_f32_e64 s3, v27, v31
	v_fma_f32 v25, v30, v25, v30
	v_cmp_class_f32_e64 s7, v30, 0x204
	s_and_b32 s5, s4, s5
	s_delay_alu instid0(SALU_CYCLE_1) | instskip(SKIP_1) | instid1(VALU_DEP_2)
	v_cndmask_b32_e64 v28, 1.0, v26, s5
	s_xor_b32 s3, s3, s6
	v_cndmask_b32_e64 v25, v25, v30, s7
	v_cmp_gt_f32_e64 s7, 0, v27
	v_cndmask_b32_e64 v30, v31, 0, s3
	v_cmp_eq_f32_e64 s3, 0, v26
	v_cmp_eq_f32_e64 s6, 1.0, v29
	v_bfi_b32 v25, 0x7fffffff, v25, v28
	v_cndmask_b32_e64 v33, 0, v26, s5
	v_cmp_eq_f32_e64 s5, 0x7f800000, v31
	s_delay_alu instid0(VALU_DEP_4) | instskip(NEXT) | instid1(VALU_DEP_4)
	v_cndmask_b32_e64 v28, v30, v29, s6
	v_cndmask_b32_e64 v30, 0x7fc00000, v25, s4
	s_xor_b32 s4, s7, s3
	s_delay_alu instid0(SALU_CYCLE_1) | instskip(SKIP_1) | instid1(VALU_DEP_1)
	v_cndmask_b32_e64 v32, 0x7f800000, 0, s4
	v_cmp_gt_f32_e64 s4, 0, v26
	v_cndmask_b32_e64 v25, v25, v30, s4
	v_cmp_eq_f32_e64 s4, 0x7f800000, v29
	s_delay_alu instid0(VALU_DEP_4) | instskip(NEXT) | instid1(VALU_DEP_3)
	v_bfi_b32 v29, 0x7fffffff, v32, v33
	v_cndmask_b32_e64 v25, v25, v28, s5
	s_delay_alu instid0(VALU_DEP_3)
	s_or_b32 s3, s4, s3
	s_delay_alu instid0(VALU_DEP_1) | instid1(SALU_CYCLE_1)
	v_cndmask_b32_e64 v25, v25, v29, s3
	v_cmp_o_f32_e64 s3, v26, v27
	s_delay_alu instid0(VALU_DEP_1) | instskip(NEXT) | instid1(VALU_DEP_1)
	v_cndmask_b32_e64 v25, 0x7fc00000, v25, s3
	v_cvt_f16_f32_e32 v27, v25
	v_add_co_u32 v25, s3, v21, s10
	s_delay_alu instid0(VALU_DEP_1)
	v_add_co_ci_u32_e64 v26, s3, s11, v22, s3
	global_store_b16 v[25:26], v27, off
	s_or_b32 exec_lo, exec_lo, s8
	s_and_saveexec_b32 s7, s2
	s_cbranch_execz .LBB94_14
.LBB94_18:                              ;   in Loop: Header=BB94_4 Depth=1
	s_waitcnt vmcnt(0)
	v_cmp_eq_f16_e64 s3, 1.0, v24
	v_cvt_f32_f16_e32 v27, v24
	s_delay_alu instid0(VALU_DEP_2) | instskip(NEXT) | instid1(VALU_DEP_1)
	v_cndmask_b32_e64 v26, s28, 1.0, s3
	v_cmp_eq_f32_e64 s2, 0, v26
	s_delay_alu instid0(VALU_DEP_1) | instskip(NEXT) | instid1(VALU_DEP_1)
	v_cndmask_b32_e64 v28, |v27|, 1.0, s2
	v_frexp_mant_f32_e32 v24, v28
	v_cmp_gt_f32_e64 s5, 1.0, v28
	s_delay_alu instid0(VALU_DEP_2) | instskip(NEXT) | instid1(VALU_DEP_1)
	v_cmp_gt_f32_e64 s4, 0x3f2aaaab, v24
	v_cndmask_b32_e64 v25, 1.0, 2.0, s4
	s_delay_alu instid0(VALU_DEP_1) | instskip(NEXT) | instid1(VALU_DEP_1)
	v_mul_f32_e32 v24, v24, v25
	v_add_f32_e32 v25, 1.0, v24
	v_add_f32_e32 v30, -1.0, v24
	s_delay_alu instid0(VALU_DEP_2) | instskip(SKIP_3) | instid1(VALU_DEP_1)
	v_rcp_f32_e32 v29, v25
	v_add_f32_e32 v32, -1.0, v25
	s_waitcnt_depctr 0xfff
	v_mul_f32_e32 v31, v30, v29
	v_dual_mul_f32 v33, v25, v31 :: v_dual_sub_f32 v24, v24, v32
	s_delay_alu instid0(VALU_DEP_1) | instskip(NEXT) | instid1(VALU_DEP_1)
	v_fma_f32 v25, v31, v25, -v33
	v_fmac_f32_e32 v25, v31, v24
	s_delay_alu instid0(VALU_DEP_1) | instskip(NEXT) | instid1(VALU_DEP_1)
	v_add_f32_e32 v24, v33, v25
	v_dual_sub_f32 v33, v24, v33 :: v_dual_sub_f32 v32, v30, v24
	s_delay_alu instid0(VALU_DEP_1) | instskip(NEXT) | instid1(VALU_DEP_1)
	v_dual_sub_f32 v25, v33, v25 :: v_dual_sub_f32 v30, v30, v32
	v_sub_f32_e32 v24, v30, v24
	s_delay_alu instid0(VALU_DEP_1) | instskip(NEXT) | instid1(VALU_DEP_1)
	v_add_f32_e32 v24, v25, v24
	v_add_f32_e32 v24, v32, v24
	s_delay_alu instid0(VALU_DEP_1) | instskip(NEXT) | instid1(VALU_DEP_1)
	v_mul_f32_e32 v24, v29, v24
	v_add_f32_e32 v29, v31, v24
	s_delay_alu instid0(VALU_DEP_1) | instskip(SKIP_1) | instid1(VALU_DEP_1)
	v_sub_f32_e32 v25, v29, v31
	v_mul_f32_e32 v30, v29, v29
	v_fma_f32 v32, v29, v29, -v30
	s_delay_alu instid0(VALU_DEP_3) | instskip(NEXT) | instid1(VALU_DEP_1)
	v_sub_f32_e32 v31, v24, v25
	v_add_f32_e32 v24, v31, v31
	s_delay_alu instid0(VALU_DEP_1) | instskip(SKIP_1) | instid1(VALU_DEP_2)
	v_fmac_f32_e32 v32, v29, v24
	v_cvt_f64_f32_e32 v[24:25], v28
	v_add_f32_e32 v33, v30, v32
	s_delay_alu instid0(VALU_DEP_1) | instskip(SKIP_1) | instid1(VALU_DEP_1)
	v_fmaak_f32 v34, s17, v33, 0x3e91f4c4
	v_sub_f32_e32 v30, v33, v30
	v_dual_mul_f32 v37, v29, v33 :: v_dual_sub_f32 v30, v32, v30
	s_delay_alu instid0(VALU_DEP_3) | instskip(NEXT) | instid1(VALU_DEP_1)
	v_fmaak_f32 v34, v33, v34, 0x3ecccdef
	v_mul_f32_e32 v35, v33, v34
	s_delay_alu instid0(VALU_DEP_1) | instskip(NEXT) | instid1(VALU_DEP_1)
	v_fma_f32 v32, v33, v34, -v35
	v_fmac_f32_e32 v32, v30, v34
	s_delay_alu instid0(VALU_DEP_1) | instskip(SKIP_1) | instid1(VALU_DEP_2)
	v_add_f32_e32 v34, v35, v32
	v_frexp_exp_i32_f64_e32 v24, v[24:25]
	v_sub_f32_e32 v35, v34, v35
	s_delay_alu instid0(VALU_DEP_1) | instskip(SKIP_1) | instid1(VALU_DEP_2)
	v_sub_f32_e32 v25, v32, v35
	v_fma_f32 v35, v33, v29, -v37
	v_add_f32_e32 v25, 0x31739010, v25
	s_delay_alu instid0(VALU_DEP_2) | instskip(SKIP_1) | instid1(VALU_DEP_2)
	v_dual_add_f32 v36, 0x3f2aaaaa, v34 :: v_dual_fmac_f32 v35, v33, v31
	v_ldexp_f32 v31, v31, 1
	v_dual_add_f32 v32, 0xbf2aaaaa, v36 :: v_dual_fmac_f32 v35, v30, v29
	s_delay_alu instid0(VALU_DEP_1) | instskip(NEXT) | instid1(VALU_DEP_1)
	v_sub_f32_e32 v32, v34, v32
	v_add_f32_e32 v25, v25, v32
	s_delay_alu instid0(VALU_DEP_3) | instskip(NEXT) | instid1(VALU_DEP_2)
	v_add_f32_e32 v32, v37, v35
	v_add_f32_e32 v30, v36, v25
	v_subrev_co_ci_u32_e64 v24, s4, 0, v24, s4
	s_delay_alu instid0(VALU_DEP_2) | instskip(NEXT) | instid1(VALU_DEP_4)
	v_sub_f32_e32 v33, v36, v30
	v_mul_f32_e32 v34, v32, v30
	s_delay_alu instid0(VALU_DEP_3) | instskip(SKIP_1) | instid1(VALU_DEP_4)
	v_cvt_f32_i32_e32 v24, v24
	v_sub_f32_e32 v36, v32, v37
	v_add_f32_e32 v25, v25, v33
	s_delay_alu instid0(VALU_DEP_4) | instskip(NEXT) | instid1(VALU_DEP_3)
	v_fma_f32 v33, v32, v30, -v34
	v_sub_f32_e32 v35, v35, v36
	s_delay_alu instid0(VALU_DEP_2) | instskip(SKIP_1) | instid1(VALU_DEP_2)
	v_fmac_f32_e32 v33, v32, v25
	v_ldexp_f32 v25, v29, 1
	v_fmac_f32_e32 v33, v35, v30
	s_delay_alu instid0(VALU_DEP_1) | instskip(NEXT) | instid1(VALU_DEP_1)
	v_add_f32_e32 v29, v34, v33
	v_add_f32_e32 v30, v25, v29
	s_delay_alu instid0(VALU_DEP_1) | instskip(NEXT) | instid1(VALU_DEP_1)
	v_dual_sub_f32 v25, v30, v25 :: v_dual_sub_f32 v32, v29, v34
	v_dual_mul_f32 v34, 0x3f317218, v24 :: v_dual_sub_f32 v25, v29, v25
	s_delay_alu instid0(VALU_DEP_2) | instskip(NEXT) | instid1(VALU_DEP_2)
	v_sub_f32_e32 v32, v33, v32
	v_fma_f32 v33, 0x3f317218, v24, -v34
	s_delay_alu instid0(VALU_DEP_2) | instskip(NEXT) | instid1(VALU_DEP_1)
	v_add_f32_e32 v29, v31, v32
	v_dual_fmac_f32 v33, 0xb102e308, v24 :: v_dual_add_f32 v24, v29, v25
	s_delay_alu instid0(VALU_DEP_1) | instskip(NEXT) | instid1(VALU_DEP_2)
	v_add_f32_e32 v25, v34, v33
	v_add_f32_e32 v29, v30, v24
	s_delay_alu instid0(VALU_DEP_1) | instskip(SKIP_1) | instid1(VALU_DEP_1)
	v_add_f32_e32 v31, v25, v29
	v_sub_f32_e32 v34, v25, v34
	v_dual_sub_f32 v32, v31, v25 :: v_dual_sub_f32 v33, v33, v34
	s_delay_alu instid0(VALU_DEP_1) | instskip(NEXT) | instid1(VALU_DEP_1)
	v_dual_sub_f32 v35, v31, v32 :: v_dual_sub_f32 v30, v29, v30
	v_dual_sub_f32 v29, v29, v32 :: v_dual_sub_f32 v24, v24, v30
	s_delay_alu instid0(VALU_DEP_2) | instskip(NEXT) | instid1(VALU_DEP_2)
	v_sub_f32_e32 v25, v25, v35
	v_add_f32_e32 v30, v33, v24
	s_delay_alu instid0(VALU_DEP_2) | instskip(NEXT) | instid1(VALU_DEP_2)
	v_add_f32_e32 v25, v29, v25
	v_sub_f32_e32 v29, v30, v33
	s_delay_alu instid0(VALU_DEP_2) | instskip(NEXT) | instid1(VALU_DEP_2)
	v_add_f32_e32 v25, v30, v25
	v_sub_f32_e32 v30, v30, v29
	s_delay_alu instid0(VALU_DEP_2) | instskip(NEXT) | instid1(VALU_DEP_2)
	v_add_f32_e32 v32, v31, v25
	v_dual_sub_f32 v24, v24, v29 :: v_dual_sub_f32 v29, v33, v30
	s_delay_alu instid0(VALU_DEP_2) | instskip(NEXT) | instid1(VALU_DEP_1)
	v_sub_f32_e32 v30, v32, v31
	v_dual_add_f32 v24, v24, v29 :: v_dual_sub_f32 v25, v25, v30
	s_delay_alu instid0(VALU_DEP_1) | instskip(NEXT) | instid1(VALU_DEP_1)
	v_add_f32_e32 v24, v24, v25
	v_add_f32_e32 v25, v32, v24
	s_delay_alu instid0(VALU_DEP_1) | instskip(NEXT) | instid1(VALU_DEP_1)
	v_dual_sub_f32 v29, v25, v32 :: v_dual_mul_f32 v30, v26, v25
	v_sub_f32_e32 v24, v24, v29
	s_delay_alu instid0(VALU_DEP_2) | instskip(SKIP_1) | instid1(VALU_DEP_2)
	v_fma_f32 v25, v26, v25, -v30
	v_cmp_class_f32_e64 s4, v30, 0x204
	v_fmac_f32_e32 v25, v26, v24
	s_delay_alu instid0(VALU_DEP_1) | instskip(NEXT) | instid1(VALU_DEP_1)
	v_add_f32_e32 v24, v30, v25
	v_cndmask_b32_e64 v29, v24, v30, s4
	s_delay_alu instid0(VALU_DEP_1) | instskip(NEXT) | instid1(VALU_DEP_1)
	v_cmp_eq_f32_e64 s4, 0x42b17218, v29
	v_cndmask_b32_e64 v31, 0, 0x37000000, s4
	v_cmp_neq_f32_e64 s4, 0x7f800000, |v29|
	s_delay_alu instid0(VALU_DEP_2) | instskip(NEXT) | instid1(VALU_DEP_1)
	v_sub_f32_e32 v32, v29, v31
	v_mul_f32_e32 v33, 0x3fb8aa3b, v32
	s_delay_alu instid0(VALU_DEP_1) | instskip(SKIP_1) | instid1(VALU_DEP_1)
	v_fma_f32 v34, 0x3fb8aa3b, v32, -v33
	v_rndne_f32_e32 v35, v33
	v_dual_fmac_f32 v34, 0x32a5705f, v32 :: v_dual_sub_f32 v33, v33, v35
	v_sub_f32_e32 v24, v24, v30
	v_cvt_i32_f32_e32 v30, v35
	s_delay_alu instid0(VALU_DEP_3) | instskip(NEXT) | instid1(VALU_DEP_3)
	v_add_f32_e32 v33, v33, v34
	v_sub_f32_e32 v24, v25, v24
	v_trunc_f32_e32 v25, v26
	s_delay_alu instid0(VALU_DEP_3) | instskip(NEXT) | instid1(VALU_DEP_2)
	v_exp_f32_e32 v33, v33
	v_cndmask_b32_e64 v24, 0, v24, s4
	v_cmp_ngt_f32_e64 s4, 0xc2ce8ed0, v32
	s_delay_alu instid0(VALU_DEP_2) | instskip(SKIP_3) | instid1(VALU_DEP_2)
	v_add_f32_e32 v24, v31, v24
	s_waitcnt_depctr 0xfff
	v_ldexp_f32 v30, v33, v30
	v_mul_f32_e32 v33, 0.5, v26
	v_cndmask_b32_e64 v29, 0, v30, s4
	v_cndmask_b32_e64 v30, |s28|, 1.0, s3
	v_cmp_nlt_f32_e64 s3, 0x42b17218, v32
	s_delay_alu instid0(VALU_DEP_4) | instskip(NEXT) | instid1(VALU_DEP_2)
	v_trunc_f32_e32 v34, v33
	v_cndmask_b32_e64 v29, 0x7f800000, v29, s3
	v_cmp_eq_f32_e64 s3, v25, v26
	s_delay_alu instid0(VALU_DEP_3)
	v_cmp_neq_f32_e64 s4, v34, v33
	v_cndmask_b32_e64 v25, v27, 1.0, s2
	v_cmp_neq_f32_e64 s2, v26, v30
	v_fma_f32 v24, v29, v24, v29
	v_cmp_class_f32_e64 s6, v29, 0x204
	s_and_b32 s4, s3, s4
	s_delay_alu instid0(SALU_CYCLE_1) | instskip(SKIP_1) | instid1(VALU_DEP_2)
	v_cndmask_b32_e64 v27, 1.0, v25, s4
	s_xor_b32 s2, s2, s5
	v_cndmask_b32_e64 v24, v24, v29, s6
	v_cmp_gt_f32_e64 s6, 0, v26
	v_cndmask_b32_e64 v29, v30, 0, s2
	v_cmp_eq_f32_e64 s2, 0, v25
	v_cmp_eq_f32_e64 s5, 1.0, v28
	v_bfi_b32 v24, 0x7fffffff, v24, v27
	v_cndmask_b32_e64 v32, 0, v25, s4
	v_cmp_eq_f32_e64 s4, 0x7f800000, v30
	s_delay_alu instid0(VALU_DEP_4) | instskip(NEXT) | instid1(VALU_DEP_4)
	v_cndmask_b32_e64 v27, v29, v28, s5
	v_cndmask_b32_e64 v29, 0x7fc00000, v24, s3
	s_xor_b32 s3, s6, s2
	s_delay_alu instid0(SALU_CYCLE_1) | instskip(SKIP_1) | instid1(VALU_DEP_1)
	v_cndmask_b32_e64 v31, 0x7f800000, 0, s3
	v_cmp_gt_f32_e64 s3, 0, v25
	v_cndmask_b32_e64 v24, v24, v29, s3
	v_cmp_eq_f32_e64 s3, 0x7f800000, v28
	s_delay_alu instid0(VALU_DEP_4) | instskip(NEXT) | instid1(VALU_DEP_3)
	v_bfi_b32 v28, 0x7fffffff, v31, v32
	v_cndmask_b32_e64 v24, v24, v27, s4
	s_delay_alu instid0(VALU_DEP_3)
	s_or_b32 s2, s3, s2
	s_delay_alu instid0(VALU_DEP_1) | instid1(SALU_CYCLE_1)
	v_cndmask_b32_e64 v24, v24, v28, s2
	v_cmp_o_f32_e64 s2, v25, v26
	s_delay_alu instid0(VALU_DEP_1) | instskip(NEXT) | instid1(VALU_DEP_1)
	v_cndmask_b32_e64 v24, 0x7fc00000, v24, s2
	v_cvt_f16_f32_e32 v26, v24
	v_add_co_u32 v24, s2, v14, s10
	s_delay_alu instid0(VALU_DEP_1)
	v_add_co_ci_u32_e64 v25, s2, s11, v15, s2
	global_store_b16 v[24:25], v26, off
	s_or_b32 exec_lo, exec_lo, s7
	s_and_saveexec_b32 s6, vcc_lo
	s_cbranch_execz .LBB94_3
.LBB94_19:                              ;   in Loop: Header=BB94_4 Depth=1
	s_waitcnt vmcnt(0)
	v_cmp_eq_f16_e64 s2, 1.0, v23
	v_cvt_f32_f16_e32 v26, v23
	s_delay_alu instid0(VALU_DEP_2) | instskip(NEXT) | instid1(VALU_DEP_1)
	v_cndmask_b32_e64 v25, s28, 1.0, s2
	v_cmp_eq_f32_e32 vcc_lo, 0, v25
	s_delay_alu instid0(VALU_DEP_3) | instskip(NEXT) | instid1(VALU_DEP_1)
	v_cndmask_b32_e64 v27, |v26|, 1.0, vcc_lo
	v_frexp_mant_f32_e32 v23, v27
	v_cmp_gt_f32_e64 s4, 1.0, v27
	s_delay_alu instid0(VALU_DEP_2) | instskip(NEXT) | instid1(VALU_DEP_1)
	v_cmp_gt_f32_e64 s3, 0x3f2aaaab, v23
	v_cndmask_b32_e64 v24, 1.0, 2.0, s3
	s_delay_alu instid0(VALU_DEP_1) | instskip(NEXT) | instid1(VALU_DEP_1)
	v_mul_f32_e32 v23, v23, v24
	v_add_f32_e32 v24, 1.0, v23
	v_add_f32_e32 v29, -1.0, v23
	s_delay_alu instid0(VALU_DEP_2) | instskip(SKIP_3) | instid1(VALU_DEP_1)
	v_rcp_f32_e32 v28, v24
	v_add_f32_e32 v31, -1.0, v24
	s_waitcnt_depctr 0xfff
	v_mul_f32_e32 v30, v29, v28
	v_dual_mul_f32 v32, v24, v30 :: v_dual_sub_f32 v23, v23, v31
	s_delay_alu instid0(VALU_DEP_1) | instskip(NEXT) | instid1(VALU_DEP_1)
	v_fma_f32 v24, v30, v24, -v32
	v_fmac_f32_e32 v24, v30, v23
	s_delay_alu instid0(VALU_DEP_1) | instskip(NEXT) | instid1(VALU_DEP_1)
	v_add_f32_e32 v23, v32, v24
	v_dual_sub_f32 v32, v23, v32 :: v_dual_sub_f32 v31, v29, v23
	s_delay_alu instid0(VALU_DEP_1) | instskip(NEXT) | instid1(VALU_DEP_1)
	v_dual_sub_f32 v24, v32, v24 :: v_dual_sub_f32 v29, v29, v31
	v_sub_f32_e32 v23, v29, v23
	s_delay_alu instid0(VALU_DEP_1) | instskip(NEXT) | instid1(VALU_DEP_1)
	v_add_f32_e32 v23, v24, v23
	v_add_f32_e32 v23, v31, v23
	s_delay_alu instid0(VALU_DEP_1) | instskip(NEXT) | instid1(VALU_DEP_1)
	v_mul_f32_e32 v23, v28, v23
	v_add_f32_e32 v28, v30, v23
	s_delay_alu instid0(VALU_DEP_1) | instskip(SKIP_1) | instid1(VALU_DEP_1)
	v_sub_f32_e32 v24, v28, v30
	v_mul_f32_e32 v29, v28, v28
	v_fma_f32 v31, v28, v28, -v29
	s_delay_alu instid0(VALU_DEP_3) | instskip(NEXT) | instid1(VALU_DEP_1)
	v_sub_f32_e32 v30, v23, v24
	v_add_f32_e32 v23, v30, v30
	s_delay_alu instid0(VALU_DEP_1) | instskip(SKIP_1) | instid1(VALU_DEP_2)
	v_fmac_f32_e32 v31, v28, v23
	v_cvt_f64_f32_e32 v[23:24], v27
	v_add_f32_e32 v32, v29, v31
	s_delay_alu instid0(VALU_DEP_1) | instskip(SKIP_1) | instid1(VALU_DEP_1)
	v_fmaak_f32 v33, s17, v32, 0x3e91f4c4
	v_sub_f32_e32 v29, v32, v29
	v_dual_mul_f32 v36, v28, v32 :: v_dual_sub_f32 v29, v31, v29
	s_delay_alu instid0(VALU_DEP_3) | instskip(NEXT) | instid1(VALU_DEP_1)
	v_fmaak_f32 v33, v32, v33, 0x3ecccdef
	v_mul_f32_e32 v34, v32, v33
	s_delay_alu instid0(VALU_DEP_1) | instskip(NEXT) | instid1(VALU_DEP_1)
	v_fma_f32 v31, v32, v33, -v34
	v_fmac_f32_e32 v31, v29, v33
	s_delay_alu instid0(VALU_DEP_1) | instskip(SKIP_1) | instid1(VALU_DEP_2)
	v_add_f32_e32 v33, v34, v31
	v_frexp_exp_i32_f64_e32 v23, v[23:24]
	v_sub_f32_e32 v34, v33, v34
	s_delay_alu instid0(VALU_DEP_1) | instskip(SKIP_1) | instid1(VALU_DEP_2)
	v_sub_f32_e32 v24, v31, v34
	v_fma_f32 v34, v32, v28, -v36
	v_add_f32_e32 v24, 0x31739010, v24
	s_delay_alu instid0(VALU_DEP_2) | instskip(SKIP_1) | instid1(VALU_DEP_2)
	v_dual_add_f32 v35, 0x3f2aaaaa, v33 :: v_dual_fmac_f32 v34, v32, v30
	v_ldexp_f32 v30, v30, 1
	v_dual_add_f32 v31, 0xbf2aaaaa, v35 :: v_dual_fmac_f32 v34, v29, v28
	s_delay_alu instid0(VALU_DEP_1) | instskip(NEXT) | instid1(VALU_DEP_1)
	v_sub_f32_e32 v31, v33, v31
	v_add_f32_e32 v24, v24, v31
	s_delay_alu instid0(VALU_DEP_3) | instskip(NEXT) | instid1(VALU_DEP_2)
	v_add_f32_e32 v31, v36, v34
	v_add_f32_e32 v29, v35, v24
	v_subrev_co_ci_u32_e64 v23, s3, 0, v23, s3
	s_delay_alu instid0(VALU_DEP_2) | instskip(NEXT) | instid1(VALU_DEP_4)
	v_sub_f32_e32 v32, v35, v29
	v_mul_f32_e32 v33, v31, v29
	s_delay_alu instid0(VALU_DEP_3) | instskip(SKIP_1) | instid1(VALU_DEP_4)
	v_cvt_f32_i32_e32 v23, v23
	v_sub_f32_e32 v35, v31, v36
	v_add_f32_e32 v24, v24, v32
	s_delay_alu instid0(VALU_DEP_4) | instskip(NEXT) | instid1(VALU_DEP_3)
	v_fma_f32 v32, v31, v29, -v33
	v_sub_f32_e32 v34, v34, v35
	s_delay_alu instid0(VALU_DEP_2) | instskip(SKIP_1) | instid1(VALU_DEP_2)
	v_fmac_f32_e32 v32, v31, v24
	v_ldexp_f32 v24, v28, 1
	v_fmac_f32_e32 v32, v34, v29
	s_delay_alu instid0(VALU_DEP_1) | instskip(NEXT) | instid1(VALU_DEP_1)
	v_add_f32_e32 v28, v33, v32
	v_add_f32_e32 v29, v24, v28
	s_delay_alu instid0(VALU_DEP_1) | instskip(NEXT) | instid1(VALU_DEP_1)
	v_dual_sub_f32 v24, v29, v24 :: v_dual_sub_f32 v31, v28, v33
	v_dual_mul_f32 v33, 0x3f317218, v23 :: v_dual_sub_f32 v24, v28, v24
	s_delay_alu instid0(VALU_DEP_2) | instskip(NEXT) | instid1(VALU_DEP_2)
	v_sub_f32_e32 v31, v32, v31
	v_fma_f32 v32, 0x3f317218, v23, -v33
	s_delay_alu instid0(VALU_DEP_2) | instskip(NEXT) | instid1(VALU_DEP_1)
	v_add_f32_e32 v28, v30, v31
	v_dual_fmac_f32 v32, 0xb102e308, v23 :: v_dual_add_f32 v23, v28, v24
	s_delay_alu instid0(VALU_DEP_1) | instskip(NEXT) | instid1(VALU_DEP_2)
	v_add_f32_e32 v24, v33, v32
	v_add_f32_e32 v28, v29, v23
	s_delay_alu instid0(VALU_DEP_1) | instskip(SKIP_1) | instid1(VALU_DEP_1)
	v_add_f32_e32 v30, v24, v28
	v_sub_f32_e32 v33, v24, v33
	v_dual_sub_f32 v31, v30, v24 :: v_dual_sub_f32 v32, v32, v33
	s_delay_alu instid0(VALU_DEP_1) | instskip(NEXT) | instid1(VALU_DEP_1)
	v_dual_sub_f32 v34, v30, v31 :: v_dual_sub_f32 v29, v28, v29
	v_dual_sub_f32 v28, v28, v31 :: v_dual_sub_f32 v23, v23, v29
	s_delay_alu instid0(VALU_DEP_2) | instskip(NEXT) | instid1(VALU_DEP_2)
	v_sub_f32_e32 v24, v24, v34
	v_add_f32_e32 v29, v32, v23
	s_delay_alu instid0(VALU_DEP_2) | instskip(NEXT) | instid1(VALU_DEP_2)
	v_add_f32_e32 v24, v28, v24
	v_sub_f32_e32 v28, v29, v32
	s_delay_alu instid0(VALU_DEP_2) | instskip(NEXT) | instid1(VALU_DEP_2)
	v_add_f32_e32 v24, v29, v24
	v_sub_f32_e32 v29, v29, v28
	s_delay_alu instid0(VALU_DEP_2) | instskip(NEXT) | instid1(VALU_DEP_2)
	v_add_f32_e32 v31, v30, v24
	v_dual_sub_f32 v23, v23, v28 :: v_dual_sub_f32 v28, v32, v29
	s_delay_alu instid0(VALU_DEP_2) | instskip(NEXT) | instid1(VALU_DEP_1)
	v_sub_f32_e32 v29, v31, v30
	v_dual_add_f32 v23, v23, v28 :: v_dual_sub_f32 v24, v24, v29
	s_delay_alu instid0(VALU_DEP_1) | instskip(NEXT) | instid1(VALU_DEP_1)
	v_add_f32_e32 v23, v23, v24
	v_add_f32_e32 v24, v31, v23
	s_delay_alu instid0(VALU_DEP_1) | instskip(NEXT) | instid1(VALU_DEP_1)
	v_dual_sub_f32 v28, v24, v31 :: v_dual_mul_f32 v29, v25, v24
	v_sub_f32_e32 v23, v23, v28
	s_delay_alu instid0(VALU_DEP_2) | instskip(SKIP_1) | instid1(VALU_DEP_2)
	v_fma_f32 v24, v25, v24, -v29
	v_cmp_class_f32_e64 s3, v29, 0x204
	v_fmac_f32_e32 v24, v25, v23
	s_delay_alu instid0(VALU_DEP_1) | instskip(NEXT) | instid1(VALU_DEP_1)
	v_add_f32_e32 v23, v29, v24
	v_cndmask_b32_e64 v28, v23, v29, s3
	s_delay_alu instid0(VALU_DEP_1) | instskip(NEXT) | instid1(VALU_DEP_1)
	v_cmp_eq_f32_e64 s3, 0x42b17218, v28
	v_cndmask_b32_e64 v30, 0, 0x37000000, s3
	v_cmp_neq_f32_e64 s3, 0x7f800000, |v28|
	s_delay_alu instid0(VALU_DEP_2) | instskip(NEXT) | instid1(VALU_DEP_1)
	v_sub_f32_e32 v31, v28, v30
	v_mul_f32_e32 v32, 0x3fb8aa3b, v31
	s_delay_alu instid0(VALU_DEP_1) | instskip(SKIP_1) | instid1(VALU_DEP_1)
	v_fma_f32 v33, 0x3fb8aa3b, v31, -v32
	v_rndne_f32_e32 v34, v32
	v_dual_fmac_f32 v33, 0x32a5705f, v31 :: v_dual_sub_f32 v32, v32, v34
	v_sub_f32_e32 v23, v23, v29
	v_cvt_i32_f32_e32 v29, v34
	s_delay_alu instid0(VALU_DEP_3) | instskip(NEXT) | instid1(VALU_DEP_3)
	v_add_f32_e32 v32, v32, v33
	v_sub_f32_e32 v23, v24, v23
	v_trunc_f32_e32 v24, v25
	s_delay_alu instid0(VALU_DEP_3) | instskip(NEXT) | instid1(VALU_DEP_2)
	v_exp_f32_e32 v32, v32
	v_cndmask_b32_e64 v23, 0, v23, s3
	v_cmp_ngt_f32_e64 s3, 0xc2ce8ed0, v31
	s_delay_alu instid0(VALU_DEP_2) | instskip(SKIP_3) | instid1(VALU_DEP_2)
	v_add_f32_e32 v23, v30, v23
	s_waitcnt_depctr 0xfff
	v_ldexp_f32 v29, v32, v29
	v_mul_f32_e32 v32, 0.5, v25
	v_cndmask_b32_e64 v28, 0, v29, s3
	v_cndmask_b32_e64 v29, |s28|, 1.0, s2
	v_cmp_nlt_f32_e64 s2, 0x42b17218, v31
	s_delay_alu instid0(VALU_DEP_4) | instskip(NEXT) | instid1(VALU_DEP_2)
	v_trunc_f32_e32 v33, v32
	v_cndmask_b32_e64 v28, 0x7f800000, v28, s2
	v_cmp_eq_f32_e64 s2, v24, v25
	s_delay_alu instid0(VALU_DEP_3)
	v_cmp_neq_f32_e64 s3, v33, v32
	v_cndmask_b32_e64 v24, v26, 1.0, vcc_lo
	v_cmp_neq_f32_e32 vcc_lo, v25, v29
	v_fma_f32 v23, v28, v23, v28
	v_cmp_class_f32_e64 s5, v28, 0x204
	s_and_b32 s3, s2, s3
	s_delay_alu instid0(SALU_CYCLE_1) | instskip(SKIP_1) | instid1(VALU_DEP_2)
	v_cndmask_b32_e64 v26, 1.0, v24, s3
	s_xor_b32 s4, vcc_lo, s4
	v_cndmask_b32_e64 v23, v23, v28, s5
	v_cmp_gt_f32_e64 s5, 0, v25
	v_cndmask_b32_e64 v28, v29, 0, s4
	v_cmp_eq_f32_e32 vcc_lo, 0, v24
	v_cmp_eq_f32_e64 s4, 1.0, v27
	v_bfi_b32 v23, 0x7fffffff, v23, v26
	v_cndmask_b32_e64 v31, 0, v24, s3
	v_cmp_eq_f32_e64 s3, 0x7f800000, v29
	s_delay_alu instid0(VALU_DEP_4) | instskip(NEXT) | instid1(VALU_DEP_4)
	v_cndmask_b32_e64 v26, v28, v27, s4
	v_cndmask_b32_e64 v28, 0x7fc00000, v23, s2
	s_xor_b32 s2, s5, vcc_lo
	s_delay_alu instid0(SALU_CYCLE_1) | instskip(SKIP_1) | instid1(VALU_DEP_1)
	v_cndmask_b32_e64 v30, 0x7f800000, 0, s2
	v_cmp_gt_f32_e64 s2, 0, v24
	v_cndmask_b32_e64 v23, v23, v28, s2
	v_cmp_eq_f32_e64 s2, 0x7f800000, v27
	s_delay_alu instid0(VALU_DEP_4) | instskip(NEXT) | instid1(VALU_DEP_3)
	v_bfi_b32 v27, 0x7fffffff, v30, v31
	v_cndmask_b32_e64 v23, v23, v26, s3
	s_delay_alu instid0(VALU_DEP_3) | instskip(NEXT) | instid1(VALU_DEP_1)
	s_or_b32 vcc_lo, s2, vcc_lo
	v_cndmask_b32_e32 v23, v23, v27, vcc_lo
	v_cmp_o_f32_e32 vcc_lo, v24, v25
	s_delay_alu instid0(VALU_DEP_2) | instskip(NEXT) | instid1(VALU_DEP_1)
	v_cndmask_b32_e32 v23, 0x7fc00000, v23, vcc_lo
	v_cvt_f16_f32_e32 v25, v23
	v_add_co_u32 v23, vcc_lo, v7, s10
	v_add_co_ci_u32_e32 v24, vcc_lo, s11, v8, vcc_lo
	global_store_b16 v[23:24], v25, off
	s_branch .LBB94_3
.LBB94_20:
	s_mov_b32 s6, 0
.LBB94_21:
	s_delay_alu instid0(SALU_CYCLE_1)
	s_and_not1_b32 vcc_lo, exec_lo, s6
	s_cbranch_vccnz .LBB94_25
; %bb.22:
	v_dual_mov_b32 v2, 0 :: v_dual_lshlrev_b32 v1, 2, v0
	s_mov_b32 s34, 0
	s_mov_b32 s2, exec_lo
	s_delay_alu instid0(VALU_DEP_1)
	v_cmpx_gt_i64_e64 s[26:27], v[1:2]
	s_cbranch_execz .LBB94_25
; %bb.23:
	s_load_b32 s0, s[0:1], 0xd54
	v_lshlrev_b32_e32 v6, 3, v0
	s_mov_b32 s37, 0x3e76c4e1
	s_waitcnt lgkmcnt(0)
	s_and_b32 s0, s0, 0xffff
	s_delay_alu instid0(SALU_CYCLE_1)
	v_add_lshl_u32 v1, v0, s0, 2
	s_lshl_b32 s35, s0, 3
	s_lshl_b32 s36, s0, 2
.LBB94_24:                              ; =>This Inner Loop Header: Depth=1
	v_add_co_u32 v3, s0, s29, v6
	s_delay_alu instid0(VALU_DEP_1)
	v_add_co_ci_u32_e64 v4, null, s30, 0, s0
	v_cmp_le_i64_e32 vcc_lo, s[26:27], v[1:2]
	v_cmp_lt_u64_e64 s0, 0xffff, v[1:2]
	s_clause 0x2
	global_load_u16 v0, v[3:4], off offset:6
	global_load_b32 v7, v[3:4], off offset:2
	global_load_b64 v[3:4], v[3:4], off
	s_waitcnt vmcnt(0)
	v_add_co_u32 v4, s1, s31, v6
	s_delay_alu instid0(VALU_DEP_1) | instskip(SKIP_2) | instid1(VALU_DEP_1)
	v_add_co_ci_u32_e64 v5, null, s33, 0, s1
	s_or_b32 s38, vcc_lo, s0
	v_add_co_u32 v1, s1, v1, s36
	v_add_co_ci_u32_e64 v2, s1, 0, v2, s1
	v_cmp_eq_f16_e64 s1, 1.0, v0
	v_cmp_eq_f16_e64 s0, 1.0, v7
	v_lshrrev_b32_e32 v8, 16, v7
	v_cvt_f32_f16_e32 v12, v7
	v_cmp_eq_f16_e32 vcc_lo, 1.0, v3
	v_cvt_f32_f16_e32 v10, v3
	v_cndmask_b32_e64 v7, s28, 1.0, s0
	v_cmp_eq_f16_e64 s4, 1.0, v8
	v_cvt_f32_f16_e32 v14, v0
	v_cndmask_b32_e64 v3, s28, 1.0, vcc_lo
	v_cndmask_b32_e64 v0, s28, 1.0, s1
	v_cmp_eq_f32_e64 s3, 0, v7
	v_cvt_f32_f16_e32 v21, v8
	v_cndmask_b32_e64 v8, s28, 1.0, s4
	v_cmp_eq_f32_e64 s2, 0, v3
	v_cndmask_b32_e64 v9, |s28|, 1.0, vcc_lo
	v_cndmask_b32_e64 v18, |v12|, 1.0, s3
	v_cmp_eq_f32_e64 s5, 0, v0
	v_cmp_eq_f32_e64 s14, 0, v8
	v_cndmask_b32_e64 v17, |v10|, 1.0, s2
	v_trunc_f32_e32 v15, v3
	v_frexp_mant_f32_e32 v27, v18
	v_cmp_neq_f32_e64 s7, v3, v9
	v_cndmask_b32_e64 v10, v10, 1.0, s2
	v_frexp_mant_f32_e32 v25, v17
	v_cmp_gt_f32_e64 s8, 1.0, v17
	v_cmp_gt_f32_e64 s21, 0x3f2aaaab, v27
	v_cndmask_b32_e64 v23, |v14|, 1.0, s5
	v_cndmask_b32_e64 v12, v12, 1.0, s3
	v_cmp_gt_f32_e64 s18, 0x3f2aaaab, v25
	v_cndmask_b32_e64 v37, |v21|, 1.0, s14
	v_cndmask_b32_e64 v41, 1.0, 2.0, s21
	v_mul_f32_e32 v16, 0.5, v3
	v_cndmask_b32_e64 v13, |s28|, 1.0, s1
	v_cndmask_b32_e64 v40, 1.0, 2.0, s18
	v_cmp_eq_f32_e64 s1, v15, v3
	v_mul_f32_e32 v41, v27, v41
	v_trunc_f32_e32 v26, v16
	v_cndmask_b32_e64 v15, |s28|, 1.0, s4
	s_xor_b32 s4, s7, s8
	v_cmp_gt_f32_e64 s10, 0, v3
	v_cndmask_b32_e64 v11, |s28|, 1.0, s0
	v_cmp_neq_f32_e64 s19, v26, v16
	v_cndmask_b32_e64 v26, v9, 0, s4
	v_cmp_eq_f32_e64 s4, 0, v10
	v_trunc_f32_e32 v19, v7
	v_cmp_gt_f32_e64 s11, 0, v7
	v_frexp_mant_f32_e32 v39, v23
	v_cmp_eq_f32_e64 s7, 0, v12
	v_frexp_mant_f32_e32 v42, v37
	v_mul_f32_e32 v40, v25, v40
	v_mul_f32_e32 v20, 0.5, v7
	v_cmp_neq_f32_e64 s9, v7, v11
	v_cmp_gt_f32_e64 s13, 1.0, v18
	s_xor_b32 s10, s10, s4
	v_add_f32_e32 v45, -1.0, v40
	v_trunc_f32_e32 v22, v0
	v_dual_mul_f32 v24, 0.5, v0 :: v_dual_add_f32 v47, -1.0, v41
	v_cmp_eq_f32_e64 s3, v19, v7
	v_trunc_f32_e32 v19, v20
	v_trunc_f32_e32 v28, v8
	v_cmp_gt_f32_e64 s24, 0x3f2aaaab, v39
	v_cndmask_b32_e64 v25, 0x7f800000, 0, s10
	s_xor_b32 s10, s11, s7
	v_cmp_gt_f32_e64 s11, 0x3f2aaaab, v42
	v_add_f32_e32 v46, 1.0, v40
	v_mul_f32_e32 v38, 0.5, v8
	v_cndmask_b32_e64 v14, v14, 1.0, s5
	v_cmp_neq_f32_e64 s16, v0, v13
	v_cmp_gt_f32_e64 s17, 1.0, v23
	s_xor_b32 s5, s9, s13
	v_cmp_eq_f32_e64 s6, v22, v0
	v_trunc_f32_e32 v22, v24
	v_cmp_neq_f32_e64 s22, v19, v20
	v_cndmask_b32_e64 v19, v11, 0, s5
	v_cmp_eq_f32_e64 s13, 1.0, v18
	v_cndmask_b32_e64 v16, v21, 1.0, s14
	v_cmp_eq_f32_e64 s8, v28, v8
	v_trunc_f32_e32 v21, v38
	v_cndmask_b32_e64 v28, 1.0, 2.0, s24
	v_cndmask_b32_e64 v43, 1.0, 2.0, s11
	v_cmp_eq_f32_e64 s20, 1.0, v17
	v_cmp_neq_f32_e64 s14, v8, v15
	v_cmp_gt_f32_e64 s23, 1.0, v37
	v_cvt_f64_f32_e32 v[29:30], v17
	v_cvt_f64_f32_e32 v[31:32], v18
	s_xor_b32 s9, s16, s17
	v_cmp_eq_f32_e64 s0, 0x7f800000, v18
	v_cmp_neq_f32_e64 s25, v22, v24
	v_cndmask_b32_e64 v24, v13, 0, s9
	v_cmp_eq_f32_e64 s16, 1.0, v23
	v_cndmask_b32_e64 v18, v19, v18, s13
	v_cmp_neq_f32_e64 s13, v21, v38
	v_mul_f32_e32 v42, v42, v43
	v_mul_f32_e32 v38, v39, v28
	v_cmp_gt_f32_e64 s12, 0, v0
	v_cmp_eq_f32_e32 vcc_lo, 0x7f800000, v17
	v_cmp_eq_f32_e64 s9, 0, v14
	v_add_f32_e32 v53, 1.0, v42
	v_cndmask_b32_e64 v17, v26, v17, s20
	v_cndmask_b32_e64 v26, 0x7f800000, 0, s10
	s_xor_b32 s10, s14, s23
	v_cmp_gt_f32_e64 s15, 0, v8
	s_and_b32 s17, s1, s19
	s_and_b32 s19, s3, s22
	v_cndmask_b32_e64 v21, v15, 0, s10
	v_cmp_eq_f32_e64 s10, 0, v16
	v_cmp_eq_f32_e64 s14, 1.0, v37
	v_cndmask_b32_e64 v19, v24, v23, s16
	v_cndmask_b32_e64 v24, 0, v10, s17
	;; [unrolled: 1-line block ×3, first 2 shown]
	v_add_f32_e32 v49, 1.0, v38
	s_xor_b32 s12, s12, s9
	v_cvt_f64_f32_e32 v[33:34], v23
	v_cmp_eq_f32_e64 s2, 0x7f800000, v23
	s_and_b32 s20, s6, s25
	v_cndmask_b32_e64 v23, 0x7f800000, 0, s12
	s_and_b32 s12, s8, s13
	s_xor_b32 s13, s15, s10
	v_cvt_f64_f32_e32 v[35:36], v37
	v_cmp_eq_f32_e64 s5, 0x7f800000, v37
	v_cndmask_b32_e64 v44, 0, v14, s20
	v_cndmask_b32_e64 v21, v21, v37, s14
	;; [unrolled: 1-line block ×3, first 2 shown]
	v_add_f32_e32 v43, -1.0, v38
	v_bfi_b32 v25, 0x7fffffff, v25, v24
	v_bfi_b32 v24, 0x7fffffff, v26, v39
	v_cndmask_b32_e64 v26, 0, v16, s12
	v_dual_add_f32 v39, -1.0, v46 :: v_dual_add_f32 v48, 1.0, v41
	v_rcp_f32_e32 v55, v49
	v_bfi_b32 v23, 0x7fffffff, v23, v44
	v_rcp_f32_e32 v44, v46
	v_bfi_b32 v26, 0x7fffffff, v37, v26
	v_sub_f32_e32 v37, v40, v39
	v_rcp_f32_e32 v51, v48
	v_add_f32_e32 v50, -1.0, v48
	v_rcp_f32_e32 v40, v53
	v_frexp_exp_i32_f64_e32 v29, v[29:30]
	v_frexp_exp_i32_f64_e32 v30, v[31:32]
	v_mul_f32_e32 v56, v43, v55
	v_dual_add_f32 v54, -1.0, v49 :: v_dual_sub_f32 v39, v41, v50
	v_dual_add_f32 v41, -1.0, v53 :: v_dual_add_f32 v52, -1.0, v42
	s_delay_alu instid0(VALU_DEP_2) | instskip(NEXT) | instid1(TRANS32_DEP_2)
	v_dual_mul_f32 v59, v49, v56 :: v_dual_sub_f32 v38, v38, v54
	v_mul_f32_e32 v54, v47, v51
	s_delay_alu instid0(VALU_DEP_3) | instskip(SKIP_2) | instid1(VALU_DEP_4)
	v_dual_mul_f32 v50, v45, v44 :: v_dual_sub_f32 v41, v42, v41
	v_cndmask_b32_e64 v28, 1.0, v16, s12
	v_frexp_exp_i32_f64_e32 v31, v[33:34]
	v_mul_f32_e32 v57, v48, v54
	s_delay_alu instid0(VALU_DEP_4)
	v_mul_f32_e32 v42, v46, v50
	s_or_b32 vcc_lo, vcc_lo, s4
	v_cndmask_b32_e64 v20, 1.0, v10, s17
	v_cndmask_b32_e64 v22, 1.0, v12, s19
	v_frexp_exp_i32_f64_e32 v35, v[35:36]
	v_fma_f32 v32, v50, v46, -v42
	v_cndmask_b32_e64 v27, 1.0, v14, s20
	s_or_b32 s0, s0, s7
	s_or_b32 s2, s2, s9
	s_delay_alu instid0(VALU_DEP_2) | instskip(NEXT) | instid1(VALU_DEP_1)
	v_fmac_f32_e32 v32, v50, v37
	v_add_f32_e32 v37, v42, v32
	v_fma_f32 v33, v54, v48, -v57
	s_delay_alu instid0(VALU_DEP_1) | instskip(NEXT) | instid1(VALU_DEP_1)
	v_dual_mul_f32 v58, v52, v40 :: v_dual_fmac_f32 v33, v54, v39
	v_mul_f32_e32 v34, v53, v58
	v_subrev_co_ci_u32_e64 v29, s12, 0, v29, s18
	v_subrev_co_ci_u32_e64 v30, s12, 0, v30, s21
	s_delay_alu instid0(VALU_DEP_3) | instskip(NEXT) | instid1(VALU_DEP_3)
	v_fma_f32 v36, v58, v53, -v34
	v_cvt_f32_i32_e32 v29, v29
	s_delay_alu instid0(VALU_DEP_3) | instskip(NEXT) | instid1(VALU_DEP_3)
	v_cvt_f32_i32_e32 v30, v30
	v_dual_fmac_f32 v36, v58, v41 :: v_dual_sub_f32 v41, v37, v42
	v_fma_f32 v46, v56, v49, -v59
	v_subrev_co_ci_u32_e64 v31, s12, 0, v31, s24
	s_delay_alu instid0(VALU_DEP_2) | instskip(SKIP_1) | instid1(VALU_DEP_3)
	v_fmac_f32_e32 v46, v56, v38
	v_add_f32_e32 v38, v57, v33
	v_cvt_f32_i32_e32 v31, v31
	v_subrev_co_ci_u32_e64 v35, s11, 0, v35, s11
	s_delay_alu instid0(VALU_DEP_3) | instskip(SKIP_1) | instid1(VALU_DEP_3)
	v_dual_add_f32 v39, v59, v46 :: v_dual_sub_f32 v48, v38, v57
	v_sub_f32_e32 v32, v41, v32
	v_cvt_f32_i32_e32 v35, v35
	s_delay_alu instid0(VALU_DEP_3) | instskip(SKIP_1) | instid1(VALU_DEP_1)
	v_sub_f32_e32 v57, v39, v59
	v_sub_f32_e32 v59, v43, v39
	;; [unrolled: 1-line block ×4, first 2 shown]
	s_delay_alu instid0(VALU_DEP_2) | instskip(NEXT) | instid1(VALU_DEP_2)
	v_sub_f32_e32 v39, v43, v39
	v_sub_f32_e32 v41, v47, v49
	v_dual_add_f32 v53, v34, v36 :: v_dual_sub_f32 v46, v57, v46
	s_delay_alu instid0(VALU_DEP_2) | instskip(NEXT) | instid1(VALU_DEP_2)
	v_sub_f32_e32 v38, v41, v38
	v_dual_sub_f32 v34, v53, v34 :: v_dual_sub_f32 v47, v52, v53
	v_sub_f32_e32 v42, v45, v37
	s_delay_alu instid0(VALU_DEP_2) | instskip(NEXT) | instid1(VALU_DEP_2)
	v_dual_sub_f32 v34, v34, v36 :: v_dual_sub_f32 v41, v52, v47
	v_sub_f32_e32 v45, v45, v42
	v_sub_f32_e32 v33, v48, v33
	s_delay_alu instid0(VALU_DEP_2) | instskip(NEXT) | instid1(VALU_DEP_1)
	v_sub_f32_e32 v37, v45, v37
	v_dual_add_f32 v32, v32, v37 :: v_dual_add_f32 v37, v46, v39
	s_delay_alu instid0(VALU_DEP_1) | instskip(NEXT) | instid1(VALU_DEP_1)
	v_dual_add_f32 v33, v33, v38 :: v_dual_add_f32 v32, v42, v32
	v_dual_add_f32 v33, v49, v33 :: v_dual_mul_f32 v32, v44, v32
	v_sub_f32_e32 v36, v41, v53
	s_delay_alu instid0(VALU_DEP_2) | instskip(NEXT) | instid1(VALU_DEP_2)
	v_mul_f32_e32 v33, v51, v33
	v_dual_mul_f32 v41, 0x3f317218, v30 :: v_dual_add_f32 v34, v34, v36
	v_add_f32_e32 v36, v59, v37
	s_delay_alu instid0(VALU_DEP_3) | instskip(SKIP_1) | instid1(VALU_DEP_3)
	v_add_f32_e32 v38, v54, v33
	v_add_f32_e32 v37, v50, v32
	v_mul_f32_e32 v36, v55, v36
	v_add_f32_e32 v34, v47, v34
	s_delay_alu instid0(VALU_DEP_4)
	v_mul_f32_e32 v47, v38, v38
	v_mul_f32_e32 v55, 0x3f317218, v35
	v_sub_f32_e32 v43, v37, v50
	v_add_f32_e32 v39, v56, v36
	v_mul_f32_e32 v34, v40, v34
	v_mul_f32_e32 v40, 0x3f317218, v29
	v_ldexp_f32 v45, v37, 1
	s_delay_alu instid0(VALU_DEP_4) | instskip(NEXT) | instid1(VALU_DEP_4)
	v_mul_f32_e32 v51, v39, v39
	v_add_f32_e32 v49, v58, v34
	s_delay_alu instid0(VALU_DEP_4) | instskip(SKIP_2) | instid1(VALU_DEP_4)
	v_fma_f32 v53, 0x3f317218, v29, -v40
	v_sub_f32_e32 v46, v38, v54
	v_fma_f32 v54, 0x3f317218, v30, -v41
	v_dual_sub_f32 v50, v39, v56 :: v_dual_sub_f32 v57, v49, v58
	s_delay_alu instid0(VALU_DEP_4) | instskip(NEXT) | instid1(VALU_DEP_4)
	v_fmac_f32_e32 v53, 0xb102e308, v29
	v_dual_mul_f32 v42, 0x3f317218, v31 :: v_dual_sub_f32 v33, v33, v46
	v_fma_f32 v46, v38, v38, -v47
	v_fmac_f32_e32 v54, 0xb102e308, v30
	v_sub_f32_e32 v32, v32, v43
	v_fma_f32 v29, 0x3f317218, v35, -v55
	v_mul_f32_e32 v44, v37, v37
	v_add_f32_e32 v60, v33, v33
	v_fma_f32 v56, 0x3f317218, v31, -v42
	v_add_f32_e32 v65, v41, v54
	v_fmac_f32_e32 v29, 0xb102e308, v35
	v_fma_f32 v43, v37, v37, -v44
	v_fmac_f32_e32 v46, v38, v60
	v_add_f32_e32 v30, v32, v32
	v_dual_sub_f32 v36, v36, v50 :: v_dual_sub_f32 v41, v65, v41
	v_fma_f32 v50, v39, v39, -v51
	s_delay_alu instid0(VALU_DEP_4) | instskip(NEXT) | instid1(VALU_DEP_3)
	v_dual_add_f32 v67, v47, v46 :: v_dual_fmac_f32 v56, 0xb102e308, v31
	v_dual_fmac_f32 v43, v37, v30 :: v_dual_add_f32 v62, v36, v36
	v_mul_f32_e32 v58, v49, v49
	v_sub_f32_e32 v34, v34, v57
	s_delay_alu instid0(VALU_DEP_3) | instskip(NEXT) | instid1(VALU_DEP_4)
	v_dual_add_f32 v35, v42, v56 :: v_dual_add_f32 v66, v44, v43
	v_fmac_f32_e32 v50, v39, v62
	s_delay_alu instid0(VALU_DEP_4) | instskip(SKIP_1) | instid1(VALU_DEP_4)
	v_fma_f32 v57, v49, v49, -v58
	v_ldexp_f32 v31, v32, 1
	v_dual_sub_f32 v47, v67, v47 :: v_dual_sub_f32 v44, v66, v44
	v_ldexp_f32 v61, v33, 1
	v_ldexp_f32 v48, v38, 1
	;; [unrolled: 1-line block ×4, first 2 shown]
	v_dual_sub_f32 v43, v43, v44 :: v_dual_add_f32 v64, v40, v53
	v_add_f32_e32 v62, v55, v29
	v_ldexp_f32 v59, v49, 1
	s_delay_alu instid0(VALU_DEP_3) | instskip(NEXT) | instid1(VALU_DEP_1)
	v_sub_f32_e32 v40, v64, v40
	v_dual_sub_f32 v40, v53, v40 :: v_dual_sub_f32 v53, v62, v55
	v_dual_sub_f32 v41, v54, v41 :: v_dual_fmaak_f32 v54, s37, v66, 0x3e91f4c4
	v_mul_f32_e32 v55, v37, v66
	s_delay_alu instid0(VALU_DEP_3) | instskip(NEXT) | instid1(VALU_DEP_3)
	v_dual_add_f32 v30, v34, v34 :: v_dual_sub_f32 v29, v29, v53
	v_fmaak_f32 v53, v66, v54, 0x3ecccdef
	s_delay_alu instid0(VALU_DEP_3) | instskip(NEXT) | instid1(VALU_DEP_3)
	v_fma_f32 v44, v66, v37, -v55
	v_fmac_f32_e32 v57, v49, v30
	v_ldexp_f32 v60, v34, 1
	s_delay_alu instid0(VALU_DEP_3) | instskip(SKIP_1) | instid1(VALU_DEP_4)
	v_fmac_f32_e32 v44, v66, v32
	v_mul_f32_e32 v32, v66, v53
	v_dual_add_f32 v69, v58, v57 :: v_dual_add_f32 v30, v51, v50
	s_delay_alu instid0(VALU_DEP_3) | instskip(NEXT) | instid1(VALU_DEP_3)
	v_fmac_f32_e32 v44, v43, v37
	v_fma_f32 v37, v66, v53, -v32
	s_delay_alu instid0(VALU_DEP_3) | instskip(SKIP_1) | instid1(VALU_DEP_3)
	v_dual_sub_f32 v58, v69, v58 :: v_dual_sub_f32 v51, v30, v51
	v_dual_mul_f32 v71, v39, v30 :: v_dual_sub_f32 v46, v46, v47
	v_dual_fmac_f32 v37, v43, v53 :: v_dual_mul_f32 v68, v38, v67
	s_delay_alu instid0(VALU_DEP_3) | instskip(NEXT) | instid1(VALU_DEP_3)
	v_sub_f32_e32 v50, v50, v51
	v_fma_f32 v51, v30, v39, -v71
	s_delay_alu instid0(VALU_DEP_3) | instskip(NEXT) | instid1(VALU_DEP_4)
	v_dual_sub_f32 v42, v35, v42 :: v_dual_add_f32 v53, v32, v37
	v_fma_f32 v47, v67, v38, -v68
	v_sub_f32_e32 v57, v57, v58
	s_delay_alu instid0(VALU_DEP_3) | instskip(NEXT) | instid1(VALU_DEP_3)
	v_dual_fmac_f32 v51, v30, v36 :: v_dual_sub_f32 v42, v56, v42
	v_dual_fmaak_f32 v56, s37, v67, 0x3e91f4c4 :: v_dual_fmac_f32 v47, v67, v33
	s_delay_alu instid0(VALU_DEP_2) | instskip(SKIP_1) | instid1(VALU_DEP_3)
	v_fmac_f32_e32 v51, v50, v39
	v_add_f32_e32 v39, v55, v44
	v_dual_fmaak_f32 v54, v67, v56, 0x3ecccdef :: v_dual_fmac_f32 v47, v46, v38
	v_fmaak_f32 v70, s37, v30, 0x3e91f4c4
	s_delay_alu instid0(VALU_DEP_2) | instskip(NEXT) | instid1(VALU_DEP_2)
	v_dual_fmaak_f32 v56, s37, v69, 0x3e91f4c4 :: v_dual_mul_f32 v33, v67, v54
	v_dual_add_f32 v43, v68, v47 :: v_dual_fmaak_f32 v70, v30, v70, 0x3ecccdef
	s_delay_alu instid0(VALU_DEP_2) | instskip(NEXT) | instid1(VALU_DEP_2)
	v_fma_f32 v38, v67, v54, -v33
	v_mul_f32_e32 v36, v30, v70
	s_delay_alu instid0(VALU_DEP_2) | instskip(NEXT) | instid1(VALU_DEP_4)
	v_fmac_f32_e32 v38, v46, v54
	v_sub_f32_e32 v54, v43, v68
	s_delay_alu instid0(VALU_DEP_3) | instskip(NEXT) | instid1(VALU_DEP_2)
	v_fma_f32 v30, v30, v70, -v36
	v_sub_f32_e32 v47, v47, v54
	s_delay_alu instid0(VALU_DEP_2) | instskip(SKIP_2) | instid1(VALU_DEP_2)
	v_fmac_f32_e32 v30, v50, v70
	v_mul_f32_e32 v72, v49, v69
	v_dual_sub_f32 v50, v39, v55 :: v_dual_add_f32 v55, v33, v38
	v_fma_f32 v58, v69, v49, -v72
	s_delay_alu instid0(VALU_DEP_2) | instskip(NEXT) | instid1(VALU_DEP_1)
	v_dual_add_f32 v54, 0x3f2aaaaa, v55 :: v_dual_sub_f32 v33, v55, v33
	v_dual_fmac_f32 v58, v69, v34 :: v_dual_sub_f32 v33, v38, v33
	s_delay_alu instid0(VALU_DEP_2) | instskip(NEXT) | instid1(VALU_DEP_2)
	v_add_f32_e32 v38, 0xbf2aaaaa, v54
	v_dual_fmac_f32 v58, v57, v49 :: v_dual_add_f32 v49, v71, v51
	v_fmaak_f32 v56, v69, v56, 0x3ecccdef
	s_delay_alu instid0(VALU_DEP_3) | instskip(NEXT) | instid1(VALU_DEP_2)
	v_dual_add_f32 v33, 0x31739010, v33 :: v_dual_sub_f32 v38, v55, v38
	v_mul_f32_e32 v34, v69, v56
	s_delay_alu instid0(VALU_DEP_2) | instskip(NEXT) | instid1(VALU_DEP_2)
	v_add_f32_e32 v33, v33, v38
	v_fma_f32 v46, v69, v56, -v34
	s_delay_alu instid0(VALU_DEP_2) | instskip(NEXT) | instid1(VALU_DEP_2)
	v_add_f32_e32 v38, v54, v33
	v_dual_fmac_f32 v46, v57, v56 :: v_dual_add_f32 v57, v36, v30
	v_add_f32_e32 v66, v72, v58
	s_delay_alu instid0(VALU_DEP_2) | instskip(NEXT) | instid1(VALU_DEP_2)
	v_add_f32_e32 v68, v34, v46
	v_dual_sub_f32 v67, v66, v72 :: v_dual_sub_f32 v44, v44, v50
	v_add_f32_e32 v50, 0x3f2aaaaa, v53
	s_delay_alu instid0(VALU_DEP_3) | instskip(NEXT) | instid1(VALU_DEP_3)
	v_sub_f32_e32 v34, v68, v34
	v_dual_sub_f32 v58, v58, v67 :: v_dual_add_f32 v67, 0x3f2aaaaa, v68
	v_sub_f32_e32 v32, v53, v32
	s_delay_alu instid0(VALU_DEP_1) | instskip(NEXT) | instid1(VALU_DEP_1)
	v_dual_sub_f32 v32, v37, v32 :: v_dual_add_f32 v37, 0xbf2aaaaa, v50
	v_dual_add_f32 v32, 0x31739010, v32 :: v_dual_sub_f32 v37, v53, v37
	v_sub_f32_e32 v53, v54, v38
	v_sub_f32_e32 v34, v46, v34
	v_add_f32_e32 v46, 0xbf2aaaaa, v67
	v_sub_f32_e32 v36, v57, v36
	v_add_f32_e32 v32, v32, v37
	v_mul_f32_e32 v54, v43, v38
	v_add_f32_e32 v34, 0x31739010, v34
	v_sub_f32_e32 v37, v68, v46
	v_dual_add_f32 v33, v33, v53 :: v_dual_sub_f32 v30, v30, v36
	s_delay_alu instid0(VALU_DEP_4) | instskip(NEXT) | instid1(VALU_DEP_3)
	v_fma_f32 v53, v43, v38, -v54
	v_add_f32_e32 v34, v34, v37
	v_sub_f32_e32 v56, v49, v71
	s_delay_alu instid0(VALU_DEP_3) | instskip(NEXT) | instid1(VALU_DEP_3)
	v_dual_add_f32 v30, 0x31739010, v30 :: v_dual_fmac_f32 v53, v43, v33
	v_add_f32_e32 v55, v67, v34
	s_delay_alu instid0(VALU_DEP_3) | instskip(NEXT) | instid1(VALU_DEP_3)
	v_dual_sub_f32 v51, v51, v56 :: v_dual_add_f32 v56, 0x3f2aaaaa, v57
	v_fmac_f32_e32 v53, v47, v38
	s_delay_alu instid0(VALU_DEP_3) | instskip(SKIP_1) | instid1(VALU_DEP_4)
	v_sub_f32_e32 v67, v67, v55
	v_mul_f32_e32 v68, v66, v55
	v_add_f32_e32 v36, 0xbf2aaaaa, v56
	s_delay_alu instid0(VALU_DEP_2) | instskip(NEXT) | instid1(VALU_DEP_2)
	v_fma_f32 v33, v66, v55, -v68
	v_sub_f32_e32 v36, v57, v36
	s_delay_alu instid0(VALU_DEP_1) | instskip(NEXT) | instid1(VALU_DEP_1)
	v_add_f32_e32 v30, v30, v36
	v_dual_add_f32 v36, v50, v32 :: v_dual_add_f32 v37, v56, v30
	s_delay_alu instid0(VALU_DEP_1) | instskip(SKIP_1) | instid1(VALU_DEP_3)
	v_sub_f32_e32 v46, v50, v36
	v_mul_f32_e32 v50, v39, v36
	v_sub_f32_e32 v56, v56, v37
	s_delay_alu instid0(VALU_DEP_3) | instskip(NEXT) | instid1(VALU_DEP_3)
	v_add_f32_e32 v32, v32, v46
	v_fma_f32 v46, v39, v36, -v50
	s_delay_alu instid0(VALU_DEP_3) | instskip(NEXT) | instid1(VALU_DEP_2)
	v_dual_mul_f32 v57, v49, v37 :: v_dual_add_f32 v30, v30, v56
	v_fmac_f32_e32 v46, v39, v32
	s_delay_alu instid0(VALU_DEP_2) | instskip(SKIP_1) | instid1(VALU_DEP_3)
	v_fma_f32 v56, v49, v37, -v57
	v_add_f32_e32 v32, v34, v67
	v_fmac_f32_e32 v46, v44, v36
	s_delay_alu instid0(VALU_DEP_2) | instskip(SKIP_1) | instid1(VALU_DEP_3)
	v_dual_fmac_f32 v56, v49, v30 :: v_dual_fmac_f32 v33, v66, v32
	v_add_f32_e32 v32, v54, v53
	v_add_f32_e32 v30, v50, v46
	s_delay_alu instid0(VALU_DEP_3) | instskip(NEXT) | instid1(VALU_DEP_3)
	v_fmac_f32_e32 v56, v51, v37
	v_sub_f32_e32 v38, v32, v54
	s_delay_alu instid0(VALU_DEP_3) | instskip(SKIP_1) | instid1(VALU_DEP_4)
	v_dual_add_f32 v39, v48, v32 :: v_dual_sub_f32 v36, v30, v50
	v_add_f32_e32 v37, v45, v30
	v_add_f32_e32 v34, v57, v56
	s_delay_alu instid0(VALU_DEP_4) | instskip(NEXT) | instid1(VALU_DEP_3)
	v_sub_f32_e32 v38, v53, v38
	v_dual_sub_f32 v36, v46, v36 :: v_dual_sub_f32 v45, v37, v45
	s_delay_alu instid0(VALU_DEP_3) | instskip(NEXT) | instid1(VALU_DEP_2)
	v_dual_sub_f32 v46, v39, v48 :: v_dual_add_f32 v47, v52, v34
	v_add_f32_e32 v31, v31, v36
	v_fmac_f32_e32 v33, v58, v55
	s_delay_alu instid0(VALU_DEP_4) | instskip(NEXT) | instid1(VALU_DEP_4)
	v_sub_f32_e32 v30, v30, v45
	v_sub_f32_e32 v32, v32, v46
	s_delay_alu instid0(VALU_DEP_3) | instskip(NEXT) | instid1(VALU_DEP_1)
	v_dual_add_f32 v36, v61, v38 :: v_dual_add_f32 v43, v68, v33
	v_dual_add_f32 v30, v31, v30 :: v_dual_add_f32 v31, v36, v32
	s_delay_alu instid0(VALU_DEP_2) | instskip(NEXT) | instid1(VALU_DEP_2)
	v_sub_f32_e32 v48, v43, v68
	v_dual_add_f32 v49, v59, v43 :: v_dual_add_f32 v36, v37, v30
	s_delay_alu instid0(VALU_DEP_2) | instskip(NEXT) | instid1(VALU_DEP_2)
	v_sub_f32_e32 v33, v33, v48
	v_dual_sub_f32 v38, v49, v59 :: v_dual_sub_f32 v37, v36, v37
	s_delay_alu instid0(VALU_DEP_1)
	v_dual_add_f32 v33, v60, v33 :: v_dual_sub_f32 v32, v43, v38
	v_add_f32_e32 v43, v64, v36
	v_sub_f32_e32 v50, v47, v52
	v_add_f32_e32 v38, v39, v31
	v_sub_f32_e32 v30, v30, v37
	;; [unrolled: 2-line block ×3, first 2 shown]
	s_delay_alu instid0(VALU_DEP_4) | instskip(NEXT) | instid1(VALU_DEP_2)
	v_sub_f32_e32 v39, v38, v39
	v_dual_add_f32 v45, v49, v32 :: v_dual_sub_f32 v36, v36, v37
	s_delay_alu instid0(VALU_DEP_1) | instskip(NEXT) | instid1(VALU_DEP_1)
	v_dual_sub_f32 v31, v31, v39 :: v_dual_sub_f32 v48, v45, v49
	v_dual_add_f32 v49, v62, v45 :: v_dual_sub_f32 v32, v32, v48
	s_delay_alu instid0(VALU_DEP_1) | instskip(NEXT) | instid1(VALU_DEP_1)
	v_sub_f32_e32 v48, v49, v62
	v_sub_f32_e32 v55, v49, v48
	;; [unrolled: 1-line block ×3, first 2 shown]
	s_delay_alu instid0(VALU_DEP_4) | instskip(SKIP_3) | instid1(VALU_DEP_3)
	v_add_f32_e32 v48, v29, v32
	v_sub_f32_e32 v44, v34, v57
	v_sub_f32_e32 v34, v34, v50
	v_dual_sub_f32 v50, v43, v37 :: v_dual_add_f32 v37, v40, v30
	v_sub_f32_e32 v44, v56, v44
	s_delay_alu instid0(VALU_DEP_2) | instskip(NEXT) | instid1(VALU_DEP_2)
	v_dual_sub_f32 v50, v64, v50 :: v_dual_sub_f32 v53, v37, v40
	v_add_f32_e32 v44, v63, v44
	s_delay_alu instid0(VALU_DEP_2) | instskip(NEXT) | instid1(VALU_DEP_3)
	v_add_f32_e32 v36, v36, v50
	v_sub_f32_e32 v50, v37, v53
	v_sub_f32_e32 v30, v30, v53
	s_delay_alu instid0(VALU_DEP_4) | instskip(SKIP_1) | instid1(VALU_DEP_4)
	v_add_f32_e32 v34, v44, v34
	v_dual_add_f32 v44, v65, v38 :: v_dual_sub_f32 v53, v62, v55
	v_sub_f32_e32 v40, v40, v50
	s_delay_alu instid0(VALU_DEP_3) | instskip(NEXT) | instid1(VALU_DEP_2)
	v_dual_add_f32 v36, v37, v36 :: v_dual_add_f32 v33, v47, v34
	v_dual_sub_f32 v39, v44, v65 :: v_dual_add_f32 v30, v30, v40
	s_delay_alu instid0(VALU_DEP_2) | instskip(NEXT) | instid1(VALU_DEP_3)
	v_add_f32_e32 v40, v43, v36
	v_sub_f32_e32 v46, v33, v47
	s_delay_alu instid0(VALU_DEP_3) | instskip(SKIP_3) | instid1(VALU_DEP_2)
	v_sub_f32_e32 v51, v44, v39
	v_sub_f32_e32 v38, v38, v39
	v_add_f32_e32 v39, v41, v31
	v_add_f32_e32 v47, v35, v33
	v_dual_sub_f32 v51, v65, v51 :: v_dual_sub_f32 v54, v39, v41
	s_delay_alu instid0(VALU_DEP_1) | instskip(SKIP_1) | instid1(VALU_DEP_2)
	v_dual_add_f32 v38, v38, v51 :: v_dual_sub_f32 v51, v39, v54
	v_dual_sub_f32 v31, v31, v54 :: v_dual_sub_f32 v54, v48, v29
	v_dual_add_f32 v38, v39, v38 :: v_dual_add_f32 v39, v45, v53
	s_delay_alu instid0(VALU_DEP_3) | instskip(NEXT) | instid1(VALU_DEP_3)
	v_sub_f32_e32 v37, v41, v51
	v_sub_f32_e32 v41, v48, v54
	;; [unrolled: 1-line block ×3, first 2 shown]
	s_delay_alu instid0(VALU_DEP_4) | instskip(NEXT) | instid1(VALU_DEP_4)
	v_add_f32_e32 v39, v48, v39
	v_add_f32_e32 v31, v31, v37
	s_delay_alu instid0(VALU_DEP_4) | instskip(SKIP_1) | instid1(VALU_DEP_2)
	v_sub_f32_e32 v29, v29, v41
	v_sub_f32_e32 v41, v40, v43
	v_dual_add_f32 v29, v32, v29 :: v_dual_add_f32 v32, v49, v39
	s_delay_alu instid0(VALU_DEP_2) | instskip(NEXT) | instid1(VALU_DEP_1)
	v_sub_f32_e32 v36, v36, v41
	v_dual_sub_f32 v41, v32, v49 :: v_dual_add_f32 v30, v30, v36
	s_delay_alu instid0(VALU_DEP_1) | instskip(NEXT) | instid1(VALU_DEP_1)
	v_sub_f32_e32 v36, v39, v41
	v_dual_add_f32 v29, v29, v36 :: v_dual_sub_f32 v34, v34, v46
	v_sub_f32_e32 v46, v47, v35
	s_delay_alu instid0(VALU_DEP_1) | instskip(SKIP_1) | instid1(VALU_DEP_2)
	v_sub_f32_e32 v52, v47, v46
	v_sub_f32_e32 v33, v33, v46
	v_dual_add_f32 v46, v42, v34 :: v_dual_sub_f32 v35, v35, v52
	s_delay_alu instid0(VALU_DEP_1) | instskip(NEXT) | instid1(VALU_DEP_1)
	v_dual_sub_f32 v52, v46, v42 :: v_dual_add_f32 v33, v33, v35
	v_sub_f32_e32 v35, v46, v52
	v_sub_f32_e32 v34, v34, v52
	s_delay_alu instid0(VALU_DEP_3) | instskip(NEXT) | instid1(VALU_DEP_3)
	v_add_f32_e32 v33, v46, v33
	v_sub_f32_e32 v35, v42, v35
	s_delay_alu instid0(VALU_DEP_1) | instskip(NEXT) | instid1(VALU_DEP_1)
	v_dual_add_f32 v34, v34, v35 :: v_dual_add_f32 v35, v47, v33
	v_sub_f32_e32 v43, v35, v47
	s_delay_alu instid0(VALU_DEP_1) | instskip(NEXT) | instid1(VALU_DEP_1)
	v_sub_f32_e32 v33, v33, v43
	v_dual_add_f32 v33, v34, v33 :: v_dual_add_f32 v34, v40, v30
	s_delay_alu instid0(VALU_DEP_1) | instskip(NEXT) | instid1(VALU_DEP_1)
	v_dual_add_f32 v36, v35, v33 :: v_dual_sub_f32 v39, v34, v40
	v_dual_mul_f32 v40, v3, v34 :: v_dual_sub_f32 v35, v36, v35
	s_delay_alu instid0(VALU_DEP_2) | instskip(NEXT) | instid1(VALU_DEP_2)
	v_dual_mul_f32 v43, v0, v36 :: v_dual_sub_f32 v30, v30, v39
	v_fma_f32 v34, v3, v34, -v40
	v_cmp_class_f32_e64 s13, v40, 0x204
	s_delay_alu instid0(VALU_DEP_4) | instskip(NEXT) | instid1(VALU_DEP_4)
	v_sub_f32_e32 v33, v33, v35
	v_fma_f32 v35, v0, v36, -v43
	v_cmp_class_f32_e64 s12, v43, 0x204
	s_delay_alu instid0(VALU_DEP_2) | instskip(SKIP_1) | instid1(VALU_DEP_1)
	v_dual_fmac_f32 v34, v3, v30 :: v_dual_fmac_f32 v35, v0, v33
	v_add_f32_e32 v37, v44, v38
	v_sub_f32_e32 v42, v37, v44
	s_delay_alu instid0(VALU_DEP_1) | instskip(NEXT) | instid1(VALU_DEP_1)
	v_sub_f32_e32 v38, v38, v42
	v_dual_add_f32 v42, v32, v29 :: v_dual_add_f32 v31, v31, v38
	s_delay_alu instid0(VALU_DEP_1) | instskip(NEXT) | instid1(VALU_DEP_2)
	v_sub_f32_e32 v32, v42, v32
	v_add_f32_e32 v38, v37, v31
	s_delay_alu instid0(VALU_DEP_2) | instskip(NEXT) | instid1(VALU_DEP_2)
	v_sub_f32_e32 v29, v29, v32
	v_sub_f32_e32 v37, v38, v37
	v_mul_f32_e32 v41, v7, v38
	s_delay_alu instid0(VALU_DEP_2) | instskip(NEXT) | instid1(VALU_DEP_2)
	v_sub_f32_e32 v31, v31, v37
	v_fma_f32 v37, v7, v38, -v41
	v_mul_f32_e32 v38, v8, v42
	v_cmp_class_f32_e64 s11, v41, 0x204
	s_delay_alu instid0(VALU_DEP_3) | instskip(NEXT) | instid1(VALU_DEP_3)
	v_fmac_f32_e32 v37, v7, v31
	v_fma_f32 v30, v8, v42, -v38
	s_delay_alu instid0(VALU_DEP_2) | instskip(NEXT) | instid1(VALU_DEP_2)
	v_dual_add_f32 v31, v40, v34 :: v_dual_add_f32 v32, v41, v37
	v_dual_fmac_f32 v30, v8, v29 :: v_dual_add_f32 v29, v43, v35
	s_delay_alu instid0(VALU_DEP_2) | instskip(SKIP_1) | instid1(VALU_DEP_4)
	v_sub_f32_e32 v33, v31, v40
	v_cndmask_b32_e64 v31, v31, v40, s13
	v_sub_f32_e32 v36, v32, v41
	v_cndmask_b32_e64 v32, v32, v41, s11
	v_add_f32_e32 v39, v38, v30
	v_cmp_class_f32_e64 s11, v38, 0x204
	v_sub_f32_e32 v40, v29, v43
	v_cndmask_b32_e64 v29, v29, v43, s12
	v_cmp_eq_f32_e64 s12, 0x42b17218, v31
	v_cmp_eq_f32_e64 s13, 0x42b17218, v32
	v_dual_sub_f32 v33, v34, v33 :: v_dual_sub_f32 v36, v37, v36
	v_sub_f32_e32 v41, v39, v38
	s_delay_alu instid0(VALU_DEP_4)
	v_cndmask_b32_e64 v34, 0, 0x37000000, s12
	v_cmp_neq_f32_e64 s12, 0x7f800000, |v32|
	v_cndmask_b32_e64 v37, 0, 0x37000000, s13
	v_cndmask_b32_e64 v38, v39, v38, s11
	v_cmp_eq_f32_e64 s13, 0x42b17218, v29
	v_sub_f32_e32 v35, v35, v40
	v_cmp_neq_f32_e64 s11, 0x7f800000, |v29|
	v_cndmask_b32_e64 v36, 0, v36, s12
	v_cmp_eq_f32_e64 s12, 0x42b17218, v38
	v_cndmask_b32_e64 v39, 0, 0x37000000, s13
	v_cmp_neq_f32_e64 s13, 0x7f800000, |v31|
	v_dual_sub_f32 v31, v31, v34 :: v_dual_sub_f32 v32, v32, v37
	v_sub_f32_e32 v30, v30, v41
	v_cndmask_b32_e64 v40, 0, 0x37000000, s12
	s_delay_alu instid0(VALU_DEP_4) | instskip(SKIP_3) | instid1(VALU_DEP_4)
	v_cndmask_b32_e64 v33, 0, v33, s13
	v_cndmask_b32_e64 v35, 0, v35, s11
	v_sub_f32_e32 v29, v29, v39
	v_cmp_neq_f32_e64 s11, 0x7f800000, |v38|
	v_dual_add_f32 v36, v37, v36 :: v_dual_add_f32 v33, v34, v33
	v_dual_mul_f32 v34, 0x3fb8aa3b, v31 :: v_dual_mul_f32 v37, 0x3fb8aa3b, v32
	s_delay_alu instid0(VALU_DEP_3) | instskip(SKIP_2) | instid1(VALU_DEP_4)
	v_cndmask_b32_e64 v30, 0, v30, s11
	v_dual_sub_f32 v38, v38, v40 :: v_dual_add_f32 v35, v39, v35
	v_mul_f32_e32 v39, 0x3fb8aa3b, v29
	v_fma_f32 v41, 0x3fb8aa3b, v31, -v34
	v_rndne_f32_e32 v42, v34
	v_fma_f32 v43, 0x3fb8aa3b, v32, -v37
	v_rndne_f32_e32 v44, v37
	v_add_f32_e32 v30, v40, v30
	v_mul_f32_e32 v40, 0x3fb8aa3b, v38
	v_fma_f32 v45, 0x3fb8aa3b, v29, -v39
	v_rndne_f32_e32 v46, v39
	v_dual_fmac_f32 v41, 0x32a5705f, v31 :: v_dual_sub_f32 v34, v34, v42
	v_fmac_f32_e32 v43, 0x32a5705f, v32
	v_sub_f32_e32 v37, v37, v44
	v_fma_f32 v47, 0x3fb8aa3b, v38, -v40
	v_rndne_f32_e32 v48, v40
	v_fmac_f32_e32 v45, 0x32a5705f, v29
	v_sub_f32_e32 v39, v39, v46
	v_dual_add_f32 v37, v37, v43 :: v_dual_add_f32 v34, v34, v41
	s_delay_alu instid0(VALU_DEP_4) | instskip(NEXT) | instid1(VALU_DEP_3)
	v_dual_fmac_f32 v47, 0x32a5705f, v38 :: v_dual_sub_f32 v40, v40, v48
	v_add_f32_e32 v39, v39, v45
	s_delay_alu instid0(VALU_DEP_3) | instskip(NEXT) | instid1(VALU_DEP_3)
	v_exp_f32_e32 v37, v37
	v_exp_f32_e32 v34, v34
	v_cvt_i32_f32_e32 v42, v42
	v_add_f32_e32 v40, v40, v47
	v_exp_f32_e32 v39, v39
	v_cvt_i32_f32_e32 v44, v44
	v_cvt_i32_f32_e32 v46, v46
	;; [unrolled: 1-line block ×3, first 2 shown]
	v_exp_f32_e32 v40, v40
	v_cmp_ngt_f32_e64 s11, 0xc2ce8ed0, v32
	v_ldexp_f32 v37, v37, v44
	v_ldexp_f32 v34, v34, v42
	v_cmp_ngt_f32_e64 s12, 0xc2ce8ed0, v29
	v_cmp_ngt_f32_e64 s13, 0xc2ce8ed0, v31
	v_ldexp_f32 v39, v39, v46
	v_cndmask_b32_e64 v37, 0, v37, s11
	v_cmp_nlt_f32_e64 s11, 0x42b17218, v32
	v_cmp_nlt_f32_e64 s14, 0x42b17218, v31
	v_cndmask_b32_e64 v34, 0, v34, s13
	v_ldexp_f32 v32, v40, v41
	v_cmp_ngt_f32_e64 s13, 0xc2ce8ed0, v38
	v_cndmask_b32_e64 v39, 0, v39, s12
	v_cmp_nlt_f32_e64 s12, 0x42b17218, v29
	v_cndmask_b32_e64 v29, 0x7f800000, v34, s14
	v_cndmask_b32_e64 v31, 0x7f800000, v37, s11
	;; [unrolled: 1-line block ×3, first 2 shown]
	v_cmp_nlt_f32_e64 s11, 0x42b17218, v38
	v_cndmask_b32_e64 v34, 0x7f800000, v39, s12
	v_fma_f32 v33, v29, v33, v29
	v_fma_f32 v36, v31, v36, v31
	v_cmp_class_f32_e64 s12, v31, 0x204
	v_cndmask_b32_e64 v32, 0x7f800000, v32, s11
	v_fma_f32 v35, v34, v35, v34
	v_cmp_class_f32_e64 s11, v34, 0x204
	v_cmp_class_f32_e64 s13, v29, 0x204
	v_cndmask_b32_e64 v31, v36, v31, s12
	v_fma_f32 v30, v32, v30, v32
	s_delay_alu instid0(VALU_DEP_3) | instskip(SKIP_3) | instid1(VALU_DEP_4)
	v_cndmask_b32_e64 v29, v33, v29, s13
	v_cndmask_b32_e64 v33, v35, v34, s11
	v_cmp_class_f32_e64 s11, v32, 0x204
	v_bfi_b32 v22, 0x7fffffff, v31, v22
	v_bfi_b32 v20, 0x7fffffff, v29, v20
	s_delay_alu instid0(VALU_DEP_4) | instskip(NEXT) | instid1(VALU_DEP_4)
	v_bfi_b32 v27, 0x7fffffff, v33, v27
	v_cndmask_b32_e64 v29, v30, v32, s11
	s_delay_alu instid0(VALU_DEP_4)
	v_cndmask_b32_e64 v31, 0x7fc00000, v22, s3
	v_cmp_gt_f32_e64 s3, 0, v14
	v_cndmask_b32_e64 v30, 0x7fc00000, v20, s1
	v_cmp_gt_f32_e64 s1, 0, v12
	v_bfi_b32 v28, 0x7fffffff, v29, v28
	v_cndmask_b32_e64 v29, 0x7fc00000, v27, s6
	v_cmp_gt_f32_e64 s6, 0, v10
	s_delay_alu instid0(VALU_DEP_4) | instskip(SKIP_2) | instid1(VALU_DEP_4)
	v_cndmask_b32_e64 v22, v22, v31, s1
	v_cmp_eq_f32_e64 s1, 0x7f800000, v11
	v_cndmask_b32_e64 v11, 0x7fc00000, v28, s8
	v_cndmask_b32_e64 v20, v20, v30, s6
	v_cmp_gt_f32_e64 s6, 0, v16
	v_cmp_eq_f32_e64 s8, 0x7f800000, v9
	v_cndmask_b32_e64 v27, v27, v29, s3
	v_cmp_eq_f32_e64 s3, 0x7f800000, v13
	v_cndmask_b32_e64 v13, v22, v18, s1
	v_cndmask_b32_e64 v11, v28, v11, s6
	;; [unrolled: 1-line block ×3, first 2 shown]
	v_cmp_eq_f32_e64 s1, 0x7f800000, v15
	v_cndmask_b32_e64 v15, v27, v19, s3
	s_delay_alu instid0(VALU_DEP_3) | instskip(SKIP_1) | instid1(VALU_DEP_4)
	v_cndmask_b32_e32 v9, v9, v25, vcc_lo
	v_cmp_o_f32_e32 vcc_lo, v10, v3
	v_cndmask_b32_e64 v10, v11, v21, s1
	v_cndmask_b32_e64 v3, v13, v24, s0
	v_cmp_o_f32_e64 s0, v12, v7
	v_cndmask_b32_e64 v7, v15, v23, s2
	s_or_b32 s2, s5, s10
	v_cmp_o_f32_e64 s1, v14, v0
	v_cndmask_b32_e64 v0, v10, v26, s2
	v_cndmask_b32_e32 v9, 0x7fc00000, v9, vcc_lo
	v_cmp_o_f32_e32 vcc_lo, v16, v8
	v_cndmask_b32_e64 v3, 0x7fc00000, v3, s0
	v_cndmask_b32_e64 v7, 0x7fc00000, v7, s1
	s_add_u32 s29, s29, s35
	v_cvt_f16_f32_e32 v8, v9
	v_cndmask_b32_e32 v0, 0x7fc00000, v0, vcc_lo
	v_cvt_f16_f32_e32 v3, v3
	v_cvt_f16_f32_e32 v9, v7
	s_addc_u32 s30, s30, 0
	s_add_u32 s31, s31, s35
	v_cvt_f16_f32_e32 v0, v0
	s_addc_u32 s33, s33, 0
	v_pack_b32_f16 v7, v8, v3
	s_and_b32 s0, exec_lo, s38
	s_delay_alu instid0(VALU_DEP_2)
	v_pack_b32_f16 v8, v0, v9
	s_or_b32 s34, s0, s34
	global_store_b64 v[4:5], v[7:8], off
	s_and_not1_b32 exec_lo, exec_lo, s34
	s_cbranch_execnz .LBB94_24
.LBB94_25:
	s_nop 0
	s_sendmsg sendmsg(MSG_DEALLOC_VGPRS)
	s_endpgm
	.section	.rodata,"a",@progbits
	.p2align	6, 0x0
	.amdhsa_kernel _ZN2at6native12_GLOBAL__N_125multi_tensor_apply_kernelINS1_28TensorListScalarListMetadataIfLi2EEENS1_25BinaryOpScalarListFunctorIN3c104HalfELi2ELi1ELi1EEEJNS1_13power_functorIfEEEEEvT_T0_DpT1_
		.amdhsa_group_segment_fixed_size 0
		.amdhsa_private_segment_fixed_size 0
		.amdhsa_kernarg_size 3656
		.amdhsa_user_sgpr_count 15
		.amdhsa_user_sgpr_dispatch_ptr 0
		.amdhsa_user_sgpr_queue_ptr 0
		.amdhsa_user_sgpr_kernarg_segment_ptr 1
		.amdhsa_user_sgpr_dispatch_id 0
		.amdhsa_user_sgpr_private_segment_size 0
		.amdhsa_wavefront_size32 1
		.amdhsa_uses_dynamic_stack 0
		.amdhsa_enable_private_segment 0
		.amdhsa_system_sgpr_workgroup_id_x 1
		.amdhsa_system_sgpr_workgroup_id_y 0
		.amdhsa_system_sgpr_workgroup_id_z 0
		.amdhsa_system_sgpr_workgroup_info 0
		.amdhsa_system_vgpr_workitem_id 0
		.amdhsa_next_free_vgpr 73
		.amdhsa_next_free_sgpr 39
		.amdhsa_reserve_vcc 1
		.amdhsa_float_round_mode_32 0
		.amdhsa_float_round_mode_16_64 0
		.amdhsa_float_denorm_mode_32 3
		.amdhsa_float_denorm_mode_16_64 3
		.amdhsa_dx10_clamp 1
		.amdhsa_ieee_mode 1
		.amdhsa_fp16_overflow 0
		.amdhsa_workgroup_processor_mode 1
		.amdhsa_memory_ordered 1
		.amdhsa_forward_progress 0
		.amdhsa_shared_vgpr_count 0
		.amdhsa_exception_fp_ieee_invalid_op 0
		.amdhsa_exception_fp_denorm_src 0
		.amdhsa_exception_fp_ieee_div_zero 0
		.amdhsa_exception_fp_ieee_overflow 0
		.amdhsa_exception_fp_ieee_underflow 0
		.amdhsa_exception_fp_ieee_inexact 0
		.amdhsa_exception_int_div_zero 0
	.end_amdhsa_kernel
	.section	.text._ZN2at6native12_GLOBAL__N_125multi_tensor_apply_kernelINS1_28TensorListScalarListMetadataIfLi2EEENS1_25BinaryOpScalarListFunctorIN3c104HalfELi2ELi1ELi1EEEJNS1_13power_functorIfEEEEEvT_T0_DpT1_,"axG",@progbits,_ZN2at6native12_GLOBAL__N_125multi_tensor_apply_kernelINS1_28TensorListScalarListMetadataIfLi2EEENS1_25BinaryOpScalarListFunctorIN3c104HalfELi2ELi1ELi1EEEJNS1_13power_functorIfEEEEEvT_T0_DpT1_,comdat
.Lfunc_end94:
	.size	_ZN2at6native12_GLOBAL__N_125multi_tensor_apply_kernelINS1_28TensorListScalarListMetadataIfLi2EEENS1_25BinaryOpScalarListFunctorIN3c104HalfELi2ELi1ELi1EEEJNS1_13power_functorIfEEEEEvT_T0_DpT1_, .Lfunc_end94-_ZN2at6native12_GLOBAL__N_125multi_tensor_apply_kernelINS1_28TensorListScalarListMetadataIfLi2EEENS1_25BinaryOpScalarListFunctorIN3c104HalfELi2ELi1ELi1EEEJNS1_13power_functorIfEEEEEvT_T0_DpT1_
                                        ; -- End function
	.section	.AMDGPU.csdata,"",@progbits
; Kernel info:
; codeLenInByte = 10840
; NumSgprs: 41
; NumVgprs: 73
; ScratchSize: 0
; MemoryBound: 0
; FloatMode: 240
; IeeeMode: 1
; LDSByteSize: 0 bytes/workgroup (compile time only)
; SGPRBlocks: 5
; VGPRBlocks: 9
; NumSGPRsForWavesPerEU: 41
; NumVGPRsForWavesPerEU: 73
; Occupancy: 16
; WaveLimiterHint : 0
; COMPUTE_PGM_RSRC2:SCRATCH_EN: 0
; COMPUTE_PGM_RSRC2:USER_SGPR: 15
; COMPUTE_PGM_RSRC2:TRAP_HANDLER: 0
; COMPUTE_PGM_RSRC2:TGID_X_EN: 1
; COMPUTE_PGM_RSRC2:TGID_Y_EN: 0
; COMPUTE_PGM_RSRC2:TGID_Z_EN: 0
; COMPUTE_PGM_RSRC2:TIDIG_COMP_CNT: 0
	.section	.text._ZN2at6native12_GLOBAL__N_125multi_tensor_apply_kernelINS1_28TensorListScalarListMetadataIfLi2EEENS1_25BinaryOpScalarListFunctorIN3c108BFloat16ELi2ELi1ELi1EEEJNS1_13power_functorIfEEEEEvT_T0_DpT1_,"axG",@progbits,_ZN2at6native12_GLOBAL__N_125multi_tensor_apply_kernelINS1_28TensorListScalarListMetadataIfLi2EEENS1_25BinaryOpScalarListFunctorIN3c108BFloat16ELi2ELi1ELi1EEEJNS1_13power_functorIfEEEEEvT_T0_DpT1_,comdat
	.globl	_ZN2at6native12_GLOBAL__N_125multi_tensor_apply_kernelINS1_28TensorListScalarListMetadataIfLi2EEENS1_25BinaryOpScalarListFunctorIN3c108BFloat16ELi2ELi1ELi1EEEJNS1_13power_functorIfEEEEEvT_T0_DpT1_ ; -- Begin function _ZN2at6native12_GLOBAL__N_125multi_tensor_apply_kernelINS1_28TensorListScalarListMetadataIfLi2EEENS1_25BinaryOpScalarListFunctorIN3c108BFloat16ELi2ELi1ELi1EEEJNS1_13power_functorIfEEEEEvT_T0_DpT1_
	.p2align	8
	.type	_ZN2at6native12_GLOBAL__N_125multi_tensor_apply_kernelINS1_28TensorListScalarListMetadataIfLi2EEENS1_25BinaryOpScalarListFunctorIN3c108BFloat16ELi2ELi1ELi1EEEJNS1_13power_functorIfEEEEEvT_T0_DpT1_,@function
_ZN2at6native12_GLOBAL__N_125multi_tensor_apply_kernelINS1_28TensorListScalarListMetadataIfLi2EEENS1_25BinaryOpScalarListFunctorIN3c108BFloat16ELi2ELi1ELi1EEEJNS1_13power_functorIfEEEEEvT_T0_DpT1_: ; @_ZN2at6native12_GLOBAL__N_125multi_tensor_apply_kernelINS1_28TensorListScalarListMetadataIfLi2EEENS1_25BinaryOpScalarListFunctorIN3c108BFloat16ELi2ELi1ELi1EEEJNS1_13power_functorIfEEEEEvT_T0_DpT1_
; %bb.0:
	v_mov_b32_e32 v1, s15
	s_add_u32 s2, s0, s15
	s_mul_hi_u32 s3, s15, 3
	s_mul_i32 s15, s15, 3
	s_addc_u32 s4, s1, 0
	global_load_u8 v1, v1, s[0:1] offset:1792
	s_add_u32 s2, s2, s15
	s_addc_u32 s3, s4, s3
	s_load_b32 s2, s[2:3], 0x840
	s_waitcnt vmcnt(0)
	v_readfirstlane_b32 s3, v1
	v_lshlrev_b32_e32 v1, 2, v1
	s_delay_alu instid0(VALU_DEP_2)
	s_lshl_b32 s6, s3, 3
	s_waitcnt lgkmcnt(0)
	s_ashr_i32 s3, s2, 31
	s_add_u32 s7, s0, s6
	s_addc_u32 s8, s1, 0
	v_sub_co_u32 v1, s7, s7, v1
	s_delay_alu instid0(VALU_DEP_1)
	v_sub_co_ci_u32_e64 v2, null, s8, 0, s7
	s_clause 0x2
	s_load_b64 s[4:5], s[0:1], s6 offset:0x400
	s_load_b64 s[34:35], s[0:1], s6 offset:0x200
	;; [unrolled: 1-line block ×3, first 2 shown]
	v_readfirstlane_b32 s6, v1
	v_readfirstlane_b32 s7, v2
	s_lshl_b64 s[10:11], s[2:3], 17
	s_lshl_b64 s[2:3], s[2:3], 16
	s_load_b32 s29, s[6:7], 0x600
	s_mov_b32 s7, 0
	s_waitcnt lgkmcnt(0)
	s_and_b32 s8, s4, 3
	s_and_b32 s9, s34, 7
	;; [unrolled: 1-line block ×3, first 2 shown]
	s_delay_alu instid0(SALU_CYCLE_1) | instskip(NEXT) | instid1(SALU_CYCLE_1)
	s_or_b32 s6, s6, s8
	s_or_b32 s6, s9, s6
	s_sub_u32 s36, s4, s2
	s_subb_u32 s37, s5, s3
	s_cmp_eq_u64 s[6:7], 0
	s_mov_b32 s2, -1
	s_cbranch_scc1 .LBB95_21
; %bb.1:
	v_cmp_lt_i64_e64 s2, s[36:37], 1
	s_delay_alu instid0(VALU_DEP_1)
	s_and_b32 vcc_lo, exec_lo, s2
	s_cbranch_vccnz .LBB95_20
; %bb.2:
	s_load_b32 s2, s[0:1], 0xd54
	v_dual_mov_b32 v10, 0 :: v_dual_lshlrev_b32 v9, 1, v0
	v_cmp_gt_u64_e64 s3, 0x10000, s[36:37]
	s_mov_b64 s[14:15], 0
	s_mov_b32 s17, 0x3e76c4e1
	s_delay_alu instid0(VALU_DEP_2) | instskip(NEXT) | instid1(VALU_DEP_1)
	v_add_co_u32 v1, s4, s30, v9
	v_add_co_ci_u32_e64 v2, null, s31, 0, s4
	v_add_co_u32 v3, s4, s34, v9
	s_delay_alu instid0(VALU_DEP_1)
	v_add_co_ci_u32_e64 v4, null, s35, 0, s4
	s_waitcnt lgkmcnt(0)
	s_and_b32 s2, s2, 0xffff
	s_and_b32 s3, s3, exec_lo
	v_mad_u64_u32 v[7:8], null, s2, 6, v[9:10]
	s_cselect_b32 s13, s37, 0
	s_cselect_b32 s12, s36, 0x10000
	s_mul_i32 s4, s2, 3
	s_lshl_b32 s9, s2, 2
	s_lshl_b32 s3, s2, 1
	v_add_co_u32 v14, s5, s9, v9
	v_add_co_u32 v9, s4, s4, v0
	s_delay_alu instid0(VALU_DEP_1) | instskip(SKIP_3) | instid1(VALU_DEP_3)
	v_add_co_ci_u32_e64 v10, null, 0, 0, s4
	v_add_co_u32 v13, s4, v0, s2
	v_add_co_u32 v5, vcc_lo, s30, v7
	v_add_co_ci_u32_e32 v6, vcc_lo, s31, v8, vcc_lo
	v_lshlrev_b32_e32 v21, 1, v13
	v_add_co_u32 v7, vcc_lo, s34, v7
	v_add_co_ci_u32_e64 v15, null, 0, 0, s5
	v_add_co_ci_u32_e32 v8, vcc_lo, s35, v8, vcc_lo
	v_add_co_u32 v17, s3, s3, v0
	v_add_co_u32 v11, vcc_lo, s30, v14
	v_add_co_ci_u32_e64 v18, null, 0, 0, s3
	v_add_co_u32 v19, s3, s30, v21
	v_add_co_ci_u32_e32 v12, vcc_lo, s31, v15, vcc_lo
	v_add_co_u32 v14, vcc_lo, s34, v14
	v_add_co_ci_u32_e64 v20, null, s31, 0, s3
	v_add_co_u32 v21, s3, s34, v21
	v_add_co_ci_u32_e32 v15, vcc_lo, s35, v15, vcc_lo
	v_add_co_ci_u32_e64 v16, null, 0, 0, s4
	v_add_co_ci_u32_e64 v22, null, s35, 0, s3
	s_lshl_b32 s16, s2, 3
	s_branch .LBB95_4
.LBB95_3:                               ;   in Loop: Header=BB95_4 Depth=1
	s_or_b32 exec_lo, exec_lo, s6
	v_add_co_u32 v1, vcc_lo, v1, s16
	v_add_co_ci_u32_e32 v2, vcc_lo, 0, v2, vcc_lo
	v_add_co_u32 v3, vcc_lo, v3, s16
	v_add_co_ci_u32_e32 v4, vcc_lo, 0, v4, vcc_lo
	;; [unrolled: 2-line block ×5, first 2 shown]
	s_add_u32 s14, s14, s9
	v_add_co_u32 v14, vcc_lo, v14, s16
	s_addc_u32 s15, s15, 0
	v_add_co_ci_u32_e32 v15, vcc_lo, 0, v15, vcc_lo
	v_cmp_lt_i64_e64 s2, s[14:15], s[36:37]
	v_cmp_gt_u64_e64 s3, 0x10000, s[14:15]
	v_add_co_u32 v19, vcc_lo, v19, s16
	v_add_co_ci_u32_e32 v20, vcc_lo, 0, v20, vcc_lo
	v_add_co_u32 v21, vcc_lo, v21, s16
	v_add_co_ci_u32_e32 v22, vcc_lo, 0, v22, vcc_lo
	s_and_b32 s2, s2, s3
	s_delay_alu instid0(SALU_CYCLE_1)
	s_and_b32 vcc_lo, exec_lo, s2
	s_cbranch_vccz .LBB95_20
.LBB95_4:                               ; =>This Inner Loop Header: Depth=1
	s_waitcnt vmcnt(0)
	v_add_co_u32 v23, s2, v0, s14
	s_delay_alu instid0(VALU_DEP_1) | instskip(SKIP_1) | instid1(VALU_DEP_2)
	v_add_co_ci_u32_e64 v24, null, 0, s15, s2
	v_mov_b32_e32 v26, 0
	v_cmp_gt_u64_e64 s4, s[12:13], v[23:24]
	s_delay_alu instid0(VALU_DEP_1)
	s_and_saveexec_b32 s2, s4
	s_cbranch_execz .LBB95_6
; %bb.5:                                ;   in Loop: Header=BB95_4 Depth=1
	v_add_co_u32 v23, vcc_lo, v1, s10
	v_add_co_ci_u32_e32 v24, vcc_lo, s11, v2, vcc_lo
	global_load_u16 v26, v[23:24], off
.LBB95_6:                               ;   in Loop: Header=BB95_4 Depth=1
	s_or_b32 exec_lo, exec_lo, s2
	v_add_co_u32 v23, vcc_lo, v13, s14
	v_add_co_ci_u32_e32 v24, vcc_lo, s15, v16, vcc_lo
	v_mov_b32_e32 v25, 0
	s_delay_alu instid0(VALU_DEP_2) | instskip(NEXT) | instid1(VALU_DEP_1)
	v_cmp_gt_u64_e64 s3, s[12:13], v[23:24]
	s_and_saveexec_b32 s2, s3
	s_cbranch_execz .LBB95_8
; %bb.7:                                ;   in Loop: Header=BB95_4 Depth=1
	v_add_co_u32 v23, vcc_lo, v19, s10
	v_add_co_ci_u32_e32 v24, vcc_lo, s11, v20, vcc_lo
	global_load_u16 v25, v[23:24], off
.LBB95_8:                               ;   in Loop: Header=BB95_4 Depth=1
	s_or_b32 exec_lo, exec_lo, s2
	v_add_co_u32 v23, vcc_lo, v17, s14
	v_add_co_ci_u32_e32 v24, vcc_lo, s15, v18, vcc_lo
	s_delay_alu instid0(VALU_DEP_1) | instskip(SKIP_1) | instid1(VALU_DEP_2)
	v_cmp_gt_u64_e64 s2, s[12:13], v[23:24]
	v_dual_mov_b32 v23, 0 :: v_dual_mov_b32 v24, 0
	s_and_saveexec_b32 s5, s2
	s_cbranch_execz .LBB95_10
; %bb.9:                                ;   in Loop: Header=BB95_4 Depth=1
	v_add_co_u32 v27, vcc_lo, v11, s10
	v_add_co_ci_u32_e32 v28, vcc_lo, s11, v12, vcc_lo
	global_load_u16 v24, v[27:28], off
.LBB95_10:                              ;   in Loop: Header=BB95_4 Depth=1
	s_or_b32 exec_lo, exec_lo, s5
	v_add_co_u32 v27, vcc_lo, v9, s14
	v_add_co_ci_u32_e32 v28, vcc_lo, s15, v10, vcc_lo
	s_delay_alu instid0(VALU_DEP_1)
	v_cmp_gt_u64_e32 vcc_lo, s[12:13], v[27:28]
	s_and_saveexec_b32 s6, vcc_lo
	s_cbranch_execnz .LBB95_15
; %bb.11:                               ;   in Loop: Header=BB95_4 Depth=1
	s_or_b32 exec_lo, exec_lo, s6
	s_and_saveexec_b32 s18, s4
	s_cbranch_execnz .LBB95_16
.LBB95_12:                              ;   in Loop: Header=BB95_4 Depth=1
	s_or_b32 exec_lo, exec_lo, s18
	s_and_saveexec_b32 s8, s3
	s_cbranch_execnz .LBB95_17
.LBB95_13:                              ;   in Loop: Header=BB95_4 Depth=1
	s_or_b32 exec_lo, exec_lo, s8
	s_and_saveexec_b32 s7, s2
	s_cbranch_execnz .LBB95_18
.LBB95_14:                              ;   in Loop: Header=BB95_4 Depth=1
	s_or_b32 exec_lo, exec_lo, s7
	s_and_saveexec_b32 s6, vcc_lo
	s_cbranch_execz .LBB95_3
	s_branch .LBB95_19
.LBB95_15:                              ;   in Loop: Header=BB95_4 Depth=1
	v_add_co_u32 v27, s5, v5, s10
	s_delay_alu instid0(VALU_DEP_1)
	v_add_co_ci_u32_e64 v28, s5, s11, v6, s5
	global_load_u16 v23, v[27:28], off
	s_or_b32 exec_lo, exec_lo, s6
	s_and_saveexec_b32 s18, s4
	s_cbranch_execz .LBB95_12
.LBB95_16:                              ;   in Loop: Header=BB95_4 Depth=1
	s_waitcnt vmcnt(0)
	v_lshlrev_b32_e32 v26, 16, v26
	s_delay_alu instid0(VALU_DEP_1) | instskip(NEXT) | instid1(VALU_DEP_1)
	v_cmp_eq_f32_e64 s4, 1.0, v26
	v_cndmask_b32_e64 v28, s29, 1.0, s4
	s_delay_alu instid0(VALU_DEP_1) | instskip(SKIP_1) | instid1(VALU_DEP_2)
	v_cmp_eq_f32_e64 s5, 0, v28
	v_cmp_gt_f32_e64 s7, 0, v28
	v_cndmask_b32_e64 v30, |v26|, 1.0, s5
	v_cndmask_b32_e64 v29, v26, 1.0, s5
	s_delay_alu instid0(VALU_DEP_2) | instskip(NEXT) | instid1(VALU_DEP_2)
	v_cvt_f64_f32_e32 v[26:27], v30
	v_cmp_eq_f32_e64 s8, 0, v29
	s_delay_alu instid0(VALU_DEP_2) | instskip(SKIP_1) | instid1(VALU_DEP_1)
	v_frexp_exp_i32_f64_e32 v26, v[26:27]
	v_frexp_mant_f32_e32 v27, v30
	v_cmp_gt_f32_e64 s5, 0x3f2aaaab, v27
	s_delay_alu instid0(VALU_DEP_1) | instskip(NEXT) | instid1(VALU_DEP_1)
	v_cndmask_b32_e64 v31, 1.0, 2.0, s5
	v_mul_f32_e32 v27, v27, v31
	s_delay_alu instid0(VALU_DEP_1) | instskip(SKIP_1) | instid1(VALU_DEP_1)
	v_add_f32_e32 v33, -1.0, v27
	v_add_f32_e32 v31, 1.0, v27
	v_rcp_f32_e32 v32, v31
	s_waitcnt_depctr 0xfff
	v_mul_f32_e32 v34, v33, v32
	v_subrev_co_ci_u32_e64 v26, s6, 0, v26, s5
	s_delay_alu instid0(VALU_DEP_2) | instskip(NEXT) | instid1(VALU_DEP_2)
	v_dual_mul_f32 v36, v31, v34 :: v_dual_add_f32 v35, -1.0, v31
	v_cvt_f32_i32_e32 v26, v26
	s_delay_alu instid0(VALU_DEP_2) | instskip(NEXT) | instid1(VALU_DEP_3)
	v_fma_f32 v31, v34, v31, -v36
	v_sub_f32_e32 v27, v27, v35
	s_delay_alu instid0(VALU_DEP_1) | instskip(NEXT) | instid1(VALU_DEP_1)
	v_fmac_f32_e32 v31, v34, v27
	v_add_f32_e32 v27, v36, v31
	s_delay_alu instid0(VALU_DEP_1) | instskip(NEXT) | instid1(VALU_DEP_1)
	v_dual_sub_f32 v35, v33, v27 :: v_dual_sub_f32 v36, v27, v36
	v_sub_f32_e32 v33, v33, v35
	s_delay_alu instid0(VALU_DEP_2) | instskip(NEXT) | instid1(VALU_DEP_2)
	v_sub_f32_e32 v31, v36, v31
	v_sub_f32_e32 v27, v33, v27
	s_delay_alu instid0(VALU_DEP_1) | instskip(NEXT) | instid1(VALU_DEP_1)
	v_add_f32_e32 v27, v31, v27
	v_add_f32_e32 v27, v35, v27
	s_delay_alu instid0(VALU_DEP_1) | instskip(NEXT) | instid1(VALU_DEP_1)
	v_mul_f32_e32 v27, v32, v27
	v_add_f32_e32 v31, v34, v27
	s_delay_alu instid0(VALU_DEP_1) | instskip(SKIP_1) | instid1(VALU_DEP_2)
	v_sub_f32_e32 v32, v31, v34
	v_mul_f32_e32 v33, v31, v31
	v_sub_f32_e32 v27, v27, v32
	s_delay_alu instid0(VALU_DEP_2) | instskip(NEXT) | instid1(VALU_DEP_2)
	v_fma_f32 v32, v31, v31, -v33
	v_add_f32_e32 v34, v27, v27
	s_delay_alu instid0(VALU_DEP_1) | instskip(NEXT) | instid1(VALU_DEP_1)
	v_fmac_f32_e32 v32, v31, v34
	v_add_f32_e32 v34, v33, v32
	s_delay_alu instid0(VALU_DEP_1) | instskip(SKIP_2) | instid1(VALU_DEP_3)
	v_mul_f32_e32 v38, v31, v34
	v_fmaak_f32 v35, s17, v34, 0x3e91f4c4
	v_sub_f32_e32 v33, v34, v33
	v_fma_f32 v39, v34, v31, -v38
	s_delay_alu instid0(VALU_DEP_2) | instskip(NEXT) | instid1(VALU_DEP_1)
	v_dual_fmaak_f32 v35, v34, v35, 0x3ecccdef :: v_dual_sub_f32 v32, v32, v33
	v_mul_f32_e32 v36, v34, v35
	s_delay_alu instid0(VALU_DEP_3) | instskip(SKIP_1) | instid1(VALU_DEP_3)
	v_fmac_f32_e32 v39, v34, v27
	v_ldexp_f32 v27, v27, 1
	v_fma_f32 v33, v34, v35, -v36
	s_delay_alu instid0(VALU_DEP_3) | instskip(NEXT) | instid1(VALU_DEP_2)
	v_fmac_f32_e32 v39, v32, v31
	v_fmac_f32_e32 v33, v32, v35
	s_delay_alu instid0(VALU_DEP_1) | instskip(NEXT) | instid1(VALU_DEP_1)
	v_dual_add_f32 v34, v38, v39 :: v_dual_add_f32 v35, v36, v33
	v_dual_sub_f32 v36, v35, v36 :: v_dual_add_f32 v37, 0x3f2aaaaa, v35
	s_delay_alu instid0(VALU_DEP_1) | instskip(NEXT) | instid1(VALU_DEP_1)
	v_dual_sub_f32 v33, v33, v36 :: v_dual_add_f32 v36, 0xbf2aaaaa, v37
	v_add_f32_e32 v33, 0x31739010, v33
	s_delay_alu instid0(VALU_DEP_2) | instskip(NEXT) | instid1(VALU_DEP_1)
	v_sub_f32_e32 v35, v35, v36
	v_add_f32_e32 v33, v33, v35
	s_delay_alu instid0(VALU_DEP_1) | instskip(NEXT) | instid1(VALU_DEP_1)
	v_add_f32_e32 v32, v37, v33
	v_sub_f32_e32 v35, v37, v32
	v_mul_f32_e32 v36, v34, v32
	v_sub_f32_e32 v37, v34, v38
	s_delay_alu instid0(VALU_DEP_3) | instskip(NEXT) | instid1(VALU_DEP_3)
	v_add_f32_e32 v33, v33, v35
	v_fma_f32 v35, v34, v32, -v36
	s_delay_alu instid0(VALU_DEP_3) | instskip(NEXT) | instid1(VALU_DEP_2)
	v_sub_f32_e32 v37, v39, v37
	v_fmac_f32_e32 v35, v34, v33
	s_delay_alu instid0(VALU_DEP_1) | instskip(NEXT) | instid1(VALU_DEP_1)
	v_fmac_f32_e32 v35, v37, v32
	v_add_f32_e32 v32, v36, v35
	s_delay_alu instid0(VALU_DEP_1) | instskip(SKIP_1) | instid1(VALU_DEP_2)
	v_dual_sub_f32 v33, v32, v36 :: v_dual_mul_f32 v36, 0x3f317218, v26
	v_ldexp_f32 v31, v31, 1
	v_sub_f32_e32 v33, v35, v33
	s_delay_alu instid0(VALU_DEP_3) | instskip(NEXT) | instid1(VALU_DEP_3)
	v_fma_f32 v35, 0x3f317218, v26, -v36
	v_add_f32_e32 v34, v31, v32
	s_delay_alu instid0(VALU_DEP_3) | instskip(NEXT) | instid1(VALU_DEP_3)
	v_add_f32_e32 v27, v27, v33
	v_fmac_f32_e32 v35, 0xb102e308, v26
	s_delay_alu instid0(VALU_DEP_3) | instskip(NEXT) | instid1(VALU_DEP_1)
	v_sub_f32_e32 v31, v34, v31
	v_sub_f32_e32 v31, v32, v31
	s_delay_alu instid0(VALU_DEP_1) | instskip(NEXT) | instid1(VALU_DEP_4)
	v_add_f32_e32 v26, v27, v31
	v_add_f32_e32 v27, v36, v35
	s_delay_alu instid0(VALU_DEP_1) | instskip(NEXT) | instid1(VALU_DEP_1)
	v_dual_add_f32 v31, v34, v26 :: v_dual_sub_f32 v36, v27, v36
	v_add_f32_e32 v32, v27, v31
	v_sub_f32_e32 v34, v31, v34
	s_delay_alu instid0(VALU_DEP_3) | instskip(NEXT) | instid1(VALU_DEP_2)
	v_sub_f32_e32 v35, v35, v36
	v_dual_sub_f32 v33, v32, v27 :: v_dual_sub_f32 v26, v26, v34
	s_delay_alu instid0(VALU_DEP_1) | instskip(SKIP_1) | instid1(VALU_DEP_3)
	v_sub_f32_e32 v37, v32, v33
	v_sub_f32_e32 v31, v31, v33
	v_add_f32_e32 v33, v35, v26
	s_delay_alu instid0(VALU_DEP_3) | instskip(NEXT) | instid1(VALU_DEP_1)
	v_sub_f32_e32 v27, v27, v37
	v_add_f32_e32 v27, v31, v27
	s_delay_alu instid0(VALU_DEP_3) | instskip(NEXT) | instid1(VALU_DEP_2)
	v_sub_f32_e32 v31, v33, v35
	v_add_f32_e32 v27, v33, v27
	s_delay_alu instid0(VALU_DEP_2) | instskip(SKIP_1) | instid1(VALU_DEP_2)
	v_sub_f32_e32 v33, v33, v31
	v_sub_f32_e32 v26, v26, v31
	v_dual_add_f32 v34, v32, v27 :: v_dual_sub_f32 v31, v35, v33
	s_delay_alu instid0(VALU_DEP_1) | instskip(NEXT) | instid1(VALU_DEP_1)
	v_sub_f32_e32 v32, v34, v32
	v_dual_add_f32 v26, v26, v31 :: v_dual_sub_f32 v27, v27, v32
	s_delay_alu instid0(VALU_DEP_1) | instskip(NEXT) | instid1(VALU_DEP_1)
	v_add_f32_e32 v26, v26, v27
	v_add_f32_e32 v27, v34, v26
	s_delay_alu instid0(VALU_DEP_1) | instskip(NEXT) | instid1(VALU_DEP_1)
	v_dual_sub_f32 v31, v27, v34 :: v_dual_mul_f32 v32, v28, v27
	v_sub_f32_e32 v26, v26, v31
	s_delay_alu instid0(VALU_DEP_2) | instskip(SKIP_1) | instid1(VALU_DEP_2)
	v_fma_f32 v27, v28, v27, -v32
	v_cmp_class_f32_e64 s5, v32, 0x204
	v_fmac_f32_e32 v27, v28, v26
	s_delay_alu instid0(VALU_DEP_1) | instskip(NEXT) | instid1(VALU_DEP_1)
	v_add_f32_e32 v26, v32, v27
	v_cndmask_b32_e64 v31, v26, v32, s5
	v_sub_f32_e32 v26, v26, v32
	s_delay_alu instid0(VALU_DEP_2) | instskip(NEXT) | instid1(VALU_DEP_2)
	v_cmp_eq_f32_e64 s5, 0x42b17218, v31
	v_sub_f32_e32 v26, v27, v26
	v_trunc_f32_e32 v27, v28
	s_delay_alu instid0(VALU_DEP_3) | instskip(SKIP_1) | instid1(VALU_DEP_2)
	v_cndmask_b32_e64 v33, 0, 0x37000000, s5
	v_cmp_neq_f32_e64 s5, 0x7f800000, |v31|
	v_sub_f32_e32 v34, v31, v33
	s_delay_alu instid0(VALU_DEP_2) | instskip(NEXT) | instid1(VALU_DEP_2)
	v_cndmask_b32_e64 v26, 0, v26, s5
	v_mul_f32_e32 v35, 0x3fb8aa3b, v34
	s_delay_alu instid0(VALU_DEP_2) | instskip(SKIP_2) | instid1(VALU_DEP_4)
	v_add_f32_e32 v26, v33, v26
	v_cmp_ngt_f32_e64 s5, 0xc2ce8ed0, v34
	v_cmp_nlt_f32_e64 s6, 0x42b17218, v34
	v_fma_f32 v36, 0x3fb8aa3b, v34, -v35
	v_rndne_f32_e32 v37, v35
	s_delay_alu instid0(VALU_DEP_1) | instskip(SKIP_1) | instid1(VALU_DEP_2)
	v_dual_fmac_f32 v36, 0x32a5705f, v34 :: v_dual_sub_f32 v35, v35, v37
	v_cvt_i32_f32_e32 v32, v37
	v_add_f32_e32 v35, v35, v36
	s_delay_alu instid0(VALU_DEP_1) | instskip(SKIP_3) | instid1(VALU_DEP_2)
	v_exp_f32_e32 v35, v35
	s_waitcnt_depctr 0xfff
	v_ldexp_f32 v32, v35, v32
	v_mul_f32_e32 v35, 0.5, v28
	v_cndmask_b32_e64 v31, 0, v32, s5
	s_delay_alu instid0(VALU_DEP_2) | instskip(SKIP_1) | instid1(VALU_DEP_3)
	v_trunc_f32_e32 v32, v35
	v_cmp_eq_f32_e64 s5, v27, v28
	v_cndmask_b32_e64 v27, 0x7f800000, v31, s6
	s_delay_alu instid0(VALU_DEP_3) | instskip(SKIP_1) | instid1(VALU_DEP_3)
	v_cmp_neq_f32_e64 s6, v32, v35
	v_cndmask_b32_e64 v31, |s29|, 1.0, s4
	v_fma_f32 v26, v27, v26, v27
	s_delay_alu instid0(VALU_DEP_3) | instskip(SKIP_4) | instid1(VALU_DEP_1)
	s_and_b32 s4, s5, s6
	v_cmp_gt_f32_e64 s6, 1.0, v30
	v_cndmask_b32_e64 v32, 0, v29, s4
	v_cndmask_b32_e64 v33, 1.0, v29, s4
	v_cmp_class_f32_e64 s4, v27, 0x204
	v_cndmask_b32_e64 v26, v26, v27, s4
	v_cmp_neq_f32_e64 s4, v28, v31
	s_delay_alu instid0(VALU_DEP_2) | instskip(NEXT) | instid1(VALU_DEP_2)
	v_bfi_b32 v26, 0x7fffffff, v26, v33
	s_xor_b32 s4, s4, s6
	s_delay_alu instid0(SALU_CYCLE_1) | instskip(SKIP_1) | instid1(VALU_DEP_2)
	v_cndmask_b32_e64 v27, v31, 0, s4
	s_xor_b32 s4, s7, s8
	v_cndmask_b32_e64 v33, 0x7fc00000, v26, s5
	v_cndmask_b32_e64 v34, 0x7f800000, 0, s4
	v_cmp_eq_f32_e64 s4, 1.0, v30
	v_cmp_eq_f32_e64 s5, 0x7f800000, v31
	s_delay_alu instid0(VALU_DEP_2) | instskip(SKIP_1) | instid1(VALU_DEP_1)
	v_cndmask_b32_e64 v27, v27, v30, s4
	v_cmp_gt_f32_e64 s4, 0, v29
	v_cndmask_b32_e64 v26, v26, v33, s4
	v_cmp_eq_f32_e64 s4, 0x7f800000, v30
	v_bfi_b32 v30, 0x7fffffff, v34, v32
	s_delay_alu instid0(VALU_DEP_3) | instskip(NEXT) | instid1(VALU_DEP_3)
	v_cndmask_b32_e64 v26, v26, v27, s5
	s_or_b32 s4, s4, s8
	s_delay_alu instid0(VALU_DEP_1) | instid1(SALU_CYCLE_1)
	v_cndmask_b32_e64 v26, v26, v30, s4
	v_cmp_o_f32_e64 s4, v29, v28
	s_delay_alu instid0(VALU_DEP_1) | instskip(NEXT) | instid1(VALU_DEP_1)
	v_cndmask_b32_e64 v28, 0x7fc00000, v26, s4
	v_bfe_u32 v26, v28, 16, 1
	s_delay_alu instid0(VALU_DEP_1) | instskip(NEXT) | instid1(VALU_DEP_1)
	v_add3_u32 v26, v28, v26, 0x7fff
	v_lshrrev_b32_e32 v29, 16, v26
	v_add_co_u32 v26, s4, v3, s10
	s_delay_alu instid0(VALU_DEP_1) | instskip(SKIP_1) | instid1(VALU_DEP_1)
	v_add_co_ci_u32_e64 v27, s4, s11, v4, s4
	v_cmp_o_f32_e64 s4, v28, v28
	v_cndmask_b32_e64 v28, 0x7fc0, v29, s4
	global_store_b16 v[26:27], v28, off
	s_or_b32 exec_lo, exec_lo, s18
	s_and_saveexec_b32 s8, s3
	s_cbranch_execz .LBB95_13
.LBB95_17:                              ;   in Loop: Header=BB95_4 Depth=1
	s_waitcnt vmcnt(0)
	v_lshlrev_b32_e32 v27, 16, v25
	s_delay_alu instid0(VALU_DEP_1) | instskip(NEXT) | instid1(VALU_DEP_1)
	v_cmp_eq_f32_e64 s4, 1.0, v27
	v_cndmask_b32_e64 v28, s29, 1.0, s4
	s_delay_alu instid0(VALU_DEP_1) | instskip(NEXT) | instid1(VALU_DEP_1)
	v_cmp_eq_f32_e64 s3, 0, v28
	v_cndmask_b32_e64 v29, |v27|, 1.0, s3
	s_delay_alu instid0(VALU_DEP_1) | instskip(SKIP_1) | instid1(VALU_DEP_2)
	v_frexp_mant_f32_e32 v25, v29
	v_cmp_gt_f32_e64 s6, 1.0, v29
	v_cmp_gt_f32_e64 s5, 0x3f2aaaab, v25
	s_delay_alu instid0(VALU_DEP_1) | instskip(NEXT) | instid1(VALU_DEP_1)
	v_cndmask_b32_e64 v26, 1.0, 2.0, s5
	v_mul_f32_e32 v25, v25, v26
	s_delay_alu instid0(VALU_DEP_1) | instskip(SKIP_1) | instid1(VALU_DEP_2)
	v_add_f32_e32 v26, 1.0, v25
	v_add_f32_e32 v31, -1.0, v25
	v_rcp_f32_e32 v30, v26
	s_waitcnt_depctr 0xfff
	v_mul_f32_e32 v32, v31, v30
	s_delay_alu instid0(VALU_DEP_1) | instskip(NEXT) | instid1(VALU_DEP_1)
	v_dual_add_f32 v33, -1.0, v26 :: v_dual_mul_f32 v34, v26, v32
	v_sub_f32_e32 v25, v25, v33
	s_delay_alu instid0(VALU_DEP_2) | instskip(NEXT) | instid1(VALU_DEP_1)
	v_fma_f32 v26, v32, v26, -v34
	v_fmac_f32_e32 v26, v32, v25
	s_delay_alu instid0(VALU_DEP_1) | instskip(NEXT) | instid1(VALU_DEP_1)
	v_add_f32_e32 v25, v34, v26
	v_dual_sub_f32 v34, v25, v34 :: v_dual_sub_f32 v33, v31, v25
	s_delay_alu instid0(VALU_DEP_1) | instskip(NEXT) | instid1(VALU_DEP_1)
	v_dual_sub_f32 v26, v34, v26 :: v_dual_sub_f32 v31, v31, v33
	v_sub_f32_e32 v25, v31, v25
	s_delay_alu instid0(VALU_DEP_1) | instskip(NEXT) | instid1(VALU_DEP_1)
	v_add_f32_e32 v25, v26, v25
	v_add_f32_e32 v25, v33, v25
	s_delay_alu instid0(VALU_DEP_1) | instskip(NEXT) | instid1(VALU_DEP_1)
	v_mul_f32_e32 v25, v30, v25
	v_add_f32_e32 v30, v32, v25
	s_delay_alu instid0(VALU_DEP_1) | instskip(SKIP_1) | instid1(VALU_DEP_2)
	v_sub_f32_e32 v26, v30, v32
	v_mul_f32_e32 v31, v30, v30
	v_sub_f32_e32 v32, v25, v26
	s_delay_alu instid0(VALU_DEP_2) | instskip(NEXT) | instid1(VALU_DEP_2)
	v_fma_f32 v33, v30, v30, -v31
	v_add_f32_e32 v25, v32, v32
	s_delay_alu instid0(VALU_DEP_1) | instskip(SKIP_1) | instid1(VALU_DEP_2)
	v_fmac_f32_e32 v33, v30, v25
	v_cvt_f64_f32_e32 v[25:26], v29
	v_add_f32_e32 v34, v31, v33
	s_delay_alu instid0(VALU_DEP_1) | instskip(SKIP_2) | instid1(VALU_DEP_3)
	v_fmaak_f32 v35, s17, v34, 0x3e91f4c4
	v_sub_f32_e32 v31, v34, v31
	v_mul_f32_e32 v38, v30, v34
	v_fmaak_f32 v35, v34, v35, 0x3ecccdef
	s_delay_alu instid0(VALU_DEP_3) | instskip(NEXT) | instid1(VALU_DEP_2)
	v_sub_f32_e32 v31, v33, v31
	v_mul_f32_e32 v36, v34, v35
	s_delay_alu instid0(VALU_DEP_1) | instskip(NEXT) | instid1(VALU_DEP_1)
	v_fma_f32 v33, v34, v35, -v36
	v_fmac_f32_e32 v33, v31, v35
	s_delay_alu instid0(VALU_DEP_1) | instskip(SKIP_1) | instid1(VALU_DEP_2)
	v_add_f32_e32 v35, v36, v33
	v_frexp_exp_i32_f64_e32 v25, v[25:26]
	v_sub_f32_e32 v36, v35, v36
	s_delay_alu instid0(VALU_DEP_1) | instskip(SKIP_1) | instid1(VALU_DEP_2)
	v_sub_f32_e32 v26, v33, v36
	v_fma_f32 v36, v34, v30, -v38
	v_add_f32_e32 v26, 0x31739010, v26
	s_delay_alu instid0(VALU_DEP_2) | instskip(SKIP_1) | instid1(VALU_DEP_2)
	v_dual_add_f32 v37, 0x3f2aaaaa, v35 :: v_dual_fmac_f32 v36, v34, v32
	v_ldexp_f32 v32, v32, 1
	v_dual_add_f32 v33, 0xbf2aaaaa, v37 :: v_dual_fmac_f32 v36, v31, v30
	s_delay_alu instid0(VALU_DEP_1) | instskip(NEXT) | instid1(VALU_DEP_1)
	v_sub_f32_e32 v33, v35, v33
	v_add_f32_e32 v26, v26, v33
	s_delay_alu instid0(VALU_DEP_3) | instskip(NEXT) | instid1(VALU_DEP_2)
	v_add_f32_e32 v33, v38, v36
	v_add_f32_e32 v31, v37, v26
	s_delay_alu instid0(VALU_DEP_1) | instskip(NEXT) | instid1(VALU_DEP_3)
	v_sub_f32_e32 v34, v37, v31
	v_mul_f32_e32 v35, v33, v31
	v_subrev_co_ci_u32_e64 v25, s5, 0, v25, s5
	s_delay_alu instid0(VALU_DEP_3) | instskip(NEXT) | instid1(VALU_DEP_3)
	v_add_f32_e32 v26, v26, v34
	v_fma_f32 v34, v33, v31, -v35
	s_delay_alu instid0(VALU_DEP_3) | instskip(SKIP_1) | instid1(VALU_DEP_3)
	v_cvt_f32_i32_e32 v25, v25
	v_sub_f32_e32 v37, v33, v38
	v_fmac_f32_e32 v34, v33, v26
	v_ldexp_f32 v26, v30, 1
	s_delay_alu instid0(VALU_DEP_3) | instskip(NEXT) | instid1(VALU_DEP_1)
	v_sub_f32_e32 v36, v36, v37
	v_fmac_f32_e32 v34, v36, v31
	s_delay_alu instid0(VALU_DEP_1) | instskip(NEXT) | instid1(VALU_DEP_1)
	v_add_f32_e32 v30, v35, v34
	v_add_f32_e32 v31, v26, v30
	s_delay_alu instid0(VALU_DEP_1) | instskip(NEXT) | instid1(VALU_DEP_1)
	v_dual_sub_f32 v26, v31, v26 :: v_dual_sub_f32 v33, v30, v35
	v_dual_mul_f32 v35, 0x3f317218, v25 :: v_dual_sub_f32 v26, v30, v26
	s_delay_alu instid0(VALU_DEP_2) | instskip(NEXT) | instid1(VALU_DEP_2)
	v_sub_f32_e32 v33, v34, v33
	v_fma_f32 v34, 0x3f317218, v25, -v35
	s_delay_alu instid0(VALU_DEP_2) | instskip(NEXT) | instid1(VALU_DEP_1)
	v_add_f32_e32 v30, v32, v33
	v_dual_fmac_f32 v34, 0xb102e308, v25 :: v_dual_add_f32 v25, v30, v26
	s_delay_alu instid0(VALU_DEP_1) | instskip(NEXT) | instid1(VALU_DEP_2)
	v_add_f32_e32 v26, v35, v34
	v_add_f32_e32 v30, v31, v25
	s_delay_alu instid0(VALU_DEP_1) | instskip(SKIP_1) | instid1(VALU_DEP_1)
	v_add_f32_e32 v32, v26, v30
	v_sub_f32_e32 v35, v26, v35
	v_dual_sub_f32 v33, v32, v26 :: v_dual_sub_f32 v34, v34, v35
	s_delay_alu instid0(VALU_DEP_1) | instskip(NEXT) | instid1(VALU_DEP_1)
	v_dual_sub_f32 v36, v32, v33 :: v_dual_sub_f32 v31, v30, v31
	v_dual_sub_f32 v30, v30, v33 :: v_dual_sub_f32 v25, v25, v31
	s_delay_alu instid0(VALU_DEP_2) | instskip(NEXT) | instid1(VALU_DEP_2)
	v_sub_f32_e32 v26, v26, v36
	v_add_f32_e32 v31, v34, v25
	s_delay_alu instid0(VALU_DEP_2) | instskip(NEXT) | instid1(VALU_DEP_2)
	v_add_f32_e32 v26, v30, v26
	v_sub_f32_e32 v30, v31, v34
	s_delay_alu instid0(VALU_DEP_2) | instskip(NEXT) | instid1(VALU_DEP_2)
	v_add_f32_e32 v26, v31, v26
	v_sub_f32_e32 v31, v31, v30
	s_delay_alu instid0(VALU_DEP_2) | instskip(NEXT) | instid1(VALU_DEP_2)
	v_add_f32_e32 v33, v32, v26
	v_dual_sub_f32 v25, v25, v30 :: v_dual_sub_f32 v30, v34, v31
	s_delay_alu instid0(VALU_DEP_2) | instskip(NEXT) | instid1(VALU_DEP_1)
	v_sub_f32_e32 v31, v33, v32
	v_dual_add_f32 v25, v25, v30 :: v_dual_sub_f32 v26, v26, v31
	s_delay_alu instid0(VALU_DEP_1) | instskip(NEXT) | instid1(VALU_DEP_1)
	v_add_f32_e32 v25, v25, v26
	v_add_f32_e32 v26, v33, v25
	s_delay_alu instid0(VALU_DEP_1) | instskip(NEXT) | instid1(VALU_DEP_1)
	v_dual_sub_f32 v30, v26, v33 :: v_dual_mul_f32 v31, v28, v26
	v_sub_f32_e32 v25, v25, v30
	s_delay_alu instid0(VALU_DEP_2) | instskip(SKIP_1) | instid1(VALU_DEP_2)
	v_fma_f32 v26, v28, v26, -v31
	v_cmp_class_f32_e64 s5, v31, 0x204
	v_fmac_f32_e32 v26, v28, v25
	s_delay_alu instid0(VALU_DEP_1) | instskip(NEXT) | instid1(VALU_DEP_1)
	v_add_f32_e32 v25, v31, v26
	v_cndmask_b32_e64 v30, v25, v31, s5
	s_delay_alu instid0(VALU_DEP_1) | instskip(NEXT) | instid1(VALU_DEP_1)
	v_cmp_eq_f32_e64 s5, 0x42b17218, v30
	v_cndmask_b32_e64 v32, 0, 0x37000000, s5
	v_cmp_neq_f32_e64 s5, 0x7f800000, |v30|
	s_delay_alu instid0(VALU_DEP_2) | instskip(NEXT) | instid1(VALU_DEP_1)
	v_sub_f32_e32 v33, v30, v32
	v_mul_f32_e32 v34, 0x3fb8aa3b, v33
	s_delay_alu instid0(VALU_DEP_1) | instskip(SKIP_1) | instid1(VALU_DEP_1)
	v_fma_f32 v35, 0x3fb8aa3b, v33, -v34
	v_rndne_f32_e32 v36, v34
	v_dual_fmac_f32 v35, 0x32a5705f, v33 :: v_dual_sub_f32 v34, v34, v36
	v_sub_f32_e32 v25, v25, v31
	v_cvt_i32_f32_e32 v31, v36
	s_delay_alu instid0(VALU_DEP_3) | instskip(NEXT) | instid1(VALU_DEP_3)
	v_add_f32_e32 v34, v34, v35
	v_sub_f32_e32 v25, v26, v25
	v_trunc_f32_e32 v26, v28
	s_delay_alu instid0(VALU_DEP_3) | instskip(NEXT) | instid1(VALU_DEP_2)
	v_exp_f32_e32 v34, v34
	v_cndmask_b32_e64 v25, 0, v25, s5
	v_cmp_ngt_f32_e64 s5, 0xc2ce8ed0, v33
	s_delay_alu instid0(VALU_DEP_2) | instskip(SKIP_3) | instid1(VALU_DEP_2)
	v_add_f32_e32 v25, v32, v25
	s_waitcnt_depctr 0xfff
	v_ldexp_f32 v31, v34, v31
	v_mul_f32_e32 v34, 0.5, v28
	v_cndmask_b32_e64 v30, 0, v31, s5
	v_cndmask_b32_e64 v31, |s29|, 1.0, s4
	v_cmp_nlt_f32_e64 s4, 0x42b17218, v33
	s_delay_alu instid0(VALU_DEP_4) | instskip(NEXT) | instid1(VALU_DEP_2)
	v_trunc_f32_e32 v35, v34
	v_cndmask_b32_e64 v30, 0x7f800000, v30, s4
	v_cmp_eq_f32_e64 s4, v26, v28
	s_delay_alu instid0(VALU_DEP_3)
	v_cmp_neq_f32_e64 s5, v35, v34
	v_cndmask_b32_e64 v26, v27, 1.0, s3
	v_cmp_neq_f32_e64 s3, v28, v31
	v_fma_f32 v25, v30, v25, v30
	v_cmp_class_f32_e64 s7, v30, 0x204
	s_and_b32 s5, s4, s5
	s_delay_alu instid0(SALU_CYCLE_1) | instskip(SKIP_1) | instid1(VALU_DEP_2)
	v_cndmask_b32_e64 v27, 1.0, v26, s5
	s_xor_b32 s3, s3, s6
	v_cndmask_b32_e64 v25, v25, v30, s7
	v_cmp_gt_f32_e64 s7, 0, v28
	v_cndmask_b32_e64 v30, v31, 0, s3
	v_cmp_eq_f32_e64 s3, 0, v26
	v_cmp_eq_f32_e64 s6, 1.0, v29
	v_bfi_b32 v25, 0x7fffffff, v25, v27
	v_cndmask_b32_e64 v33, 0, v26, s5
	v_cmp_eq_f32_e64 s5, 0x7f800000, v31
	s_delay_alu instid0(VALU_DEP_4) | instskip(NEXT) | instid1(VALU_DEP_4)
	v_cndmask_b32_e64 v27, v30, v29, s6
	v_cndmask_b32_e64 v30, 0x7fc00000, v25, s4
	s_xor_b32 s4, s7, s3
	s_delay_alu instid0(SALU_CYCLE_1) | instskip(SKIP_1) | instid1(VALU_DEP_1)
	v_cndmask_b32_e64 v32, 0x7f800000, 0, s4
	v_cmp_gt_f32_e64 s4, 0, v26
	v_cndmask_b32_e64 v25, v25, v30, s4
	v_cmp_eq_f32_e64 s4, 0x7f800000, v29
	s_delay_alu instid0(VALU_DEP_4) | instskip(NEXT) | instid1(VALU_DEP_3)
	v_bfi_b32 v29, 0x7fffffff, v32, v33
	v_cndmask_b32_e64 v25, v25, v27, s5
	s_delay_alu instid0(VALU_DEP_3)
	s_or_b32 s3, s4, s3
	s_delay_alu instid0(VALU_DEP_1) | instid1(SALU_CYCLE_1)
	v_cndmask_b32_e64 v25, v25, v29, s3
	v_cmp_o_f32_e64 s3, v26, v28
	s_delay_alu instid0(VALU_DEP_1) | instskip(NEXT) | instid1(VALU_DEP_1)
	v_cndmask_b32_e64 v25, 0x7fc00000, v25, s3
	v_bfe_u32 v26, v25, 16, 1
	v_cmp_o_f32_e64 s3, v25, v25
	s_delay_alu instid0(VALU_DEP_2) | instskip(NEXT) | instid1(VALU_DEP_1)
	v_add3_u32 v26, v25, v26, 0x7fff
	v_lshrrev_b32_e32 v26, 16, v26
	s_delay_alu instid0(VALU_DEP_1) | instskip(SKIP_1) | instid1(VALU_DEP_1)
	v_cndmask_b32_e64 v27, 0x7fc0, v26, s3
	v_add_co_u32 v25, s3, v21, s10
	v_add_co_ci_u32_e64 v26, s3, s11, v22, s3
	global_store_b16 v[25:26], v27, off
	s_or_b32 exec_lo, exec_lo, s8
	s_and_saveexec_b32 s7, s2
	s_cbranch_execz .LBB95_14
.LBB95_18:                              ;   in Loop: Header=BB95_4 Depth=1
	s_waitcnt vmcnt(0)
	v_lshlrev_b32_e32 v26, 16, v24
	s_delay_alu instid0(VALU_DEP_1) | instskip(NEXT) | instid1(VALU_DEP_1)
	v_cmp_eq_f32_e64 s3, 1.0, v26
	v_cndmask_b32_e64 v27, s29, 1.0, s3
	s_delay_alu instid0(VALU_DEP_1) | instskip(NEXT) | instid1(VALU_DEP_1)
	v_cmp_eq_f32_e64 s2, 0, v27
	v_cndmask_b32_e64 v28, |v26|, 1.0, s2
	s_delay_alu instid0(VALU_DEP_1) | instskip(SKIP_1) | instid1(VALU_DEP_2)
	v_frexp_mant_f32_e32 v24, v28
	v_cmp_gt_f32_e64 s5, 1.0, v28
	v_cmp_gt_f32_e64 s4, 0x3f2aaaab, v24
	s_delay_alu instid0(VALU_DEP_1) | instskip(NEXT) | instid1(VALU_DEP_1)
	v_cndmask_b32_e64 v25, 1.0, 2.0, s4
	v_mul_f32_e32 v24, v24, v25
	s_delay_alu instid0(VALU_DEP_1) | instskip(SKIP_1) | instid1(VALU_DEP_2)
	v_add_f32_e32 v25, 1.0, v24
	v_add_f32_e32 v30, -1.0, v24
	v_rcp_f32_e32 v29, v25
	s_waitcnt_depctr 0xfff
	v_mul_f32_e32 v31, v30, v29
	s_delay_alu instid0(VALU_DEP_1) | instskip(NEXT) | instid1(VALU_DEP_1)
	v_dual_add_f32 v32, -1.0, v25 :: v_dual_mul_f32 v33, v25, v31
	v_sub_f32_e32 v24, v24, v32
	s_delay_alu instid0(VALU_DEP_2) | instskip(NEXT) | instid1(VALU_DEP_1)
	v_fma_f32 v25, v31, v25, -v33
	v_fmac_f32_e32 v25, v31, v24
	s_delay_alu instid0(VALU_DEP_1) | instskip(NEXT) | instid1(VALU_DEP_1)
	v_add_f32_e32 v24, v33, v25
	v_dual_sub_f32 v33, v24, v33 :: v_dual_sub_f32 v32, v30, v24
	s_delay_alu instid0(VALU_DEP_1) | instskip(NEXT) | instid1(VALU_DEP_1)
	v_dual_sub_f32 v25, v33, v25 :: v_dual_sub_f32 v30, v30, v32
	v_sub_f32_e32 v24, v30, v24
	s_delay_alu instid0(VALU_DEP_1) | instskip(NEXT) | instid1(VALU_DEP_1)
	v_add_f32_e32 v24, v25, v24
	v_add_f32_e32 v24, v32, v24
	s_delay_alu instid0(VALU_DEP_1) | instskip(NEXT) | instid1(VALU_DEP_1)
	v_mul_f32_e32 v24, v29, v24
	v_add_f32_e32 v29, v31, v24
	s_delay_alu instid0(VALU_DEP_1) | instskip(SKIP_1) | instid1(VALU_DEP_2)
	v_sub_f32_e32 v25, v29, v31
	v_mul_f32_e32 v30, v29, v29
	v_sub_f32_e32 v31, v24, v25
	s_delay_alu instid0(VALU_DEP_2) | instskip(NEXT) | instid1(VALU_DEP_2)
	v_fma_f32 v32, v29, v29, -v30
	v_add_f32_e32 v24, v31, v31
	s_delay_alu instid0(VALU_DEP_1) | instskip(SKIP_1) | instid1(VALU_DEP_2)
	v_fmac_f32_e32 v32, v29, v24
	v_cvt_f64_f32_e32 v[24:25], v28
	v_add_f32_e32 v33, v30, v32
	s_delay_alu instid0(VALU_DEP_1) | instskip(SKIP_2) | instid1(VALU_DEP_3)
	v_fmaak_f32 v34, s17, v33, 0x3e91f4c4
	v_sub_f32_e32 v30, v33, v30
	v_mul_f32_e32 v37, v29, v33
	v_fmaak_f32 v34, v33, v34, 0x3ecccdef
	s_delay_alu instid0(VALU_DEP_3) | instskip(NEXT) | instid1(VALU_DEP_2)
	v_sub_f32_e32 v30, v32, v30
	v_mul_f32_e32 v35, v33, v34
	s_delay_alu instid0(VALU_DEP_1) | instskip(NEXT) | instid1(VALU_DEP_1)
	v_fma_f32 v32, v33, v34, -v35
	v_fmac_f32_e32 v32, v30, v34
	s_delay_alu instid0(VALU_DEP_1) | instskip(SKIP_1) | instid1(VALU_DEP_2)
	v_add_f32_e32 v34, v35, v32
	v_frexp_exp_i32_f64_e32 v24, v[24:25]
	v_sub_f32_e32 v35, v34, v35
	s_delay_alu instid0(VALU_DEP_1) | instskip(SKIP_1) | instid1(VALU_DEP_2)
	v_sub_f32_e32 v25, v32, v35
	v_fma_f32 v35, v33, v29, -v37
	v_add_f32_e32 v25, 0x31739010, v25
	s_delay_alu instid0(VALU_DEP_2) | instskip(SKIP_1) | instid1(VALU_DEP_2)
	v_dual_add_f32 v36, 0x3f2aaaaa, v34 :: v_dual_fmac_f32 v35, v33, v31
	v_ldexp_f32 v31, v31, 1
	v_dual_add_f32 v32, 0xbf2aaaaa, v36 :: v_dual_fmac_f32 v35, v30, v29
	s_delay_alu instid0(VALU_DEP_1) | instskip(NEXT) | instid1(VALU_DEP_1)
	v_sub_f32_e32 v32, v34, v32
	v_add_f32_e32 v25, v25, v32
	s_delay_alu instid0(VALU_DEP_3) | instskip(NEXT) | instid1(VALU_DEP_2)
	v_add_f32_e32 v32, v37, v35
	v_add_f32_e32 v30, v36, v25
	s_delay_alu instid0(VALU_DEP_1) | instskip(NEXT) | instid1(VALU_DEP_3)
	v_sub_f32_e32 v33, v36, v30
	v_mul_f32_e32 v34, v32, v30
	v_subrev_co_ci_u32_e64 v24, s4, 0, v24, s4
	s_delay_alu instid0(VALU_DEP_3) | instskip(NEXT) | instid1(VALU_DEP_3)
	v_add_f32_e32 v25, v25, v33
	v_fma_f32 v33, v32, v30, -v34
	s_delay_alu instid0(VALU_DEP_3) | instskip(SKIP_1) | instid1(VALU_DEP_3)
	v_cvt_f32_i32_e32 v24, v24
	v_sub_f32_e32 v36, v32, v37
	v_fmac_f32_e32 v33, v32, v25
	v_ldexp_f32 v25, v29, 1
	s_delay_alu instid0(VALU_DEP_3) | instskip(NEXT) | instid1(VALU_DEP_1)
	v_sub_f32_e32 v35, v35, v36
	v_fmac_f32_e32 v33, v35, v30
	s_delay_alu instid0(VALU_DEP_1) | instskip(NEXT) | instid1(VALU_DEP_1)
	v_add_f32_e32 v29, v34, v33
	v_add_f32_e32 v30, v25, v29
	s_delay_alu instid0(VALU_DEP_1) | instskip(NEXT) | instid1(VALU_DEP_1)
	v_dual_sub_f32 v25, v30, v25 :: v_dual_sub_f32 v32, v29, v34
	v_dual_mul_f32 v34, 0x3f317218, v24 :: v_dual_sub_f32 v25, v29, v25
	s_delay_alu instid0(VALU_DEP_2) | instskip(NEXT) | instid1(VALU_DEP_2)
	v_sub_f32_e32 v32, v33, v32
	v_fma_f32 v33, 0x3f317218, v24, -v34
	s_delay_alu instid0(VALU_DEP_2) | instskip(NEXT) | instid1(VALU_DEP_1)
	v_add_f32_e32 v29, v31, v32
	v_dual_fmac_f32 v33, 0xb102e308, v24 :: v_dual_add_f32 v24, v29, v25
	s_delay_alu instid0(VALU_DEP_1) | instskip(NEXT) | instid1(VALU_DEP_2)
	v_add_f32_e32 v25, v34, v33
	v_add_f32_e32 v29, v30, v24
	s_delay_alu instid0(VALU_DEP_1) | instskip(SKIP_1) | instid1(VALU_DEP_1)
	v_add_f32_e32 v31, v25, v29
	v_sub_f32_e32 v34, v25, v34
	v_dual_sub_f32 v32, v31, v25 :: v_dual_sub_f32 v33, v33, v34
	s_delay_alu instid0(VALU_DEP_1) | instskip(NEXT) | instid1(VALU_DEP_1)
	v_dual_sub_f32 v35, v31, v32 :: v_dual_sub_f32 v30, v29, v30
	v_dual_sub_f32 v29, v29, v32 :: v_dual_sub_f32 v24, v24, v30
	s_delay_alu instid0(VALU_DEP_2) | instskip(NEXT) | instid1(VALU_DEP_2)
	v_sub_f32_e32 v25, v25, v35
	v_add_f32_e32 v30, v33, v24
	s_delay_alu instid0(VALU_DEP_2) | instskip(NEXT) | instid1(VALU_DEP_2)
	v_add_f32_e32 v25, v29, v25
	v_sub_f32_e32 v29, v30, v33
	s_delay_alu instid0(VALU_DEP_2) | instskip(NEXT) | instid1(VALU_DEP_2)
	v_add_f32_e32 v25, v30, v25
	v_sub_f32_e32 v30, v30, v29
	s_delay_alu instid0(VALU_DEP_2) | instskip(NEXT) | instid1(VALU_DEP_2)
	v_add_f32_e32 v32, v31, v25
	v_dual_sub_f32 v24, v24, v29 :: v_dual_sub_f32 v29, v33, v30
	s_delay_alu instid0(VALU_DEP_2) | instskip(NEXT) | instid1(VALU_DEP_1)
	v_sub_f32_e32 v30, v32, v31
	v_dual_add_f32 v24, v24, v29 :: v_dual_sub_f32 v25, v25, v30
	s_delay_alu instid0(VALU_DEP_1) | instskip(NEXT) | instid1(VALU_DEP_1)
	v_add_f32_e32 v24, v24, v25
	v_add_f32_e32 v25, v32, v24
	s_delay_alu instid0(VALU_DEP_1) | instskip(NEXT) | instid1(VALU_DEP_1)
	v_dual_sub_f32 v29, v25, v32 :: v_dual_mul_f32 v30, v27, v25
	v_sub_f32_e32 v24, v24, v29
	s_delay_alu instid0(VALU_DEP_2) | instskip(SKIP_1) | instid1(VALU_DEP_2)
	v_fma_f32 v25, v27, v25, -v30
	v_cmp_class_f32_e64 s4, v30, 0x204
	v_fmac_f32_e32 v25, v27, v24
	s_delay_alu instid0(VALU_DEP_1) | instskip(NEXT) | instid1(VALU_DEP_1)
	v_add_f32_e32 v24, v30, v25
	v_cndmask_b32_e64 v29, v24, v30, s4
	s_delay_alu instid0(VALU_DEP_1) | instskip(NEXT) | instid1(VALU_DEP_1)
	v_cmp_eq_f32_e64 s4, 0x42b17218, v29
	v_cndmask_b32_e64 v31, 0, 0x37000000, s4
	v_cmp_neq_f32_e64 s4, 0x7f800000, |v29|
	s_delay_alu instid0(VALU_DEP_2) | instskip(NEXT) | instid1(VALU_DEP_1)
	v_sub_f32_e32 v32, v29, v31
	v_mul_f32_e32 v33, 0x3fb8aa3b, v32
	s_delay_alu instid0(VALU_DEP_1) | instskip(SKIP_1) | instid1(VALU_DEP_1)
	v_fma_f32 v34, 0x3fb8aa3b, v32, -v33
	v_rndne_f32_e32 v35, v33
	v_dual_fmac_f32 v34, 0x32a5705f, v32 :: v_dual_sub_f32 v33, v33, v35
	v_sub_f32_e32 v24, v24, v30
	v_cvt_i32_f32_e32 v30, v35
	s_delay_alu instid0(VALU_DEP_3) | instskip(NEXT) | instid1(VALU_DEP_3)
	v_add_f32_e32 v33, v33, v34
	v_sub_f32_e32 v24, v25, v24
	v_trunc_f32_e32 v25, v27
	s_delay_alu instid0(VALU_DEP_3) | instskip(NEXT) | instid1(VALU_DEP_2)
	v_exp_f32_e32 v33, v33
	v_cndmask_b32_e64 v24, 0, v24, s4
	v_cmp_ngt_f32_e64 s4, 0xc2ce8ed0, v32
	s_delay_alu instid0(VALU_DEP_2) | instskip(SKIP_3) | instid1(VALU_DEP_2)
	v_add_f32_e32 v24, v31, v24
	s_waitcnt_depctr 0xfff
	v_ldexp_f32 v30, v33, v30
	v_mul_f32_e32 v33, 0.5, v27
	v_cndmask_b32_e64 v29, 0, v30, s4
	v_cndmask_b32_e64 v30, |s29|, 1.0, s3
	v_cmp_nlt_f32_e64 s3, 0x42b17218, v32
	s_delay_alu instid0(VALU_DEP_4) | instskip(NEXT) | instid1(VALU_DEP_2)
	v_trunc_f32_e32 v34, v33
	v_cndmask_b32_e64 v29, 0x7f800000, v29, s3
	v_cmp_eq_f32_e64 s3, v25, v27
	s_delay_alu instid0(VALU_DEP_3)
	v_cmp_neq_f32_e64 s4, v34, v33
	v_cndmask_b32_e64 v25, v26, 1.0, s2
	v_cmp_neq_f32_e64 s2, v27, v30
	v_fma_f32 v24, v29, v24, v29
	v_cmp_class_f32_e64 s6, v29, 0x204
	s_and_b32 s4, s3, s4
	s_delay_alu instid0(SALU_CYCLE_1) | instskip(SKIP_1) | instid1(VALU_DEP_2)
	v_cndmask_b32_e64 v26, 1.0, v25, s4
	s_xor_b32 s2, s2, s5
	v_cndmask_b32_e64 v24, v24, v29, s6
	v_cmp_gt_f32_e64 s6, 0, v27
	v_cndmask_b32_e64 v29, v30, 0, s2
	v_cmp_eq_f32_e64 s2, 0, v25
	v_cmp_eq_f32_e64 s5, 1.0, v28
	v_bfi_b32 v24, 0x7fffffff, v24, v26
	v_cndmask_b32_e64 v32, 0, v25, s4
	v_cmp_eq_f32_e64 s4, 0x7f800000, v30
	s_delay_alu instid0(VALU_DEP_4) | instskip(NEXT) | instid1(VALU_DEP_4)
	v_cndmask_b32_e64 v26, v29, v28, s5
	v_cndmask_b32_e64 v29, 0x7fc00000, v24, s3
	s_xor_b32 s3, s6, s2
	s_delay_alu instid0(SALU_CYCLE_1) | instskip(SKIP_1) | instid1(VALU_DEP_1)
	v_cndmask_b32_e64 v31, 0x7f800000, 0, s3
	v_cmp_gt_f32_e64 s3, 0, v25
	v_cndmask_b32_e64 v24, v24, v29, s3
	v_cmp_eq_f32_e64 s3, 0x7f800000, v28
	s_delay_alu instid0(VALU_DEP_4) | instskip(NEXT) | instid1(VALU_DEP_3)
	v_bfi_b32 v28, 0x7fffffff, v31, v32
	v_cndmask_b32_e64 v24, v24, v26, s4
	s_delay_alu instid0(VALU_DEP_3)
	s_or_b32 s2, s3, s2
	s_delay_alu instid0(VALU_DEP_1) | instid1(SALU_CYCLE_1)
	v_cndmask_b32_e64 v24, v24, v28, s2
	v_cmp_o_f32_e64 s2, v25, v27
	s_delay_alu instid0(VALU_DEP_1) | instskip(NEXT) | instid1(VALU_DEP_1)
	v_cndmask_b32_e64 v24, 0x7fc00000, v24, s2
	v_bfe_u32 v25, v24, 16, 1
	v_cmp_o_f32_e64 s2, v24, v24
	s_delay_alu instid0(VALU_DEP_2) | instskip(NEXT) | instid1(VALU_DEP_1)
	v_add3_u32 v25, v24, v25, 0x7fff
	v_lshrrev_b32_e32 v25, 16, v25
	s_delay_alu instid0(VALU_DEP_1) | instskip(SKIP_1) | instid1(VALU_DEP_1)
	v_cndmask_b32_e64 v26, 0x7fc0, v25, s2
	v_add_co_u32 v24, s2, v14, s10
	v_add_co_ci_u32_e64 v25, s2, s11, v15, s2
	global_store_b16 v[24:25], v26, off
	s_or_b32 exec_lo, exec_lo, s7
	s_and_saveexec_b32 s6, vcc_lo
	s_cbranch_execz .LBB95_3
.LBB95_19:                              ;   in Loop: Header=BB95_4 Depth=1
	s_waitcnt vmcnt(0)
	v_lshlrev_b32_e32 v25, 16, v23
	s_delay_alu instid0(VALU_DEP_1) | instskip(NEXT) | instid1(VALU_DEP_1)
	v_cmp_eq_f32_e64 s2, 1.0, v25
	v_cndmask_b32_e64 v26, s29, 1.0, s2
	s_delay_alu instid0(VALU_DEP_1) | instskip(SKIP_1) | instid1(VALU_DEP_1)
	v_cmp_eq_f32_e32 vcc_lo, 0, v26
	v_cndmask_b32_e64 v27, |v25|, 1.0, vcc_lo
	v_frexp_mant_f32_e32 v23, v27
	v_cmp_gt_f32_e64 s4, 1.0, v27
	s_delay_alu instid0(VALU_DEP_2) | instskip(NEXT) | instid1(VALU_DEP_1)
	v_cmp_gt_f32_e64 s3, 0x3f2aaaab, v23
	v_cndmask_b32_e64 v24, 1.0, 2.0, s3
	s_delay_alu instid0(VALU_DEP_1) | instskip(NEXT) | instid1(VALU_DEP_1)
	v_mul_f32_e32 v23, v23, v24
	v_add_f32_e32 v24, 1.0, v23
	v_add_f32_e32 v29, -1.0, v23
	s_delay_alu instid0(VALU_DEP_2) | instskip(SKIP_2) | instid1(VALU_DEP_1)
	v_rcp_f32_e32 v28, v24
	s_waitcnt_depctr 0xfff
	v_mul_f32_e32 v30, v29, v28
	v_dual_add_f32 v31, -1.0, v24 :: v_dual_mul_f32 v32, v24, v30
	s_delay_alu instid0(VALU_DEP_1) | instskip(NEXT) | instid1(VALU_DEP_2)
	v_sub_f32_e32 v23, v23, v31
	v_fma_f32 v24, v30, v24, -v32
	s_delay_alu instid0(VALU_DEP_1) | instskip(NEXT) | instid1(VALU_DEP_1)
	v_fmac_f32_e32 v24, v30, v23
	v_add_f32_e32 v23, v32, v24
	s_delay_alu instid0(VALU_DEP_1) | instskip(NEXT) | instid1(VALU_DEP_1)
	v_dual_sub_f32 v32, v23, v32 :: v_dual_sub_f32 v31, v29, v23
	v_dual_sub_f32 v24, v32, v24 :: v_dual_sub_f32 v29, v29, v31
	s_delay_alu instid0(VALU_DEP_1) | instskip(NEXT) | instid1(VALU_DEP_1)
	v_sub_f32_e32 v23, v29, v23
	v_add_f32_e32 v23, v24, v23
	s_delay_alu instid0(VALU_DEP_1) | instskip(NEXT) | instid1(VALU_DEP_1)
	v_add_f32_e32 v23, v31, v23
	v_mul_f32_e32 v23, v28, v23
	s_delay_alu instid0(VALU_DEP_1) | instskip(NEXT) | instid1(VALU_DEP_1)
	v_add_f32_e32 v28, v30, v23
	v_sub_f32_e32 v24, v28, v30
	v_mul_f32_e32 v29, v28, v28
	s_delay_alu instid0(VALU_DEP_2) | instskip(NEXT) | instid1(VALU_DEP_2)
	v_sub_f32_e32 v30, v23, v24
	v_fma_f32 v31, v28, v28, -v29
	s_delay_alu instid0(VALU_DEP_2) | instskip(NEXT) | instid1(VALU_DEP_1)
	v_add_f32_e32 v23, v30, v30
	v_fmac_f32_e32 v31, v28, v23
	v_cvt_f64_f32_e32 v[23:24], v27
	s_delay_alu instid0(VALU_DEP_2) | instskip(NEXT) | instid1(VALU_DEP_1)
	v_add_f32_e32 v32, v29, v31
	v_fmaak_f32 v33, s17, v32, 0x3e91f4c4
	v_sub_f32_e32 v29, v32, v29
	v_mul_f32_e32 v36, v28, v32
	s_delay_alu instid0(VALU_DEP_3) | instskip(NEXT) | instid1(VALU_DEP_3)
	v_fmaak_f32 v33, v32, v33, 0x3ecccdef
	v_sub_f32_e32 v29, v31, v29
	s_delay_alu instid0(VALU_DEP_2) | instskip(NEXT) | instid1(VALU_DEP_1)
	v_mul_f32_e32 v34, v32, v33
	v_fma_f32 v31, v32, v33, -v34
	s_delay_alu instid0(VALU_DEP_1) | instskip(NEXT) | instid1(VALU_DEP_1)
	v_fmac_f32_e32 v31, v29, v33
	v_add_f32_e32 v33, v34, v31
	v_frexp_exp_i32_f64_e32 v23, v[23:24]
	s_delay_alu instid0(VALU_DEP_2) | instskip(NEXT) | instid1(VALU_DEP_1)
	v_sub_f32_e32 v34, v33, v34
	v_sub_f32_e32 v24, v31, v34
	v_fma_f32 v34, v32, v28, -v36
	s_delay_alu instid0(VALU_DEP_2) | instskip(NEXT) | instid1(VALU_DEP_2)
	v_add_f32_e32 v24, 0x31739010, v24
	v_dual_add_f32 v35, 0x3f2aaaaa, v33 :: v_dual_fmac_f32 v34, v32, v30
	v_ldexp_f32 v30, v30, 1
	s_delay_alu instid0(VALU_DEP_2) | instskip(NEXT) | instid1(VALU_DEP_1)
	v_dual_add_f32 v31, 0xbf2aaaaa, v35 :: v_dual_fmac_f32 v34, v29, v28
	v_sub_f32_e32 v31, v33, v31
	s_delay_alu instid0(VALU_DEP_1) | instskip(NEXT) | instid1(VALU_DEP_3)
	v_add_f32_e32 v24, v24, v31
	v_add_f32_e32 v31, v36, v34
	s_delay_alu instid0(VALU_DEP_2) | instskip(NEXT) | instid1(VALU_DEP_1)
	v_add_f32_e32 v29, v35, v24
	v_sub_f32_e32 v32, v35, v29
	s_delay_alu instid0(VALU_DEP_3) | instskip(SKIP_1) | instid1(VALU_DEP_3)
	v_mul_f32_e32 v33, v31, v29
	v_subrev_co_ci_u32_e64 v23, s3, 0, v23, s3
	v_add_f32_e32 v24, v24, v32
	s_delay_alu instid0(VALU_DEP_3) | instskip(NEXT) | instid1(VALU_DEP_3)
	v_fma_f32 v32, v31, v29, -v33
	v_cvt_f32_i32_e32 v23, v23
	v_sub_f32_e32 v35, v31, v36
	s_delay_alu instid0(VALU_DEP_3) | instskip(SKIP_1) | instid1(VALU_DEP_3)
	v_fmac_f32_e32 v32, v31, v24
	v_ldexp_f32 v24, v28, 1
	v_sub_f32_e32 v34, v34, v35
	s_delay_alu instid0(VALU_DEP_1) | instskip(NEXT) | instid1(VALU_DEP_1)
	v_fmac_f32_e32 v32, v34, v29
	v_add_f32_e32 v28, v33, v32
	s_delay_alu instid0(VALU_DEP_1) | instskip(NEXT) | instid1(VALU_DEP_1)
	v_add_f32_e32 v29, v24, v28
	v_dual_sub_f32 v24, v29, v24 :: v_dual_sub_f32 v31, v28, v33
	s_delay_alu instid0(VALU_DEP_1) | instskip(NEXT) | instid1(VALU_DEP_2)
	v_dual_mul_f32 v33, 0x3f317218, v23 :: v_dual_sub_f32 v24, v28, v24
	v_sub_f32_e32 v31, v32, v31
	s_delay_alu instid0(VALU_DEP_2) | instskip(NEXT) | instid1(VALU_DEP_2)
	v_fma_f32 v32, 0x3f317218, v23, -v33
	v_add_f32_e32 v28, v30, v31
	s_delay_alu instid0(VALU_DEP_1) | instskip(NEXT) | instid1(VALU_DEP_1)
	v_dual_fmac_f32 v32, 0xb102e308, v23 :: v_dual_add_f32 v23, v28, v24
	v_add_f32_e32 v24, v33, v32
	s_delay_alu instid0(VALU_DEP_2) | instskip(NEXT) | instid1(VALU_DEP_1)
	v_add_f32_e32 v28, v29, v23
	v_add_f32_e32 v30, v24, v28
	v_sub_f32_e32 v33, v24, v33
	s_delay_alu instid0(VALU_DEP_1) | instskip(NEXT) | instid1(VALU_DEP_1)
	v_dual_sub_f32 v31, v30, v24 :: v_dual_sub_f32 v32, v32, v33
	v_dual_sub_f32 v34, v30, v31 :: v_dual_sub_f32 v29, v28, v29
	s_delay_alu instid0(VALU_DEP_1) | instskip(NEXT) | instid1(VALU_DEP_2)
	v_dual_sub_f32 v28, v28, v31 :: v_dual_sub_f32 v23, v23, v29
	v_sub_f32_e32 v24, v24, v34
	s_delay_alu instid0(VALU_DEP_2) | instskip(NEXT) | instid1(VALU_DEP_2)
	v_add_f32_e32 v29, v32, v23
	v_add_f32_e32 v24, v28, v24
	s_delay_alu instid0(VALU_DEP_2) | instskip(NEXT) | instid1(VALU_DEP_2)
	v_sub_f32_e32 v28, v29, v32
	v_add_f32_e32 v24, v29, v24
	s_delay_alu instid0(VALU_DEP_2) | instskip(NEXT) | instid1(VALU_DEP_2)
	v_sub_f32_e32 v29, v29, v28
	v_add_f32_e32 v31, v30, v24
	s_delay_alu instid0(VALU_DEP_2) | instskip(NEXT) | instid1(VALU_DEP_2)
	v_dual_sub_f32 v23, v23, v28 :: v_dual_sub_f32 v28, v32, v29
	v_sub_f32_e32 v29, v31, v30
	s_delay_alu instid0(VALU_DEP_1) | instskip(NEXT) | instid1(VALU_DEP_1)
	v_dual_add_f32 v23, v23, v28 :: v_dual_sub_f32 v24, v24, v29
	v_add_f32_e32 v23, v23, v24
	s_delay_alu instid0(VALU_DEP_1) | instskip(NEXT) | instid1(VALU_DEP_1)
	v_add_f32_e32 v24, v31, v23
	v_dual_sub_f32 v28, v24, v31 :: v_dual_mul_f32 v29, v26, v24
	s_delay_alu instid0(VALU_DEP_1) | instskip(NEXT) | instid1(VALU_DEP_2)
	v_sub_f32_e32 v23, v23, v28
	v_fma_f32 v24, v26, v24, -v29
	v_cmp_class_f32_e64 s3, v29, 0x204
	s_delay_alu instid0(VALU_DEP_2) | instskip(NEXT) | instid1(VALU_DEP_1)
	v_fmac_f32_e32 v24, v26, v23
	v_add_f32_e32 v23, v29, v24
	s_delay_alu instid0(VALU_DEP_1) | instskip(NEXT) | instid1(VALU_DEP_1)
	v_cndmask_b32_e64 v28, v23, v29, s3
	v_cmp_eq_f32_e64 s3, 0x42b17218, v28
	s_delay_alu instid0(VALU_DEP_1) | instskip(SKIP_1) | instid1(VALU_DEP_2)
	v_cndmask_b32_e64 v30, 0, 0x37000000, s3
	v_cmp_neq_f32_e64 s3, 0x7f800000, |v28|
	v_sub_f32_e32 v31, v28, v30
	s_delay_alu instid0(VALU_DEP_1) | instskip(NEXT) | instid1(VALU_DEP_1)
	v_mul_f32_e32 v32, 0x3fb8aa3b, v31
	v_fma_f32 v33, 0x3fb8aa3b, v31, -v32
	v_rndne_f32_e32 v34, v32
	s_delay_alu instid0(VALU_DEP_1) | instskip(SKIP_2) | instid1(VALU_DEP_3)
	v_dual_fmac_f32 v33, 0x32a5705f, v31 :: v_dual_sub_f32 v32, v32, v34
	v_sub_f32_e32 v23, v23, v29
	v_cvt_i32_f32_e32 v29, v34
	v_add_f32_e32 v32, v32, v33
	s_delay_alu instid0(VALU_DEP_3) | instskip(SKIP_1) | instid1(VALU_DEP_3)
	v_sub_f32_e32 v23, v24, v23
	v_trunc_f32_e32 v24, v26
	v_exp_f32_e32 v32, v32
	s_delay_alu instid0(VALU_DEP_2) | instskip(SKIP_1) | instid1(VALU_DEP_2)
	v_cndmask_b32_e64 v23, 0, v23, s3
	v_cmp_ngt_f32_e64 s3, 0xc2ce8ed0, v31
	v_add_f32_e32 v23, v30, v23
	s_waitcnt_depctr 0xfff
	v_ldexp_f32 v29, v32, v29
	v_mul_f32_e32 v32, 0.5, v26
	s_delay_alu instid0(VALU_DEP_2) | instskip(SKIP_2) | instid1(VALU_DEP_4)
	v_cndmask_b32_e64 v28, 0, v29, s3
	v_cndmask_b32_e64 v29, |s29|, 1.0, s2
	v_cmp_nlt_f32_e64 s2, 0x42b17218, v31
	v_trunc_f32_e32 v33, v32
	s_delay_alu instid0(VALU_DEP_2) | instskip(SKIP_1) | instid1(VALU_DEP_3)
	v_cndmask_b32_e64 v28, 0x7f800000, v28, s2
	v_cmp_eq_f32_e64 s2, v24, v26
	v_cmp_neq_f32_e64 s3, v33, v32
	v_cndmask_b32_e64 v24, v25, 1.0, vcc_lo
	v_cmp_neq_f32_e32 vcc_lo, v26, v29
	v_fma_f32 v23, v28, v23, v28
	v_cmp_class_f32_e64 s5, v28, 0x204
	s_and_b32 s3, s2, s3
	s_delay_alu instid0(SALU_CYCLE_1) | instskip(SKIP_1) | instid1(VALU_DEP_2)
	v_cndmask_b32_e64 v25, 1.0, v24, s3
	s_xor_b32 s4, vcc_lo, s4
	v_cndmask_b32_e64 v23, v23, v28, s5
	v_cmp_gt_f32_e64 s5, 0, v26
	v_cndmask_b32_e64 v28, v29, 0, s4
	v_cmp_eq_f32_e32 vcc_lo, 0, v24
	v_cmp_eq_f32_e64 s4, 1.0, v27
	v_bfi_b32 v23, 0x7fffffff, v23, v25
	v_cndmask_b32_e64 v31, 0, v24, s3
	v_cmp_eq_f32_e64 s3, 0x7f800000, v29
	s_delay_alu instid0(VALU_DEP_4) | instskip(NEXT) | instid1(VALU_DEP_4)
	v_cndmask_b32_e64 v25, v28, v27, s4
	v_cndmask_b32_e64 v28, 0x7fc00000, v23, s2
	s_xor_b32 s2, s5, vcc_lo
	s_delay_alu instid0(SALU_CYCLE_1) | instskip(SKIP_1) | instid1(VALU_DEP_1)
	v_cndmask_b32_e64 v30, 0x7f800000, 0, s2
	v_cmp_gt_f32_e64 s2, 0, v24
	v_cndmask_b32_e64 v23, v23, v28, s2
	v_cmp_eq_f32_e64 s2, 0x7f800000, v27
	s_delay_alu instid0(VALU_DEP_4) | instskip(NEXT) | instid1(VALU_DEP_3)
	v_bfi_b32 v27, 0x7fffffff, v30, v31
	v_cndmask_b32_e64 v23, v23, v25, s3
	s_delay_alu instid0(VALU_DEP_3) | instskip(NEXT) | instid1(VALU_DEP_1)
	s_or_b32 vcc_lo, s2, vcc_lo
	v_cndmask_b32_e32 v23, v23, v27, vcc_lo
	v_cmp_o_f32_e32 vcc_lo, v24, v26
	s_delay_alu instid0(VALU_DEP_2) | instskip(NEXT) | instid1(VALU_DEP_1)
	v_cndmask_b32_e32 v23, 0x7fc00000, v23, vcc_lo
	v_bfe_u32 v24, v23, 16, 1
	v_cmp_o_f32_e32 vcc_lo, v23, v23
	s_delay_alu instid0(VALU_DEP_2) | instskip(NEXT) | instid1(VALU_DEP_1)
	v_add3_u32 v24, v23, v24, 0x7fff
	v_lshrrev_b32_e32 v24, 16, v24
	s_delay_alu instid0(VALU_DEP_1)
	v_cndmask_b32_e32 v25, 0x7fc0, v24, vcc_lo
	v_add_co_u32 v23, vcc_lo, v7, s10
	v_add_co_ci_u32_e32 v24, vcc_lo, s11, v8, vcc_lo
	global_store_b16 v[23:24], v25, off
	s_branch .LBB95_3
.LBB95_20:
	s_mov_b32 s2, 0
.LBB95_21:
	s_delay_alu instid0(SALU_CYCLE_1)
	s_and_not1_b32 vcc_lo, exec_lo, s2
	s_cbranch_vccnz .LBB95_25
; %bb.22:
	v_dual_mov_b32 v2, 0 :: v_dual_lshlrev_b32 v1, 2, v0
	s_mov_b32 s33, 0
	s_mov_b32 s2, exec_lo
	s_delay_alu instid0(VALU_DEP_1)
	v_cmpx_gt_i64_e64 s[36:37], v[1:2]
	s_cbranch_execz .LBB95_25
; %bb.23:
	s_load_b32 s0, s[0:1], 0xd54
	v_lshlrev_b32_e32 v1, 3, v0
	s_mov_b32 s40, 0x3e76c4e1
	s_delay_alu instid0(VALU_DEP_1) | instskip(NEXT) | instid1(VALU_DEP_1)
	v_add_co_u32 v7, s1, s10, v1
	v_add_co_ci_u32_e64 v8, null, s11, 0, s1
	s_waitcnt lgkmcnt(0)
	s_and_b32 s0, s0, 0xffff
	s_delay_alu instid0(SALU_CYCLE_1)
	v_add_lshl_u32 v1, v0, s0, 2
	s_lshl_b32 s38, s0, 3
	s_lshl_b32 s39, s0, 2
.LBB95_24:                              ; =>This Inner Loop Header: Depth=1
	v_add_co_u32 v3, vcc_lo, s30, v7
	v_add_co_ci_u32_e32 v4, vcc_lo, s31, v8, vcc_lo
	v_add_co_u32 v5, vcc_lo, s34, v7
	v_add_co_ci_u32_e32 v6, vcc_lo, s35, v8, vcc_lo
	global_load_b64 v[3:4], v[3:4], off
	v_cmp_le_i64_e32 vcc_lo, s[36:37], v[1:2]
	v_cmp_lt_u64_e64 s0, 0xffff, v[1:2]
	v_add_co_u32 v7, s1, v7, s38
	s_delay_alu instid0(VALU_DEP_1) | instskip(SKIP_1) | instid1(VALU_DEP_4)
	v_add_co_ci_u32_e64 v8, s1, 0, v8, s1
	v_add_co_u32 v1, s1, v1, s39
	s_or_b32 s0, vcc_lo, s0
	v_add_co_ci_u32_e64 v2, s1, 0, v2, s1
	s_waitcnt vmcnt(0)
	v_and_b32_e32 v13, 0xffff0000, v3
	v_lshlrev_b32_e32 v11, 16, v3
	v_alignbit_b32 v3, v4, v3, 16
	v_and_b32_e32 v15, 0xffff0000, v4
	s_delay_alu instid0(VALU_DEP_4) | instskip(NEXT) | instid1(VALU_DEP_1)
	v_cmp_eq_f32_e64 s3, 1.0, v13
	v_cndmask_b32_e64 v4, s29, 1.0, s3
	v_cndmask_b32_e64 v12, |s29|, 1.0, s3
	s_delay_alu instid0(VALU_DEP_2)
	v_mul_f32_e32 v22, 0.5, v4
	v_cmp_eq_f32_e64 s2, 1.0, v11
	v_cmp_eq_f32_e64 s6, 0, v4
	v_trunc_f32_e32 v21, v4
	v_cmp_neq_f32_e64 s11, v4, v12
	v_cmp_gt_f32_e64 s14, 0, v4
	v_cndmask_b32_e64 v0, s29, 1.0, s2
	v_cndmask_b32_e64 v10, |s29|, 1.0, s2
	s_delay_alu instid0(VALU_DEP_2) | instskip(SKIP_2) | instid1(VALU_DEP_4)
	v_cmp_eq_f32_e64 s5, 0, v0
	v_mul_f32_e32 v19, 0.5, v0
	v_trunc_f32_e32 v16, v0
	v_cmp_neq_f32_e64 s9, v0, v10
	v_cmp_gt_f32_e64 s13, 0, v0
	v_cndmask_b32_e64 v18, |v11|, 1.0, s5
	v_trunc_f32_e32 v27, v19
	v_cndmask_b32_e64 v11, v11, 1.0, s5
	s_delay_alu instid0(VALU_DEP_3) | instskip(NEXT) | instid1(VALU_DEP_3)
	v_frexp_mant_f32_e32 v26, v18
	v_cmp_neq_f32_e64 s21, v27, v19
	v_cmp_gt_f32_e64 s10, 1.0, v18
	v_cmp_eq_f32_e64 s22, 1.0, v18
	v_cvt_f64_f32_e32 v[30:31], v18
	v_cmp_gt_f32_e64 s20, 0x3f2aaaab, v26
	v_cmp_eq_f32_e64 s2, 0x7f800000, v18
	s_delay_alu instid0(VALU_DEP_2) | instskip(NEXT) | instid1(VALU_DEP_1)
	v_cndmask_b32_e64 v41, 1.0, 2.0, s20
	v_mul_f32_e32 v41, v26, v41
	s_delay_alu instid0(VALU_DEP_1) | instskip(SKIP_4) | instid1(VALU_DEP_4)
	v_add_f32_e32 v46, -1.0, v41
	v_cndmask_b32_e64 v20, |v13|, 1.0, s6
	v_cndmask_b32_e64 v13, v13, 1.0, s6
	v_cmp_eq_f32_e64 s6, v21, v4
	v_trunc_f32_e32 v21, v22
	v_frexp_mant_f32_e32 v28, v20
	v_cmp_gt_f32_e64 s12, 1.0, v20
	v_cmp_eq_f32_e64 s25, 1.0, v20
	s_delay_alu instid0(VALU_DEP_4) | instskip(SKIP_3) | instid1(VALU_DEP_2)
	v_cmp_neq_f32_e64 s24, v21, v22
	v_cvt_f64_f32_e32 v[32:33], v20
	v_cmp_gt_f32_e64 s23, 0x3f2aaaab, v28
	v_cmp_eq_f32_e64 s3, 0x7f800000, v20
	v_cndmask_b32_e64 v27, 1.0, 2.0, s23
	s_delay_alu instid0(VALU_DEP_1) | instskip(SKIP_3) | instid1(VALU_DEP_4)
	v_mul_f32_e32 v44, v28, v27
	v_and_b32_e32 v17, 0xffff0000, v3
	v_cmp_eq_f32_e64 s4, 1.0, v15
	v_frexp_exp_i32_f64_e32 v30, v[30:31]
	v_add_f32_e32 v48, -1.0, v44
	s_delay_alu instid0(VALU_DEP_4) | instskip(NEXT) | instid1(VALU_DEP_4)
	v_cmp_eq_f32_e64 s7, 1.0, v17
	v_cndmask_b32_e64 v3, s29, 1.0, s4
	v_cndmask_b32_e64 v14, |s29|, 1.0, s4
	v_cmp_eq_f32_e64 s4, v16, v0
	s_delay_alu instid0(VALU_DEP_4) | instskip(NEXT) | instid1(VALU_DEP_4)
	v_cndmask_b32_e64 v9, s29, 1.0, s7
	v_cmp_eq_f32_e64 s8, 0, v3
	v_cndmask_b32_e64 v16, |s29|, 1.0, s7
	s_xor_b32 s7, s9, s10
	v_cmp_eq_f32_e64 s10, 0, v13
	v_cmp_eq_f32_e64 s16, 0, v9
	v_cndmask_b32_e64 v24, |v15|, 1.0, s8
	v_cndmask_b32_e64 v19, v10, 0, s7
	v_cmp_eq_f32_e64 s7, 0, v11
	s_xor_b32 s9, s11, s12
	v_cndmask_b32_e64 v38, |v17|, 1.0, s16
	v_frexp_mant_f32_e32 v40, v24
	v_cndmask_b32_e64 v22, v12, 0, s9
	s_xor_b32 s13, s13, s7
	v_trunc_f32_e32 v23, v3
	v_frexp_mant_f32_e32 v42, v38
	v_cmp_gt_f32_e64 s27, 0x3f2aaaab, v40
	v_cndmask_b32_e64 v26, 0x7f800000, 0, s13
	s_xor_b32 s13, s14, s10
	v_cndmask_b32_e64 v18, v19, v18, s22
	v_cmp_gt_f32_e64 s14, 0x3f2aaaab, v42
	v_cndmask_b32_e64 v43, 1.0, 2.0, s27
	v_cndmask_b32_e64 v19, v22, v20, s25
	v_trunc_f32_e32 v29, v9
	v_cmp_neq_f32_e64 s18, v3, v14
	v_cndmask_b32_e64 v22, 1.0, 2.0, s14
	v_mul_f32_e32 v25, 0.5, v3
	v_cmp_gt_f32_e64 s19, 1.0, v24
	v_dual_mul_f32 v40, v40, v43 :: v_dual_mul_f32 v39, 0.5, v9
	v_cndmask_b32_e64 v15, v15, 1.0, s8
	v_cmp_eq_f32_e64 s8, v23, v3
	v_mul_f32_e32 v42, v42, v22
	s_delay_alu instid0(VALU_DEP_4)
	v_add_f32_e32 v50, 1.0, v40
	v_trunc_f32_e32 v23, v25
	v_cndmask_b32_e64 v17, v17, 1.0, s16
	v_cmp_neq_f32_e64 s16, v9, v16
	v_cmp_gt_f32_e64 s26, 1.0, v38
	v_cvt_f64_f32_e32 v[34:35], v24
	v_cmp_eq_f32_e64 s11, v29, v9
	v_trunc_f32_e32 v29, v39
	s_xor_b32 s12, s18, s19
	v_cmp_neq_f32_e64 s28, v23, v25
	v_cndmask_b32_e64 v25, v14, 0, s12
	v_cmp_eq_f32_e64 s18, 1.0, v24
	v_cmp_gt_f32_e64 s15, 0, v3
	v_cmp_eq_f32_e64 s12, 0, v15
	v_cndmask_b32_e64 v27, 0x7f800000, 0, s13
	s_xor_b32 s13, s16, s26
	v_cmp_gt_f32_e64 s17, 0, v9
	s_and_b32 s19, s4, s21
	s_and_b32 s21, s6, s24
	v_cmp_neq_f32_e64 s22, v29, v39
	v_cndmask_b32_e64 v39, v16, 0, s13
	v_cmp_eq_f32_e64 s16, 1.0, v38
	v_cmp_eq_f32_e64 s13, 0, v17
	v_cndmask_b32_e64 v20, v25, v24, s18
	v_cndmask_b32_e64 v25, 0, v11, s19
	;; [unrolled: 1-line block ×3, first 2 shown]
	v_dual_add_f32 v54, 1.0, v42 :: v_dual_add_f32 v47, 1.0, v41
	v_add_f32_e32 v49, 1.0, v44
	s_xor_b32 s15, s15, s12
	v_cmp_eq_f32_e64 s5, 0x7f800000, v24
	s_and_b32 s24, s8, s28
	v_cndmask_b32_e64 v24, 0x7f800000, 0, s15
	s_and_b32 s15, s11, s22
	v_cndmask_b32_e64 v22, v39, v38, s16
	s_xor_b32 s16, s17, s13
	v_cvt_f64_f32_e32 v[36:37], v38
	v_cmp_eq_f32_e64 s9, 0x7f800000, v38
	v_cndmask_b32_e64 v45, 0, v15, s24
	v_cndmask_b32_e64 v38, 0x7f800000, 0, s16
	v_bfi_b32 v25, 0x7fffffff, v26, v25
	v_bfi_b32 v26, 0x7fffffff, v27, v43
	v_cndmask_b32_e64 v27, 0, v17, s15
	v_add_f32_e32 v43, -1.0, v47
	v_add_f32_e32 v51, -1.0, v49
	v_bfi_b32 v24, 0x7fffffff, v24, v45
	v_add_f32_e32 v55, -1.0, v50
	v_bfi_b32 v27, 0x7fffffff, v38, v27
	v_sub_f32_e32 v38, v41, v43
	v_rcp_f32_e32 v45, v47
	v_dual_sub_f32 v41, v44, v51 :: v_dual_add_f32 v44, -1.0, v54
	v_rcp_f32_e32 v52, v49
	v_rcp_f32_e32 v56, v50
	v_dual_add_f32 v39, -1.0, v40 :: v_dual_sub_f32 v40, v40, v55
	v_rcp_f32_e32 v43, v54
	v_frexp_exp_i32_f64_e32 v31, v[32:33]
	v_frexp_exp_i32_f64_e32 v32, v[34:35]
	v_mul_f32_e32 v51, v46, v45
	v_dual_add_f32 v53, -1.0, v42 :: v_dual_sub_f32 v42, v42, v44
	s_delay_alu instid0(TRANS32_DEP_3) | instskip(SKIP_1) | instid1(VALU_DEP_4)
	v_mul_f32_e32 v55, v48, v52
	v_cndmask_b32_e64 v29, 1.0, v17, s15
	v_mul_f32_e32 v44, v47, v51
	v_mul_f32_e32 v57, v39, v56
	v_subrev_co_ci_u32_e64 v30, s15, 0, v30, s20
	v_mul_f32_e32 v58, v49, v55
	s_delay_alu instid0(VALU_DEP_4) | instskip(NEXT) | instid1(VALU_DEP_4)
	v_fma_f32 v33, v51, v47, -v44
	v_mul_f32_e32 v60, v50, v57
	s_delay_alu instid0(VALU_DEP_4)
	v_cvt_f32_i32_e32 v30, v30
	v_cndmask_b32_e64 v21, 1.0, v11, s19
	v_fma_f32 v34, v55, v49, -v58
	v_mul_f32_e32 v59, v53, v43
	v_fma_f32 v47, v57, v50, -v60
	v_frexp_exp_i32_f64_e32 v36, v[36:37]
	v_cndmask_b32_e64 v23, 1.0, v13, s21
	v_fmac_f32_e32 v34, v55, v41
	v_cndmask_b32_e64 v28, 1.0, v15, s24
	v_fmac_f32_e32 v47, v57, v40
	s_or_b32 s5, s5, s12
	s_or_b32 s2, s2, s7
	v_add_f32_e32 v40, v58, v34
	s_or_b32 s3, s3, s10
	s_delay_alu instid0(VALU_DEP_1) | instskip(SKIP_2) | instid1(VALU_DEP_3)
	v_sub_f32_e32 v49, v40, v58
	v_add_f32_e32 v41, v60, v47
	v_dual_sub_f32 v50, v48, v40 :: v_dual_fmac_f32 v33, v51, v38
	v_dual_sub_f32 v34, v49, v34 :: v_dual_mul_f32 v35, v54, v59
	s_delay_alu instid0(VALU_DEP_3) | instskip(NEXT) | instid1(VALU_DEP_3)
	v_sub_f32_e32 v58, v41, v60
	v_add_f32_e32 v38, v44, v33
	v_sub_f32_e32 v60, v39, v41
	v_subrev_co_ci_u32_e64 v31, s15, 0, v31, s23
	v_fma_f32 v37, v59, v54, -v35
	v_subrev_co_ci_u32_e64 v32, s15, 0, v32, s27
	s_delay_alu instid0(VALU_DEP_3) | instskip(NEXT) | instid1(VALU_DEP_3)
	v_cvt_f32_i32_e32 v31, v31
	v_dual_fmac_f32 v37, v59, v42 :: v_dual_sub_f32 v42, v38, v44
	v_sub_f32_e32 v44, v46, v38
	s_delay_alu instid0(VALU_DEP_4) | instskip(NEXT) | instid1(VALU_DEP_3)
	v_cvt_f32_i32_e32 v32, v32
	v_dual_sub_f32 v33, v42, v33 :: v_dual_sub_f32 v42, v48, v50
	s_delay_alu instid0(VALU_DEP_3) | instskip(SKIP_3) | instid1(VALU_DEP_4)
	v_sub_f32_e32 v46, v46, v44
	v_add_f32_e32 v54, v35, v37
	v_sub_f32_e32 v39, v39, v60
	v_subrev_co_ci_u32_e64 v36, s14, 0, v36, s14
	v_sub_f32_e32 v38, v46, v38
	s_delay_alu instid0(VALU_DEP_4) | instskip(SKIP_2) | instid1(VALU_DEP_3)
	v_dual_sub_f32 v35, v54, v35 :: v_dual_sub_f32 v48, v53, v54
	v_sub_f32_e32 v47, v58, v47
	v_dual_sub_f32 v40, v42, v40 :: v_dual_sub_f32 v39, v39, v41
	v_dual_sub_f32 v35, v35, v37 :: v_dual_sub_f32 v42, v53, v48
	s_delay_alu instid0(VALU_DEP_2) | instskip(NEXT) | instid1(VALU_DEP_3)
	v_dual_add_f32 v33, v33, v38 :: v_dual_add_f32 v34, v34, v40
	v_add_f32_e32 v38, v47, v39
	v_cvt_f32_i32_e32 v36, v36
	s_delay_alu instid0(VALU_DEP_3) | instskip(NEXT) | instid1(VALU_DEP_1)
	v_dual_add_f32 v33, v44, v33 :: v_dual_add_f32 v34, v50, v34
	v_mul_f32_e32 v33, v45, v33
	v_sub_f32_e32 v37, v42, v54
	s_delay_alu instid0(VALU_DEP_3) | instskip(NEXT) | instid1(VALU_DEP_2)
	v_mul_f32_e32 v34, v52, v34
	v_dual_mul_f32 v42, 0x3f317218, v31 :: v_dual_add_f32 v35, v35, v37
	v_add_f32_e32 v37, v60, v38
	s_delay_alu instid0(VALU_DEP_3) | instskip(SKIP_1) | instid1(VALU_DEP_3)
	v_add_f32_e32 v39, v55, v34
	v_add_f32_e32 v38, v51, v33
	v_mul_f32_e32 v37, v56, v37
	v_add_f32_e32 v35, v48, v35
	s_delay_alu instid0(VALU_DEP_4) | instskip(SKIP_2) | instid1(VALU_DEP_4)
	v_mul_f32_e32 v48, v39, v39
	v_mul_f32_e32 v56, 0x3f317218, v36
	v_sub_f32_e32 v44, v38, v51
	v_dual_add_f32 v40, v57, v37 :: v_dual_mul_f32 v35, v43, v35
	v_mul_f32_e32 v41, 0x3f317218, v30
	v_ldexp_f32 v46, v38, 1
	s_delay_alu instid0(VALU_DEP_3) | instskip(NEXT) | instid1(VALU_DEP_4)
	v_mul_f32_e32 v52, v40, v40
	v_add_f32_e32 v50, v59, v35
	s_delay_alu instid0(VALU_DEP_4) | instskip(SKIP_2) | instid1(VALU_DEP_4)
	v_fma_f32 v54, 0x3f317218, v30, -v41
	v_sub_f32_e32 v47, v39, v55
	v_fma_f32 v55, 0x3f317218, v31, -v42
	v_dual_sub_f32 v51, v40, v57 :: v_dual_sub_f32 v58, v50, v59
	s_delay_alu instid0(VALU_DEP_4) | instskip(NEXT) | instid1(VALU_DEP_4)
	v_fmac_f32_e32 v54, 0xb102e308, v30
	v_dual_mul_f32 v43, 0x3f317218, v32 :: v_dual_sub_f32 v34, v34, v47
	v_fma_f32 v47, v39, v39, -v48
	v_fmac_f32_e32 v55, 0xb102e308, v31
	v_sub_f32_e32 v33, v33, v44
	v_fma_f32 v30, 0x3f317218, v36, -v56
	v_mul_f32_e32 v45, v38, v38
	v_add_f32_e32 v61, v34, v34
	v_fma_f32 v57, 0x3f317218, v32, -v43
	v_add_f32_e32 v66, v42, v55
	v_fmac_f32_e32 v30, 0xb102e308, v36
	v_fma_f32 v44, v38, v38, -v45
	v_fmac_f32_e32 v47, v39, v61
	v_add_f32_e32 v31, v33, v33
	v_dual_sub_f32 v37, v37, v51 :: v_dual_sub_f32 v42, v66, v42
	v_fma_f32 v51, v40, v40, -v52
	s_delay_alu instid0(VALU_DEP_4) | instskip(NEXT) | instid1(VALU_DEP_3)
	v_dual_add_f32 v68, v48, v47 :: v_dual_fmac_f32 v57, 0xb102e308, v32
	v_dual_fmac_f32 v44, v38, v31 :: v_dual_add_f32 v63, v37, v37
	v_mul_f32_e32 v59, v50, v50
	v_sub_f32_e32 v35, v35, v58
	s_delay_alu instid0(VALU_DEP_3) | instskip(NEXT) | instid1(VALU_DEP_4)
	v_dual_add_f32 v36, v43, v57 :: v_dual_add_f32 v67, v45, v44
	v_fmac_f32_e32 v51, v40, v63
	s_delay_alu instid0(VALU_DEP_4) | instskip(SKIP_1) | instid1(VALU_DEP_4)
	v_fma_f32 v58, v50, v50, -v59
	v_ldexp_f32 v32, v33, 1
	v_dual_sub_f32 v48, v68, v48 :: v_dual_sub_f32 v45, v67, v45
	v_ldexp_f32 v62, v34, 1
	v_ldexp_f32 v49, v39, 1
	;; [unrolled: 1-line block ×4, first 2 shown]
	v_dual_sub_f32 v44, v44, v45 :: v_dual_add_f32 v65, v41, v54
	v_add_f32_e32 v63, v56, v30
	v_ldexp_f32 v60, v50, 1
	s_delay_alu instid0(VALU_DEP_3) | instskip(NEXT) | instid1(VALU_DEP_1)
	v_sub_f32_e32 v41, v65, v41
	v_dual_sub_f32 v41, v54, v41 :: v_dual_sub_f32 v54, v63, v56
	v_dual_sub_f32 v42, v55, v42 :: v_dual_fmaak_f32 v55, s40, v67, 0x3e91f4c4
	v_mul_f32_e32 v56, v38, v67
	s_delay_alu instid0(VALU_DEP_3) | instskip(NEXT) | instid1(VALU_DEP_3)
	v_dual_add_f32 v31, v35, v35 :: v_dual_sub_f32 v30, v30, v54
	v_fmaak_f32 v54, v67, v55, 0x3ecccdef
	s_delay_alu instid0(VALU_DEP_3) | instskip(NEXT) | instid1(VALU_DEP_3)
	v_fma_f32 v45, v67, v38, -v56
	v_fmac_f32_e32 v58, v50, v31
	v_ldexp_f32 v61, v35, 1
	s_delay_alu instid0(VALU_DEP_3) | instskip(SKIP_1) | instid1(VALU_DEP_4)
	v_fmac_f32_e32 v45, v67, v33
	v_mul_f32_e32 v33, v67, v54
	v_dual_add_f32 v70, v59, v58 :: v_dual_add_f32 v31, v52, v51
	s_delay_alu instid0(VALU_DEP_3) | instskip(NEXT) | instid1(VALU_DEP_3)
	v_fmac_f32_e32 v45, v44, v38
	v_fma_f32 v38, v67, v54, -v33
	s_delay_alu instid0(VALU_DEP_3) | instskip(SKIP_1) | instid1(VALU_DEP_3)
	v_dual_sub_f32 v59, v70, v59 :: v_dual_sub_f32 v52, v31, v52
	v_dual_mul_f32 v72, v40, v31 :: v_dual_sub_f32 v47, v47, v48
	v_dual_fmac_f32 v38, v44, v54 :: v_dual_mul_f32 v69, v39, v68
	s_delay_alu instid0(VALU_DEP_3) | instskip(NEXT) | instid1(VALU_DEP_3)
	v_sub_f32_e32 v51, v51, v52
	v_fma_f32 v52, v31, v40, -v72
	s_delay_alu instid0(VALU_DEP_3) | instskip(NEXT) | instid1(VALU_DEP_4)
	v_dual_sub_f32 v43, v36, v43 :: v_dual_add_f32 v54, v33, v38
	v_fma_f32 v48, v68, v39, -v69
	v_sub_f32_e32 v58, v58, v59
	s_delay_alu instid0(VALU_DEP_3) | instskip(NEXT) | instid1(VALU_DEP_3)
	v_dual_fmac_f32 v52, v31, v37 :: v_dual_sub_f32 v43, v57, v43
	v_dual_fmaak_f32 v57, s40, v68, 0x3e91f4c4 :: v_dual_fmac_f32 v48, v68, v34
	s_delay_alu instid0(VALU_DEP_2) | instskip(SKIP_1) | instid1(VALU_DEP_3)
	v_fmac_f32_e32 v52, v51, v40
	v_add_f32_e32 v40, v56, v45
	v_dual_fmaak_f32 v55, v68, v57, 0x3ecccdef :: v_dual_fmac_f32 v48, v47, v39
	v_fmaak_f32 v71, s40, v31, 0x3e91f4c4
	s_delay_alu instid0(VALU_DEP_2) | instskip(NEXT) | instid1(VALU_DEP_2)
	v_dual_fmaak_f32 v57, s40, v70, 0x3e91f4c4 :: v_dual_mul_f32 v34, v68, v55
	v_dual_add_f32 v44, v69, v48 :: v_dual_fmaak_f32 v71, v31, v71, 0x3ecccdef
	s_delay_alu instid0(VALU_DEP_2) | instskip(NEXT) | instid1(VALU_DEP_2)
	v_fma_f32 v39, v68, v55, -v34
	v_mul_f32_e32 v37, v31, v71
	s_delay_alu instid0(VALU_DEP_2) | instskip(NEXT) | instid1(VALU_DEP_4)
	v_fmac_f32_e32 v39, v47, v55
	v_sub_f32_e32 v55, v44, v69
	s_delay_alu instid0(VALU_DEP_3) | instskip(NEXT) | instid1(VALU_DEP_2)
	v_fma_f32 v31, v31, v71, -v37
	v_sub_f32_e32 v48, v48, v55
	s_delay_alu instid0(VALU_DEP_2) | instskip(SKIP_2) | instid1(VALU_DEP_2)
	v_fmac_f32_e32 v31, v51, v71
	v_mul_f32_e32 v73, v50, v70
	v_dual_sub_f32 v51, v40, v56 :: v_dual_add_f32 v56, v34, v39
	v_fma_f32 v59, v70, v50, -v73
	s_delay_alu instid0(VALU_DEP_2) | instskip(NEXT) | instid1(VALU_DEP_1)
	v_dual_add_f32 v55, 0x3f2aaaaa, v56 :: v_dual_sub_f32 v34, v56, v34
	v_dual_fmac_f32 v59, v70, v35 :: v_dual_sub_f32 v34, v39, v34
	s_delay_alu instid0(VALU_DEP_2) | instskip(NEXT) | instid1(VALU_DEP_2)
	v_add_f32_e32 v39, 0xbf2aaaaa, v55
	v_dual_fmac_f32 v59, v58, v50 :: v_dual_add_f32 v50, v72, v52
	v_fmaak_f32 v57, v70, v57, 0x3ecccdef
	s_delay_alu instid0(VALU_DEP_3) | instskip(NEXT) | instid1(VALU_DEP_2)
	v_dual_add_f32 v34, 0x31739010, v34 :: v_dual_sub_f32 v39, v56, v39
	v_mul_f32_e32 v35, v70, v57
	s_delay_alu instid0(VALU_DEP_2) | instskip(NEXT) | instid1(VALU_DEP_2)
	v_add_f32_e32 v34, v34, v39
	v_fma_f32 v47, v70, v57, -v35
	s_delay_alu instid0(VALU_DEP_2) | instskip(NEXT) | instid1(VALU_DEP_2)
	v_add_f32_e32 v39, v55, v34
	v_dual_fmac_f32 v47, v58, v57 :: v_dual_add_f32 v58, v37, v31
	v_add_f32_e32 v67, v73, v59
	s_delay_alu instid0(VALU_DEP_2) | instskip(NEXT) | instid1(VALU_DEP_2)
	v_add_f32_e32 v69, v35, v47
	v_dual_sub_f32 v68, v67, v73 :: v_dual_sub_f32 v45, v45, v51
	v_add_f32_e32 v51, 0x3f2aaaaa, v54
	s_delay_alu instid0(VALU_DEP_3) | instskip(NEXT) | instid1(VALU_DEP_3)
	v_sub_f32_e32 v35, v69, v35
	v_dual_sub_f32 v59, v59, v68 :: v_dual_add_f32 v68, 0x3f2aaaaa, v69
	v_sub_f32_e32 v33, v54, v33
	s_delay_alu instid0(VALU_DEP_1) | instskip(NEXT) | instid1(VALU_DEP_1)
	v_dual_sub_f32 v33, v38, v33 :: v_dual_add_f32 v38, 0xbf2aaaaa, v51
	v_dual_add_f32 v33, 0x31739010, v33 :: v_dual_sub_f32 v38, v54, v38
	v_sub_f32_e32 v54, v55, v39
	v_sub_f32_e32 v35, v47, v35
	v_add_f32_e32 v47, 0xbf2aaaaa, v68
	v_sub_f32_e32 v37, v58, v37
	v_add_f32_e32 v33, v33, v38
	v_mul_f32_e32 v55, v44, v39
	v_add_f32_e32 v35, 0x31739010, v35
	v_sub_f32_e32 v38, v69, v47
	v_dual_add_f32 v34, v34, v54 :: v_dual_sub_f32 v31, v31, v37
	s_delay_alu instid0(VALU_DEP_4) | instskip(NEXT) | instid1(VALU_DEP_3)
	v_fma_f32 v54, v44, v39, -v55
	v_add_f32_e32 v35, v35, v38
	v_sub_f32_e32 v57, v50, v72
	s_delay_alu instid0(VALU_DEP_3) | instskip(NEXT) | instid1(VALU_DEP_3)
	v_dual_add_f32 v31, 0x31739010, v31 :: v_dual_fmac_f32 v54, v44, v34
	v_add_f32_e32 v56, v68, v35
	s_delay_alu instid0(VALU_DEP_3) | instskip(NEXT) | instid1(VALU_DEP_3)
	v_dual_sub_f32 v52, v52, v57 :: v_dual_add_f32 v57, 0x3f2aaaaa, v58
	v_fmac_f32_e32 v54, v48, v39
	s_delay_alu instid0(VALU_DEP_3) | instskip(SKIP_1) | instid1(VALU_DEP_4)
	v_sub_f32_e32 v68, v68, v56
	v_mul_f32_e32 v69, v67, v56
	v_add_f32_e32 v37, 0xbf2aaaaa, v57
	s_delay_alu instid0(VALU_DEP_2) | instskip(NEXT) | instid1(VALU_DEP_2)
	v_fma_f32 v34, v67, v56, -v69
	v_sub_f32_e32 v37, v58, v37
	s_delay_alu instid0(VALU_DEP_1) | instskip(NEXT) | instid1(VALU_DEP_1)
	v_add_f32_e32 v31, v31, v37
	v_dual_add_f32 v37, v51, v33 :: v_dual_add_f32 v38, v57, v31
	s_delay_alu instid0(VALU_DEP_1) | instskip(SKIP_1) | instid1(VALU_DEP_3)
	v_sub_f32_e32 v47, v51, v37
	v_mul_f32_e32 v51, v40, v37
	v_sub_f32_e32 v57, v57, v38
	s_delay_alu instid0(VALU_DEP_3) | instskip(NEXT) | instid1(VALU_DEP_3)
	v_add_f32_e32 v33, v33, v47
	v_fma_f32 v47, v40, v37, -v51
	s_delay_alu instid0(VALU_DEP_3) | instskip(NEXT) | instid1(VALU_DEP_2)
	v_dual_mul_f32 v58, v50, v38 :: v_dual_add_f32 v31, v31, v57
	v_fmac_f32_e32 v47, v40, v33
	s_delay_alu instid0(VALU_DEP_2) | instskip(SKIP_1) | instid1(VALU_DEP_3)
	v_fma_f32 v57, v50, v38, -v58
	v_add_f32_e32 v33, v35, v68
	v_fmac_f32_e32 v47, v45, v37
	s_delay_alu instid0(VALU_DEP_2) | instskip(SKIP_1) | instid1(VALU_DEP_3)
	v_dual_fmac_f32 v57, v50, v31 :: v_dual_fmac_f32 v34, v67, v33
	v_add_f32_e32 v33, v55, v54
	v_add_f32_e32 v31, v51, v47
	s_delay_alu instid0(VALU_DEP_3) | instskip(NEXT) | instid1(VALU_DEP_3)
	v_fmac_f32_e32 v57, v52, v38
	v_sub_f32_e32 v39, v33, v55
	s_delay_alu instid0(VALU_DEP_3) | instskip(SKIP_1) | instid1(VALU_DEP_4)
	v_dual_add_f32 v40, v49, v33 :: v_dual_sub_f32 v37, v31, v51
	v_add_f32_e32 v38, v46, v31
	v_add_f32_e32 v35, v58, v57
	s_delay_alu instid0(VALU_DEP_4) | instskip(NEXT) | instid1(VALU_DEP_3)
	v_sub_f32_e32 v39, v54, v39
	v_dual_sub_f32 v37, v47, v37 :: v_dual_sub_f32 v46, v38, v46
	s_delay_alu instid0(VALU_DEP_3) | instskip(NEXT) | instid1(VALU_DEP_2)
	v_dual_sub_f32 v47, v40, v49 :: v_dual_add_f32 v48, v53, v35
	v_add_f32_e32 v32, v32, v37
	v_fmac_f32_e32 v34, v59, v56
	s_delay_alu instid0(VALU_DEP_4) | instskip(NEXT) | instid1(VALU_DEP_4)
	v_sub_f32_e32 v31, v31, v46
	v_sub_f32_e32 v33, v33, v47
	s_delay_alu instid0(VALU_DEP_3) | instskip(NEXT) | instid1(VALU_DEP_1)
	v_dual_add_f32 v37, v62, v39 :: v_dual_add_f32 v44, v69, v34
	v_dual_add_f32 v31, v32, v31 :: v_dual_add_f32 v32, v37, v33
	s_delay_alu instid0(VALU_DEP_2) | instskip(NEXT) | instid1(VALU_DEP_2)
	v_sub_f32_e32 v49, v44, v69
	v_dual_add_f32 v50, v60, v44 :: v_dual_add_f32 v37, v38, v31
	s_delay_alu instid0(VALU_DEP_2) | instskip(NEXT) | instid1(VALU_DEP_2)
	v_sub_f32_e32 v34, v34, v49
	v_dual_sub_f32 v39, v50, v60 :: v_dual_sub_f32 v38, v37, v38
	s_delay_alu instid0(VALU_DEP_1)
	v_dual_add_f32 v34, v61, v34 :: v_dual_sub_f32 v33, v44, v39
	v_add_f32_e32 v44, v65, v37
	v_sub_f32_e32 v51, v48, v53
	v_add_f32_e32 v39, v40, v32
	v_sub_f32_e32 v31, v31, v38
	;; [unrolled: 2-line block ×3, first 2 shown]
	s_delay_alu instid0(VALU_DEP_4) | instskip(NEXT) | instid1(VALU_DEP_2)
	v_sub_f32_e32 v40, v39, v40
	v_dual_add_f32 v46, v50, v33 :: v_dual_sub_f32 v37, v37, v38
	s_delay_alu instid0(VALU_DEP_1) | instskip(NEXT) | instid1(VALU_DEP_1)
	v_dual_sub_f32 v32, v32, v40 :: v_dual_sub_f32 v49, v46, v50
	v_dual_add_f32 v50, v63, v46 :: v_dual_sub_f32 v33, v33, v49
	s_delay_alu instid0(VALU_DEP_1) | instskip(NEXT) | instid1(VALU_DEP_1)
	v_sub_f32_e32 v49, v50, v63
	v_sub_f32_e32 v56, v50, v49
	;; [unrolled: 1-line block ×3, first 2 shown]
	s_delay_alu instid0(VALU_DEP_4) | instskip(SKIP_3) | instid1(VALU_DEP_3)
	v_add_f32_e32 v49, v30, v33
	v_sub_f32_e32 v45, v35, v58
	v_sub_f32_e32 v35, v35, v51
	v_dual_sub_f32 v51, v44, v38 :: v_dual_add_f32 v38, v41, v31
	v_sub_f32_e32 v45, v57, v45
	s_delay_alu instid0(VALU_DEP_2) | instskip(NEXT) | instid1(VALU_DEP_2)
	v_dual_sub_f32 v51, v65, v51 :: v_dual_sub_f32 v54, v38, v41
	v_add_f32_e32 v45, v64, v45
	s_delay_alu instid0(VALU_DEP_2) | instskip(NEXT) | instid1(VALU_DEP_3)
	v_add_f32_e32 v37, v37, v51
	v_sub_f32_e32 v51, v38, v54
	v_sub_f32_e32 v31, v31, v54
	s_delay_alu instid0(VALU_DEP_4) | instskip(SKIP_1) | instid1(VALU_DEP_4)
	v_add_f32_e32 v35, v45, v35
	v_dual_add_f32 v45, v66, v39 :: v_dual_sub_f32 v54, v63, v56
	v_sub_f32_e32 v41, v41, v51
	s_delay_alu instid0(VALU_DEP_3) | instskip(NEXT) | instid1(VALU_DEP_2)
	v_dual_add_f32 v37, v38, v37 :: v_dual_add_f32 v34, v48, v35
	v_dual_sub_f32 v40, v45, v66 :: v_dual_add_f32 v31, v31, v41
	s_delay_alu instid0(VALU_DEP_2) | instskip(NEXT) | instid1(VALU_DEP_3)
	v_add_f32_e32 v41, v44, v37
	v_dual_sub_f32 v47, v34, v48 :: v_dual_add_f32 v48, v36, v34
	s_delay_alu instid0(VALU_DEP_3) | instskip(SKIP_1) | instid1(VALU_DEP_3)
	v_sub_f32_e32 v52, v45, v40
	v_sub_f32_e32 v39, v39, v40
	v_dual_add_f32 v40, v42, v32 :: v_dual_sub_f32 v35, v35, v47
	s_delay_alu instid0(VALU_DEP_4) | instskip(NEXT) | instid1(VALU_DEP_2)
	v_sub_f32_e32 v47, v48, v36
	v_dual_sub_f32 v52, v66, v52 :: v_dual_sub_f32 v55, v40, v42
	s_delay_alu instid0(VALU_DEP_2) | instskip(SKIP_2) | instid1(VALU_DEP_4)
	v_sub_f32_e32 v53, v48, v47
	v_sub_f32_e32 v34, v34, v47
	v_add_f32_e32 v47, v43, v35
	v_dual_add_f32 v39, v39, v52 :: v_dual_sub_f32 v52, v40, v55
	s_delay_alu instid0(VALU_DEP_4) | instskip(SKIP_1) | instid1(VALU_DEP_4)
	v_sub_f32_e32 v36, v36, v53
	v_sub_f32_e32 v32, v32, v55
	;; [unrolled: 1-line block ×3, first 2 shown]
	s_delay_alu instid0(VALU_DEP_4) | instskip(NEXT) | instid1(VALU_DEP_4)
	v_dual_sub_f32 v55, v49, v30 :: v_dual_sub_f32 v38, v42, v52
	v_dual_add_f32 v34, v34, v36 :: v_dual_add_f32 v39, v40, v39
	s_delay_alu instid0(VALU_DEP_3) | instskip(SKIP_1) | instid1(VALU_DEP_4)
	v_sub_f32_e32 v36, v47, v53
	v_dual_sub_f32 v35, v35, v53 :: v_dual_add_f32 v40, v46, v54
	v_sub_f32_e32 v42, v49, v55
	s_delay_alu instid0(VALU_DEP_4) | instskip(NEXT) | instid1(VALU_DEP_4)
	v_add_f32_e32 v34, v47, v34
	v_sub_f32_e32 v36, v43, v36
	v_add_f32_e32 v32, v32, v38
	v_add_f32_e32 v38, v45, v39
	v_dual_sub_f32 v33, v33, v55 :: v_dual_sub_f32 v30, v30, v42
	v_add_f32_e32 v40, v49, v40
	v_dual_add_f32 v35, v35, v36 :: v_dual_add_f32 v36, v48, v34
	s_delay_alu instid0(VALU_DEP_4) | instskip(NEXT) | instid1(VALU_DEP_3)
	v_dual_sub_f32 v42, v41, v44 :: v_dual_sub_f32 v43, v38, v45
	v_dual_add_f32 v30, v33, v30 :: v_dual_add_f32 v33, v50, v40
	s_delay_alu instid0(VALU_DEP_2) | instskip(NEXT) | instid1(VALU_DEP_2)
	v_dual_sub_f32 v44, v36, v48 :: v_dual_sub_f32 v37, v37, v42
	v_dual_sub_f32 v39, v39, v43 :: v_dual_sub_f32 v42, v33, v50
	s_delay_alu instid0(VALU_DEP_2) | instskip(NEXT) | instid1(VALU_DEP_2)
	v_dual_sub_f32 v34, v34, v44 :: v_dual_add_f32 v31, v31, v37
	v_add_f32_e32 v32, v32, v39
	s_delay_alu instid0(VALU_DEP_3) | instskip(NEXT) | instid1(VALU_DEP_3)
	v_sub_f32_e32 v37, v40, v42
	v_dual_add_f32 v34, v35, v34 :: v_dual_add_f32 v35, v41, v31
	s_delay_alu instid0(VALU_DEP_3) | instskip(NEXT) | instid1(VALU_DEP_2)
	v_add_f32_e32 v39, v38, v32
	v_dual_add_f32 v30, v30, v37 :: v_dual_add_f32 v37, v36, v34
	s_delay_alu instid0(VALU_DEP_3) | instskip(NEXT) | instid1(VALU_DEP_3)
	v_dual_sub_f32 v40, v35, v41 :: v_dual_mul_f32 v41, v0, v35
	v_sub_f32_e32 v38, v39, v38
	s_delay_alu instid0(VALU_DEP_3) | instskip(NEXT) | instid1(VALU_DEP_4)
	v_dual_mul_f32 v42, v4, v39 :: v_dual_add_f32 v43, v33, v30
	v_sub_f32_e32 v36, v37, v36
	v_mul_f32_e32 v44, v3, v37
	v_sub_f32_e32 v31, v31, v40
	v_fma_f32 v35, v0, v35, -v41
	v_sub_f32_e32 v32, v32, v38
	v_fma_f32 v38, v4, v39, -v42
	v_sub_f32_e32 v33, v43, v33
	v_dual_mul_f32 v39, v9, v43 :: v_dual_sub_f32 v34, v34, v36
	v_fma_f32 v36, v3, v37, -v44
	v_fmac_f32_e32 v35, v0, v31
	v_fmac_f32_e32 v38, v4, v32
	v_sub_f32_e32 v30, v30, v33
	v_fma_f32 v31, v9, v43, -v39
	v_fmac_f32_e32 v36, v3, v34
	s_delay_alu instid0(VALU_DEP_4) | instskip(SKIP_2) | instid1(VALU_DEP_4)
	v_dual_add_f32 v32, v41, v35 :: v_dual_add_f32 v33, v42, v38
	v_cmp_class_f32_e64 s14, v42, 0x204
	v_cmp_class_f32_e64 s16, v41, 0x204
	v_dual_fmac_f32 v31, v9, v30 :: v_dual_add_f32 v30, v44, v36
	v_cmp_class_f32_e64 s15, v44, 0x204
	v_sub_f32_e32 v34, v32, v41
	s_delay_alu instid0(VALU_DEP_4)
	v_cndmask_b32_e64 v32, v32, v41, s16
	v_sub_f32_e32 v37, v33, v42
	v_cndmask_b32_e64 v33, v33, v42, s14
	v_add_f32_e32 v40, v39, v31
	v_cmp_class_f32_e64 s14, v39, 0x204
	v_sub_f32_e32 v41, v30, v44
	v_cndmask_b32_e64 v30, v30, v44, s15
	v_cmp_eq_f32_e64 s15, 0x42b17218, v32
	v_cmp_eq_f32_e64 s16, 0x42b17218, v33
	v_dual_sub_f32 v34, v35, v34 :: v_dual_sub_f32 v37, v38, v37
	v_sub_f32_e32 v42, v40, v39
	s_delay_alu instid0(VALU_DEP_4)
	v_cndmask_b32_e64 v35, 0, 0x37000000, s15
	v_cmp_neq_f32_e64 s15, 0x7f800000, |v33|
	v_cndmask_b32_e64 v38, 0, 0x37000000, s16
	v_cndmask_b32_e64 v39, v40, v39, s14
	v_cmp_eq_f32_e64 s16, 0x42b17218, v30
	v_sub_f32_e32 v36, v36, v41
	v_cmp_neq_f32_e64 s14, 0x7f800000, |v30|
	v_cndmask_b32_e64 v37, 0, v37, s15
	v_cmp_eq_f32_e64 s15, 0x42b17218, v39
	v_cndmask_b32_e64 v40, 0, 0x37000000, s16
	v_cmp_neq_f32_e64 s16, 0x7f800000, |v32|
	v_dual_sub_f32 v32, v32, v35 :: v_dual_sub_f32 v33, v33, v38
	v_sub_f32_e32 v31, v31, v42
	v_cndmask_b32_e64 v41, 0, 0x37000000, s15
	s_delay_alu instid0(VALU_DEP_4) | instskip(SKIP_3) | instid1(VALU_DEP_4)
	v_cndmask_b32_e64 v34, 0, v34, s16
	v_cndmask_b32_e64 v36, 0, v36, s14
	v_sub_f32_e32 v30, v30, v40
	v_cmp_neq_f32_e64 s14, 0x7f800000, |v39|
	v_dual_add_f32 v37, v38, v37 :: v_dual_add_f32 v34, v35, v34
	v_dual_mul_f32 v35, 0x3fb8aa3b, v32 :: v_dual_mul_f32 v38, 0x3fb8aa3b, v33
	s_delay_alu instid0(VALU_DEP_3) | instskip(SKIP_2) | instid1(VALU_DEP_4)
	v_cndmask_b32_e64 v31, 0, v31, s14
	v_dual_sub_f32 v39, v39, v41 :: v_dual_add_f32 v36, v40, v36
	v_mul_f32_e32 v40, 0x3fb8aa3b, v30
	v_fma_f32 v42, 0x3fb8aa3b, v32, -v35
	v_rndne_f32_e32 v43, v35
	v_fma_f32 v44, 0x3fb8aa3b, v33, -v38
	v_rndne_f32_e32 v45, v38
	v_add_f32_e32 v31, v41, v31
	v_mul_f32_e32 v41, 0x3fb8aa3b, v39
	v_fma_f32 v46, 0x3fb8aa3b, v30, -v40
	v_rndne_f32_e32 v47, v40
	v_dual_fmac_f32 v42, 0x32a5705f, v32 :: v_dual_sub_f32 v35, v35, v43
	v_fmac_f32_e32 v44, 0x32a5705f, v33
	v_sub_f32_e32 v38, v38, v45
	v_fma_f32 v48, 0x3fb8aa3b, v39, -v41
	v_rndne_f32_e32 v49, v41
	v_fmac_f32_e32 v46, 0x32a5705f, v30
	v_sub_f32_e32 v40, v40, v47
	v_dual_add_f32 v38, v38, v44 :: v_dual_add_f32 v35, v35, v42
	s_delay_alu instid0(VALU_DEP_4) | instskip(NEXT) | instid1(VALU_DEP_3)
	v_dual_fmac_f32 v48, 0x32a5705f, v39 :: v_dual_sub_f32 v41, v41, v49
	v_add_f32_e32 v40, v40, v46
	s_delay_alu instid0(VALU_DEP_3) | instskip(NEXT) | instid1(VALU_DEP_3)
	v_exp_f32_e32 v38, v38
	v_exp_f32_e32 v35, v35
	v_cvt_i32_f32_e32 v43, v43
	v_add_f32_e32 v41, v41, v48
	v_exp_f32_e32 v40, v40
	v_cvt_i32_f32_e32 v45, v45
	v_cvt_i32_f32_e32 v47, v47
	;; [unrolled: 1-line block ×3, first 2 shown]
	v_exp_f32_e32 v41, v41
	v_cmp_ngt_f32_e64 s14, 0xc2ce8ed0, v33
	v_ldexp_f32 v38, v38, v45
	v_ldexp_f32 v35, v35, v43
	v_cmp_ngt_f32_e64 s15, 0xc2ce8ed0, v30
	v_cmp_ngt_f32_e64 s16, 0xc2ce8ed0, v32
	v_ldexp_f32 v40, v40, v47
	v_cndmask_b32_e64 v38, 0, v38, s14
	v_cmp_nlt_f32_e64 s14, 0x42b17218, v33
	v_cmp_nlt_f32_e64 s17, 0x42b17218, v32
	v_cndmask_b32_e64 v35, 0, v35, s16
	v_ldexp_f32 v33, v41, v42
	v_cmp_ngt_f32_e64 s16, 0xc2ce8ed0, v39
	v_cndmask_b32_e64 v40, 0, v40, s15
	v_cmp_nlt_f32_e64 s15, 0x42b17218, v30
	v_cndmask_b32_e64 v30, 0x7f800000, v35, s17
	v_cndmask_b32_e64 v32, 0x7f800000, v38, s14
	;; [unrolled: 1-line block ×3, first 2 shown]
	v_cmp_nlt_f32_e64 s14, 0x42b17218, v39
	v_cndmask_b32_e64 v35, 0x7f800000, v40, s15
	v_fma_f32 v34, v30, v34, v30
	v_fma_f32 v37, v32, v37, v32
	v_cmp_class_f32_e64 s15, v32, 0x204
	v_cndmask_b32_e64 v33, 0x7f800000, v33, s14
	v_fma_f32 v36, v35, v36, v35
	v_cmp_class_f32_e64 s14, v35, 0x204
	v_cmp_class_f32_e64 s16, v30, 0x204
	v_cndmask_b32_e64 v32, v37, v32, s15
	v_fma_f32 v31, v33, v31, v33
	s_delay_alu instid0(VALU_DEP_3) | instskip(SKIP_3) | instid1(VALU_DEP_4)
	v_cndmask_b32_e64 v30, v34, v30, s16
	v_cndmask_b32_e64 v34, v36, v35, s14
	v_cmp_class_f32_e64 s14, v33, 0x204
	v_bfi_b32 v23, 0x7fffffff, v32, v23
	v_bfi_b32 v21, 0x7fffffff, v30, v21
	s_delay_alu instid0(VALU_DEP_4) | instskip(NEXT) | instid1(VALU_DEP_4)
	v_bfi_b32 v28, 0x7fffffff, v34, v28
	v_cndmask_b32_e64 v30, v31, v33, s14
	s_delay_alu instid0(VALU_DEP_4)
	v_cndmask_b32_e64 v32, 0x7fc00000, v23, s6
	v_cmp_gt_f32_e64 s6, 0, v15
	v_cndmask_b32_e64 v31, 0x7fc00000, v21, s4
	v_cmp_gt_f32_e64 s4, 0, v13
	v_bfi_b32 v29, 0x7fffffff, v30, v29
	v_cndmask_b32_e64 v30, 0x7fc00000, v28, s8
	v_cmp_gt_f32_e64 s8, 0, v11
	s_delay_alu instid0(VALU_DEP_4) | instskip(SKIP_2) | instid1(VALU_DEP_4)
	v_cndmask_b32_e64 v23, v23, v32, s4
	v_cmp_eq_f32_e64 s4, 0x7f800000, v12
	v_cndmask_b32_e64 v12, 0x7fc00000, v29, s11
	v_cndmask_b32_e64 v21, v21, v31, s8
	v_cmp_gt_f32_e64 s8, 0, v17
	v_cndmask_b32_e64 v28, v28, v30, s6
	v_cmp_eq_f32_e64 s6, 0x7f800000, v14
	v_cmp_eq_f32_e64 s11, 0x7f800000, v10
	v_cndmask_b32_e64 v14, v23, v19, s4
	v_cndmask_b32_e64 v12, v29, v12, s8
	v_cmp_eq_f32_e64 s4, 0x7f800000, v16
	v_cndmask_b32_e64 v16, v28, v20, s6
	v_cndmask_b32_e64 v10, v21, v18, s11
	v_cndmask_b32_e64 v14, v14, v26, s3
	s_or_b32 s3, s9, s13
	s_and_b32 s0, exec_lo, s0
	s_delay_alu instid0(VALU_DEP_2)
	v_cndmask_b32_e64 v10, v10, v25, s2
	v_cmp_o_f32_e64 s2, v13, v4
	v_cndmask_b32_e64 v4, v12, v22, s4
	v_cndmask_b32_e64 v12, v16, v24, s5
	v_cmp_o_f32_e64 s5, v11, v0
	v_cmp_o_f32_e64 s4, v15, v3
	s_or_b32 s33, s0, s33
	v_cndmask_b32_e64 v3, v4, v27, s3
	v_cndmask_b32_e64 v4, 0x7fc00000, v14, s2
	;; [unrolled: 1-line block ×4, first 2 shown]
	v_cmp_o_f32_e64 s2, v17, v9
	s_delay_alu instid0(VALU_DEP_4) | instskip(NEXT) | instid1(VALU_DEP_4)
	v_bfe_u32 v11, v4, 16, 1
	v_bfe_u32 v9, v0, 16, 1
	s_delay_alu instid0(VALU_DEP_4) | instskip(NEXT) | instid1(VALU_DEP_4)
	v_bfe_u32 v12, v10, 16, 1
	v_cndmask_b32_e64 v3, 0x7fc00000, v3, s2
	v_cmp_o_f32_e64 s2, v0, v0
	v_add3_u32 v11, v4, v11, 0x7fff
	v_add3_u32 v9, v0, v9, 0x7fff
	;; [unrolled: 1-line block ×3, first 2 shown]
	v_bfe_u32 v13, v3, 16, 1
	v_cmp_o_f32_e64 s3, v4, v4
	v_and_b32_e32 v11, 0xffff0000, v11
	v_lshrrev_b32_e32 v9, 16, v9
	v_and_b32_e32 v12, 0xffff0000, v12
	v_add3_u32 v13, v3, v13, 0x7fff
	s_delay_alu instid0(VALU_DEP_4) | instskip(NEXT) | instid1(VALU_DEP_4)
	v_cndmask_b32_e64 v4, 0x7fc00000, v11, s3
	v_cndmask_b32_e64 v9, 0x7fc0, v9, s2
	v_cmp_o_f32_e64 s2, v10, v10
	s_delay_alu instid0(VALU_DEP_4) | instskip(NEXT) | instid1(VALU_DEP_2)
	v_lshrrev_b32_e32 v0, 16, v13
	v_cndmask_b32_e64 v10, 0x7fc00000, v12, s2
	v_cmp_o_f32_e64 s2, v3, v3
	v_or_b32_e32 v3, v9, v4
	s_delay_alu instid0(VALU_DEP_2) | instskip(NEXT) | instid1(VALU_DEP_2)
	v_cndmask_b32_e64 v0, 0x7fc0, v0, s2
	v_or3_b32 v3, v3, 0, 0
	s_delay_alu instid0(VALU_DEP_2)
	v_or3_b32 v4, 0, v0, v10
	global_store_b64 v[5:6], v[3:4], off
	s_and_not1_b32 exec_lo, exec_lo, s33
	s_cbranch_execnz .LBB95_24
.LBB95_25:
	s_nop 0
	s_sendmsg sendmsg(MSG_DEALLOC_VGPRS)
	s_endpgm
	.section	.rodata,"a",@progbits
	.p2align	6, 0x0
	.amdhsa_kernel _ZN2at6native12_GLOBAL__N_125multi_tensor_apply_kernelINS1_28TensorListScalarListMetadataIfLi2EEENS1_25BinaryOpScalarListFunctorIN3c108BFloat16ELi2ELi1ELi1EEEJNS1_13power_functorIfEEEEEvT_T0_DpT1_
		.amdhsa_group_segment_fixed_size 0
		.amdhsa_private_segment_fixed_size 0
		.amdhsa_kernarg_size 3656
		.amdhsa_user_sgpr_count 15
		.amdhsa_user_sgpr_dispatch_ptr 0
		.amdhsa_user_sgpr_queue_ptr 0
		.amdhsa_user_sgpr_kernarg_segment_ptr 1
		.amdhsa_user_sgpr_dispatch_id 0
		.amdhsa_user_sgpr_private_segment_size 0
		.amdhsa_wavefront_size32 1
		.amdhsa_uses_dynamic_stack 0
		.amdhsa_enable_private_segment 0
		.amdhsa_system_sgpr_workgroup_id_x 1
		.amdhsa_system_sgpr_workgroup_id_y 0
		.amdhsa_system_sgpr_workgroup_id_z 0
		.amdhsa_system_sgpr_workgroup_info 0
		.amdhsa_system_vgpr_workitem_id 0
		.amdhsa_next_free_vgpr 74
		.amdhsa_next_free_sgpr 41
		.amdhsa_reserve_vcc 1
		.amdhsa_float_round_mode_32 0
		.amdhsa_float_round_mode_16_64 0
		.amdhsa_float_denorm_mode_32 3
		.amdhsa_float_denorm_mode_16_64 3
		.amdhsa_dx10_clamp 1
		.amdhsa_ieee_mode 1
		.amdhsa_fp16_overflow 0
		.amdhsa_workgroup_processor_mode 1
		.amdhsa_memory_ordered 1
		.amdhsa_forward_progress 0
		.amdhsa_shared_vgpr_count 0
		.amdhsa_exception_fp_ieee_invalid_op 0
		.amdhsa_exception_fp_denorm_src 0
		.amdhsa_exception_fp_ieee_div_zero 0
		.amdhsa_exception_fp_ieee_overflow 0
		.amdhsa_exception_fp_ieee_underflow 0
		.amdhsa_exception_fp_ieee_inexact 0
		.amdhsa_exception_int_div_zero 0
	.end_amdhsa_kernel
	.section	.text._ZN2at6native12_GLOBAL__N_125multi_tensor_apply_kernelINS1_28TensorListScalarListMetadataIfLi2EEENS1_25BinaryOpScalarListFunctorIN3c108BFloat16ELi2ELi1ELi1EEEJNS1_13power_functorIfEEEEEvT_T0_DpT1_,"axG",@progbits,_ZN2at6native12_GLOBAL__N_125multi_tensor_apply_kernelINS1_28TensorListScalarListMetadataIfLi2EEENS1_25BinaryOpScalarListFunctorIN3c108BFloat16ELi2ELi1ELi1EEEJNS1_13power_functorIfEEEEEvT_T0_DpT1_,comdat
.Lfunc_end95:
	.size	_ZN2at6native12_GLOBAL__N_125multi_tensor_apply_kernelINS1_28TensorListScalarListMetadataIfLi2EEENS1_25BinaryOpScalarListFunctorIN3c108BFloat16ELi2ELi1ELi1EEEJNS1_13power_functorIfEEEEEvT_T0_DpT1_, .Lfunc_end95-_ZN2at6native12_GLOBAL__N_125multi_tensor_apply_kernelINS1_28TensorListScalarListMetadataIfLi2EEENS1_25BinaryOpScalarListFunctorIN3c108BFloat16ELi2ELi1ELi1EEEJNS1_13power_functorIfEEEEEvT_T0_DpT1_
                                        ; -- End function
	.section	.AMDGPU.csdata,"",@progbits
; Kernel info:
; codeLenInByte = 11228
; NumSgprs: 43
; NumVgprs: 74
; ScratchSize: 0
; MemoryBound: 0
; FloatMode: 240
; IeeeMode: 1
; LDSByteSize: 0 bytes/workgroup (compile time only)
; SGPRBlocks: 5
; VGPRBlocks: 9
; NumSGPRsForWavesPerEU: 43
; NumVGPRsForWavesPerEU: 74
; Occupancy: 16
; WaveLimiterHint : 0
; COMPUTE_PGM_RSRC2:SCRATCH_EN: 0
; COMPUTE_PGM_RSRC2:USER_SGPR: 15
; COMPUTE_PGM_RSRC2:TRAP_HANDLER: 0
; COMPUTE_PGM_RSRC2:TGID_X_EN: 1
; COMPUTE_PGM_RSRC2:TGID_Y_EN: 0
; COMPUTE_PGM_RSRC2:TGID_Z_EN: 0
; COMPUTE_PGM_RSRC2:TIDIG_COMP_CNT: 0
	.section	.text._ZN2at6native12_GLOBAL__N_125multi_tensor_apply_kernelINS1_28TensorListScalarListMetadataIhLi1EEENS1_25BinaryOpScalarListFunctorIhLi1ELi1ELi0EEEJSt5minusIhEEEEvT_T0_DpT1_,"axG",@progbits,_ZN2at6native12_GLOBAL__N_125multi_tensor_apply_kernelINS1_28TensorListScalarListMetadataIhLi1EEENS1_25BinaryOpScalarListFunctorIhLi1ELi1ELi0EEEJSt5minusIhEEEEvT_T0_DpT1_,comdat
	.globl	_ZN2at6native12_GLOBAL__N_125multi_tensor_apply_kernelINS1_28TensorListScalarListMetadataIhLi1EEENS1_25BinaryOpScalarListFunctorIhLi1ELi1ELi0EEEJSt5minusIhEEEEvT_T0_DpT1_ ; -- Begin function _ZN2at6native12_GLOBAL__N_125multi_tensor_apply_kernelINS1_28TensorListScalarListMetadataIhLi1EEENS1_25BinaryOpScalarListFunctorIhLi1ELi1ELi0EEEJSt5minusIhEEEEvT_T0_DpT1_
	.p2align	8
	.type	_ZN2at6native12_GLOBAL__N_125multi_tensor_apply_kernelINS1_28TensorListScalarListMetadataIhLi1EEENS1_25BinaryOpScalarListFunctorIhLi1ELi1ELi0EEEJSt5minusIhEEEEvT_T0_DpT1_,@function
_ZN2at6native12_GLOBAL__N_125multi_tensor_apply_kernelINS1_28TensorListScalarListMetadataIhLi1EEENS1_25BinaryOpScalarListFunctorIhLi1ELi1ELi0EEEJSt5minusIhEEEEvT_T0_DpT1_: ; @_ZN2at6native12_GLOBAL__N_125multi_tensor_apply_kernelINS1_28TensorListScalarListMetadataIhLi1EEENS1_25BinaryOpScalarListFunctorIhLi1ELi1ELi0EEEJSt5minusIhEEEEvT_T0_DpT1_
; %bb.0:
	v_mov_b32_e32 v1, s15
	s_mul_i32 s4, s15, 3
	s_mul_hi_u32 s5, s15, 3
	global_load_u8 v3, v1, s[0:1] offset:1632
	s_waitcnt vmcnt(0)
	v_add_co_u32 v1, s2, s0, v3
	s_delay_alu instid0(VALU_DEP_1)
	v_add_co_ci_u32_e64 v2, null, s1, 0, s2
	s_add_u32 s2, s0, s15
	s_addc_u32 s3, s1, 0
	s_add_u32 s2, s2, s4
	global_load_u8 v2, v[1:2], off offset:1536
	v_readfirstlane_b32 s6, v3
	s_addc_u32 s3, s3, s5
	s_load_b32 s4, s[2:3], 0x7a0
	s_delay_alu instid0(VALU_DEP_1)
	s_lshl_b32 s5, s6, 3
	s_clause 0x1
	s_load_b64 s[2:3], s[0:1], s5 offset:0x0
	s_load_b64 s[8:9], s[0:1], s5 offset:0x300
	s_waitcnt lgkmcnt(0)
	s_ashr_i32 s5, s4, 31
	s_delay_alu instid0(SALU_CYCLE_1) | instskip(NEXT) | instid1(SALU_CYCLE_1)
	s_lshl_b64 s[4:5], s[4:5], 16
	s_add_u32 s12, s2, s4
	s_addc_u32 s13, s3, s5
	s_sub_u32 s6, s8, s4
	s_subb_u32 s7, s9, s5
	s_or_b32 s8, s8, s12
	s_delay_alu instid0(SALU_CYCLE_1) | instskip(NEXT) | instid1(SALU_CYCLE_1)
	s_and_b32 s8, s8, 3
	s_cmp_eq_u32 s8, 0
	s_cbranch_scc1 .LBB96_21
; %bb.1:
	v_cmp_lt_i64_e64 s8, s[6:7], 1
	s_delay_alu instid0(VALU_DEP_1)
	s_and_b32 vcc_lo, exec_lo, s8
	s_cbranch_vccnz .LBB96_20
; %bb.2:
	s_load_b32 s8, s[0:1], 0xcb4
	v_add_co_u32 v12, s9, s4, v0
	s_delay_alu instid0(VALU_DEP_1) | instskip(SKIP_1) | instid1(VALU_DEP_3)
	v_add_co_ci_u32_e64 v13, null, s5, 0, s9
	v_cmp_gt_u64_e64 s9, 0x10000, s[6:7]
	v_add_co_u32 v1, vcc_lo, s2, v12
	s_delay_alu instid0(VALU_DEP_3) | instskip(SKIP_2) | instid1(VALU_DEP_3)
	v_add_co_ci_u32_e32 v3, vcc_lo, s3, v13, vcc_lo
	s_waitcnt lgkmcnt(0)
	s_and_b32 s10, s8, 0xffff
	s_and_b32 s8, s9, exec_lo
	s_mul_i32 s15, s10, 3
	s_cselect_b32 s9, s7, 0
	s_cselect_b32 s8, s6, 0x10000
	s_lshl_b32 s11, s10, 1
	s_lshl_b32 s14, s10, 2
	s_add_u32 s16, s4, s15
	v_add_co_u32 v4, s15, s15, v0
	s_delay_alu instid0(VALU_DEP_1)
	v_add_co_ci_u32_e64 v5, null, 0, 0, s15
	s_addc_u32 s15, s5, 0
	s_add_u32 s16, s2, s16
	s_addc_u32 s15, s3, s15
	s_add_u32 s4, s4, s11
	s_addc_u32 s5, s5, 0
	s_add_u32 s4, s2, s4
	s_addc_u32 s5, s3, s5
	v_add_co_u32 v8, s4, s4, v0
	s_add_u32 s2, s2, s10
	v_add_co_u32 v6, s16, s16, v0
	v_add_co_ci_u32_e64 v9, null, s5, 0, s4
	v_add_co_u32 v10, s4, s11, v0
	s_addc_u32 s3, s3, 0
	v_add_co_u32 v12, vcc_lo, s2, v12
	v_add_co_u32 v14, s2, v0, s10
	v_add_co_ci_u32_e64 v7, null, s15, 0, s16
	v_add_co_ci_u32_e64 v11, null, 0, 0, s4
	v_add_co_ci_u32_e32 v13, vcc_lo, s3, v13, vcc_lo
	v_add_co_ci_u32_e64 v15, null, 0, 0, s2
	s_mov_b64 s[10:11], 0
	s_branch .LBB96_4
.LBB96_3:                               ;   in Loop: Header=BB96_4 Depth=1
	s_or_b32 exec_lo, exec_lo, s2
	s_add_u32 s10, s10, s14
	s_addc_u32 s11, s11, 0
	s_delay_alu instid0(SALU_CYCLE_1) | instskip(SKIP_1) | instid1(VALU_DEP_1)
	v_cmp_lt_i64_e64 s2, s[10:11], s[6:7]
	v_cmp_gt_u64_e64 s3, 0x10000, s[10:11]
	s_and_b32 s2, s2, s3
	s_delay_alu instid0(SALU_CYCLE_1)
	s_and_b32 vcc_lo, exec_lo, s2
	s_cbranch_vccz .LBB96_20
.LBB96_4:                               ; =>This Inner Loop Header: Depth=1
	s_waitcnt vmcnt(0)
	v_add_co_u32 v16, s2, v0, s10
	s_delay_alu instid0(VALU_DEP_1) | instskip(NEXT) | instid1(VALU_DEP_1)
	v_add_co_ci_u32_e64 v17, null, 0, s11, s2
	v_cmp_gt_u64_e32 vcc_lo, s[8:9], v[16:17]
	v_mov_b32_e32 v16, 0
	s_and_saveexec_b32 s3, vcc_lo
	s_cbranch_execz .LBB96_6
; %bb.5:                                ;   in Loop: Header=BB96_4 Depth=1
	v_add_co_u32 v16, s2, v1, s10
	s_delay_alu instid0(VALU_DEP_1)
	v_add_co_ci_u32_e64 v17, s2, s11, v3, s2
	global_load_u8 v16, v[16:17], off
.LBB96_6:                               ;   in Loop: Header=BB96_4 Depth=1
	s_or_b32 exec_lo, exec_lo, s3
	v_add_co_u32 v17, s2, v14, s10
	s_delay_alu instid0(VALU_DEP_1) | instskip(NEXT) | instid1(VALU_DEP_1)
	v_add_co_ci_u32_e64 v18, s2, s11, v15, s2
	v_cmp_gt_u64_e64 s2, s[8:9], v[17:18]
	v_mov_b32_e32 v18, 0
	s_delay_alu instid0(VALU_DEP_2)
	s_and_saveexec_b32 s4, s2
	s_cbranch_execz .LBB96_8
; %bb.7:                                ;   in Loop: Header=BB96_4 Depth=1
	v_add_co_u32 v17, s3, v12, s10
	s_delay_alu instid0(VALU_DEP_1)
	v_add_co_ci_u32_e64 v18, s3, s11, v13, s3
	global_load_u8 v18, v[17:18], off
.LBB96_8:                               ;   in Loop: Header=BB96_4 Depth=1
	s_or_b32 exec_lo, exec_lo, s4
	v_add_co_u32 v19, s3, v10, s10
	s_delay_alu instid0(VALU_DEP_1) | instskip(SKIP_1) | instid1(VALU_DEP_2)
	v_add_co_ci_u32_e64 v20, s3, s11, v11, s3
	v_mov_b32_e32 v17, 0
	v_cmp_gt_u64_e64 s3, s[8:9], v[19:20]
	v_mov_b32_e32 v19, 0
	s_delay_alu instid0(VALU_DEP_2)
	s_and_saveexec_b32 s5, s3
	s_cbranch_execz .LBB96_10
; %bb.9:                                ;   in Loop: Header=BB96_4 Depth=1
	v_add_co_u32 v19, s4, v8, s10
	s_delay_alu instid0(VALU_DEP_1)
	v_add_co_ci_u32_e64 v20, s4, s11, v9, s4
	global_load_u8 v19, v[19:20], off
.LBB96_10:                              ;   in Loop: Header=BB96_4 Depth=1
	s_or_b32 exec_lo, exec_lo, s5
	v_add_co_u32 v20, s4, v4, s10
	s_delay_alu instid0(VALU_DEP_1) | instskip(NEXT) | instid1(VALU_DEP_1)
	v_add_co_ci_u32_e64 v21, s4, s11, v5, s4
	v_cmp_gt_u64_e64 s4, s[8:9], v[20:21]
	s_delay_alu instid0(VALU_DEP_1)
	s_and_saveexec_b32 s15, s4
	s_cbranch_execnz .LBB96_15
; %bb.11:                               ;   in Loop: Header=BB96_4 Depth=1
	s_or_b32 exec_lo, exec_lo, s15
	s_and_saveexec_b32 s5, vcc_lo
	s_cbranch_execnz .LBB96_16
.LBB96_12:                              ;   in Loop: Header=BB96_4 Depth=1
	s_or_b32 exec_lo, exec_lo, s5
	s_and_saveexec_b32 s5, s2
	s_cbranch_execnz .LBB96_17
.LBB96_13:                              ;   in Loop: Header=BB96_4 Depth=1
	s_or_b32 exec_lo, exec_lo, s5
	s_and_saveexec_b32 s2, s3
	s_cbranch_execnz .LBB96_18
.LBB96_14:                              ;   in Loop: Header=BB96_4 Depth=1
	s_or_b32 exec_lo, exec_lo, s2
	s_and_saveexec_b32 s2, s4
	s_cbranch_execz .LBB96_3
	s_branch .LBB96_19
.LBB96_15:                              ;   in Loop: Header=BB96_4 Depth=1
	v_add_co_u32 v20, s5, v6, s10
	s_delay_alu instid0(VALU_DEP_1)
	v_add_co_ci_u32_e64 v21, s5, s11, v7, s5
	global_load_u8 v17, v[20:21], off
	s_or_b32 exec_lo, exec_lo, s15
	s_and_saveexec_b32 s5, vcc_lo
	s_cbranch_execz .LBB96_12
.LBB96_16:                              ;   in Loop: Header=BB96_4 Depth=1
	v_add_co_u32 v20, vcc_lo, v1, s10
	s_waitcnt vmcnt(0)
	v_sub_nc_u16 v16, v16, v2
	v_add_co_ci_u32_e32 v21, vcc_lo, s11, v3, vcc_lo
	global_store_b8 v[20:21], v16, off
	s_or_b32 exec_lo, exec_lo, s5
	s_and_saveexec_b32 s5, s2
	s_cbranch_execz .LBB96_13
.LBB96_17:                              ;   in Loop: Header=BB96_4 Depth=1
	v_add_co_u32 v20, vcc_lo, v12, s10
	s_waitcnt vmcnt(0)
	v_sub_nc_u16 v16, v18, v2
	v_add_co_ci_u32_e32 v21, vcc_lo, s11, v13, vcc_lo
	global_store_b8 v[20:21], v16, off
	s_or_b32 exec_lo, exec_lo, s5
	s_and_saveexec_b32 s2, s3
	s_cbranch_execz .LBB96_14
.LBB96_18:                              ;   in Loop: Header=BB96_4 Depth=1
	s_waitcnt vmcnt(0)
	v_add_co_u32 v18, vcc_lo, v8, s10
	v_sub_nc_u16 v16, v19, v2
	v_add_co_ci_u32_e32 v19, vcc_lo, s11, v9, vcc_lo
	global_store_b8 v[18:19], v16, off
	s_or_b32 exec_lo, exec_lo, s2
	s_and_saveexec_b32 s2, s4
	s_cbranch_execz .LBB96_3
.LBB96_19:                              ;   in Loop: Header=BB96_4 Depth=1
	s_waitcnt vmcnt(0)
	v_add_co_u32 v16, vcc_lo, v6, s10
	v_sub_nc_u16 v18, v17, v2
	v_add_co_ci_u32_e32 v17, vcc_lo, s11, v7, vcc_lo
	global_store_b8 v[16:17], v18, off
	s_branch .LBB96_3
.LBB96_20:
	s_cbranch_execz .LBB96_22
	s_branch .LBB96_25
.LBB96_21:
.LBB96_22:
	v_dual_mov_b32 v1, 0 :: v_dual_lshlrev_b32 v0, 2, v0
	s_mov_b32 s2, exec_lo
	s_delay_alu instid0(VALU_DEP_1)
	v_cmpx_gt_i64_e64 s[6:7], v[0:1]
	s_cbranch_execz .LBB96_25
; %bb.23:
	s_load_b32 s0, s[0:1], 0xcb4
	s_mov_b32 s2, 0
	s_waitcnt lgkmcnt(0)
	s_and_b32 s0, s0, 0xffff
	s_delay_alu instid0(SALU_CYCLE_1)
	s_lshl_b32 s1, s0, 2
	s_set_inst_prefetch_distance 0x1
	.p2align	6
.LBB96_24:                              ; =>This Inner Loop Header: Depth=1
	v_add_co_u32 v3, vcc_lo, s12, v0
	v_add_co_ci_u32_e32 v4, vcc_lo, s13, v1, vcc_lo
	v_add_co_u32 v0, vcc_lo, s1, v0
	v_add_co_ci_u32_e32 v1, vcc_lo, 0, v1, vcc_lo
	global_load_b32 v5, v[3:4], off
	v_cmp_le_i64_e32 vcc_lo, s[6:7], v[0:1]
	v_cmp_lt_u64_e64 s0, 0xffff, v[0:1]
	s_delay_alu instid0(VALU_DEP_1) | instskip(NEXT) | instid1(SALU_CYCLE_1)
	s_or_b32 s0, vcc_lo, s0
	s_and_b32 s0, exec_lo, s0
	s_delay_alu instid0(SALU_CYCLE_1)
	s_or_b32 s2, s0, s2
	s_waitcnt vmcnt(0)
	v_lshrrev_b32_e32 v6, 16, v5
	v_lshrrev_b32_e32 v7, 8, v5
	;; [unrolled: 1-line block ×3, first 2 shown]
	v_sub_nc_u16 v5, v5, v2
	s_delay_alu instid0(VALU_DEP_4) | instskip(NEXT) | instid1(VALU_DEP_4)
	v_sub_nc_u16 v6, v6, v2
	v_sub_nc_u16 v7, v7, v2
	s_delay_alu instid0(VALU_DEP_4) | instskip(NEXT) | instid1(VALU_DEP_4)
	v_sub_nc_u16 v8, v8, v2
	v_and_b32_e32 v5, 0xff, v5
	s_delay_alu instid0(VALU_DEP_4) | instskip(NEXT) | instid1(VALU_DEP_4)
	v_and_b32_e32 v6, 0xff, v6
	v_and_b32_e32 v7, 0xff, v7
	s_delay_alu instid0(VALU_DEP_2) | instskip(NEXT) | instid1(VALU_DEP_2)
	v_lshlrev_b32_e32 v6, 16, v6
	v_lshlrev_b32_e32 v7, 8, v7
	s_delay_alu instid0(VALU_DEP_2) | instskip(NEXT) | instid1(VALU_DEP_1)
	v_lshl_or_b32 v6, v8, 24, v6
	v_or3_b32 v5, v6, v7, v5
	global_store_b32 v[3:4], v5, off
	s_and_not1_b32 exec_lo, exec_lo, s2
	s_cbranch_execnz .LBB96_24
.LBB96_25:
	s_set_inst_prefetch_distance 0x2
	s_nop 0
	s_sendmsg sendmsg(MSG_DEALLOC_VGPRS)
	s_endpgm
	.section	.rodata,"a",@progbits
	.p2align	6, 0x0
	.amdhsa_kernel _ZN2at6native12_GLOBAL__N_125multi_tensor_apply_kernelINS1_28TensorListScalarListMetadataIhLi1EEENS1_25BinaryOpScalarListFunctorIhLi1ELi1ELi0EEEJSt5minusIhEEEEvT_T0_DpT1_
		.amdhsa_group_segment_fixed_size 0
		.amdhsa_private_segment_fixed_size 0
		.amdhsa_kernarg_size 3496
		.amdhsa_user_sgpr_count 15
		.amdhsa_user_sgpr_dispatch_ptr 0
		.amdhsa_user_sgpr_queue_ptr 0
		.amdhsa_user_sgpr_kernarg_segment_ptr 1
		.amdhsa_user_sgpr_dispatch_id 0
		.amdhsa_user_sgpr_private_segment_size 0
		.amdhsa_wavefront_size32 1
		.amdhsa_uses_dynamic_stack 0
		.amdhsa_enable_private_segment 0
		.amdhsa_system_sgpr_workgroup_id_x 1
		.amdhsa_system_sgpr_workgroup_id_y 0
		.amdhsa_system_sgpr_workgroup_id_z 0
		.amdhsa_system_sgpr_workgroup_info 0
		.amdhsa_system_vgpr_workitem_id 0
		.amdhsa_next_free_vgpr 22
		.amdhsa_next_free_sgpr 17
		.amdhsa_reserve_vcc 1
		.amdhsa_float_round_mode_32 0
		.amdhsa_float_round_mode_16_64 0
		.amdhsa_float_denorm_mode_32 3
		.amdhsa_float_denorm_mode_16_64 3
		.amdhsa_dx10_clamp 1
		.amdhsa_ieee_mode 1
		.amdhsa_fp16_overflow 0
		.amdhsa_workgroup_processor_mode 1
		.amdhsa_memory_ordered 1
		.amdhsa_forward_progress 0
		.amdhsa_shared_vgpr_count 0
		.amdhsa_exception_fp_ieee_invalid_op 0
		.amdhsa_exception_fp_denorm_src 0
		.amdhsa_exception_fp_ieee_div_zero 0
		.amdhsa_exception_fp_ieee_overflow 0
		.amdhsa_exception_fp_ieee_underflow 0
		.amdhsa_exception_fp_ieee_inexact 0
		.amdhsa_exception_int_div_zero 0
	.end_amdhsa_kernel
	.section	.text._ZN2at6native12_GLOBAL__N_125multi_tensor_apply_kernelINS1_28TensorListScalarListMetadataIhLi1EEENS1_25BinaryOpScalarListFunctorIhLi1ELi1ELi0EEEJSt5minusIhEEEEvT_T0_DpT1_,"axG",@progbits,_ZN2at6native12_GLOBAL__N_125multi_tensor_apply_kernelINS1_28TensorListScalarListMetadataIhLi1EEENS1_25BinaryOpScalarListFunctorIhLi1ELi1ELi0EEEJSt5minusIhEEEEvT_T0_DpT1_,comdat
.Lfunc_end96:
	.size	_ZN2at6native12_GLOBAL__N_125multi_tensor_apply_kernelINS1_28TensorListScalarListMetadataIhLi1EEENS1_25BinaryOpScalarListFunctorIhLi1ELi1ELi0EEEJSt5minusIhEEEEvT_T0_DpT1_, .Lfunc_end96-_ZN2at6native12_GLOBAL__N_125multi_tensor_apply_kernelINS1_28TensorListScalarListMetadataIhLi1EEENS1_25BinaryOpScalarListFunctorIhLi1ELi1ELi0EEEJSt5minusIhEEEEvT_T0_DpT1_
                                        ; -- End function
	.section	.AMDGPU.csdata,"",@progbits
; Kernel info:
; codeLenInByte = 1288
; NumSgprs: 19
; NumVgprs: 22
; ScratchSize: 0
; MemoryBound: 0
; FloatMode: 240
; IeeeMode: 1
; LDSByteSize: 0 bytes/workgroup (compile time only)
; SGPRBlocks: 2
; VGPRBlocks: 2
; NumSGPRsForWavesPerEU: 19
; NumVGPRsForWavesPerEU: 22
; Occupancy: 16
; WaveLimiterHint : 0
; COMPUTE_PGM_RSRC2:SCRATCH_EN: 0
; COMPUTE_PGM_RSRC2:USER_SGPR: 15
; COMPUTE_PGM_RSRC2:TRAP_HANDLER: 0
; COMPUTE_PGM_RSRC2:TGID_X_EN: 1
; COMPUTE_PGM_RSRC2:TGID_Y_EN: 0
; COMPUTE_PGM_RSRC2:TGID_Z_EN: 0
; COMPUTE_PGM_RSRC2:TIDIG_COMP_CNT: 0
	.section	.text._ZN2at6native12_GLOBAL__N_125multi_tensor_apply_kernelINS1_28TensorListScalarListMetadataIaLi1EEENS1_25BinaryOpScalarListFunctorIaLi1ELi1ELi0EEEJSt5minusIaEEEEvT_T0_DpT1_,"axG",@progbits,_ZN2at6native12_GLOBAL__N_125multi_tensor_apply_kernelINS1_28TensorListScalarListMetadataIaLi1EEENS1_25BinaryOpScalarListFunctorIaLi1ELi1ELi0EEEJSt5minusIaEEEEvT_T0_DpT1_,comdat
	.globl	_ZN2at6native12_GLOBAL__N_125multi_tensor_apply_kernelINS1_28TensorListScalarListMetadataIaLi1EEENS1_25BinaryOpScalarListFunctorIaLi1ELi1ELi0EEEJSt5minusIaEEEEvT_T0_DpT1_ ; -- Begin function _ZN2at6native12_GLOBAL__N_125multi_tensor_apply_kernelINS1_28TensorListScalarListMetadataIaLi1EEENS1_25BinaryOpScalarListFunctorIaLi1ELi1ELi0EEEJSt5minusIaEEEEvT_T0_DpT1_
	.p2align	8
	.type	_ZN2at6native12_GLOBAL__N_125multi_tensor_apply_kernelINS1_28TensorListScalarListMetadataIaLi1EEENS1_25BinaryOpScalarListFunctorIaLi1ELi1ELi0EEEJSt5minusIaEEEEvT_T0_DpT1_,@function
_ZN2at6native12_GLOBAL__N_125multi_tensor_apply_kernelINS1_28TensorListScalarListMetadataIaLi1EEENS1_25BinaryOpScalarListFunctorIaLi1ELi1ELi0EEEJSt5minusIaEEEEvT_T0_DpT1_: ; @_ZN2at6native12_GLOBAL__N_125multi_tensor_apply_kernelINS1_28TensorListScalarListMetadataIaLi1EEENS1_25BinaryOpScalarListFunctorIaLi1ELi1ELi0EEEJSt5minusIaEEEEvT_T0_DpT1_
; %bb.0:
	v_mov_b32_e32 v1, s15
	s_mul_i32 s4, s15, 3
	s_mul_hi_u32 s5, s15, 3
	global_load_u8 v3, v1, s[0:1] offset:1632
	s_waitcnt vmcnt(0)
	v_add_co_u32 v1, s2, s0, v3
	s_delay_alu instid0(VALU_DEP_1)
	v_add_co_ci_u32_e64 v2, null, s1, 0, s2
	s_add_u32 s2, s0, s15
	s_addc_u32 s3, s1, 0
	s_add_u32 s2, s2, s4
	global_load_u8 v2, v[1:2], off offset:1536
	v_readfirstlane_b32 s6, v3
	s_addc_u32 s3, s3, s5
	s_load_b32 s4, s[2:3], 0x7a0
	s_delay_alu instid0(VALU_DEP_1)
	s_lshl_b32 s5, s6, 3
	s_clause 0x1
	s_load_b64 s[2:3], s[0:1], s5 offset:0x0
	s_load_b64 s[8:9], s[0:1], s5 offset:0x300
	s_waitcnt lgkmcnt(0)
	s_ashr_i32 s5, s4, 31
	s_delay_alu instid0(SALU_CYCLE_1) | instskip(NEXT) | instid1(SALU_CYCLE_1)
	s_lshl_b64 s[4:5], s[4:5], 16
	s_add_u32 s12, s2, s4
	s_addc_u32 s13, s3, s5
	s_sub_u32 s6, s8, s4
	s_subb_u32 s7, s9, s5
	s_or_b32 s8, s8, s12
	s_delay_alu instid0(SALU_CYCLE_1) | instskip(NEXT) | instid1(SALU_CYCLE_1)
	s_and_b32 s8, s8, 3
	s_cmp_eq_u32 s8, 0
	s_cbranch_scc1 .LBB97_21
; %bb.1:
	v_cmp_lt_i64_e64 s8, s[6:7], 1
	s_delay_alu instid0(VALU_DEP_1)
	s_and_b32 vcc_lo, exec_lo, s8
	s_cbranch_vccnz .LBB97_20
; %bb.2:
	s_load_b32 s8, s[0:1], 0xcb4
	v_add_co_u32 v12, s9, s4, v0
	s_delay_alu instid0(VALU_DEP_1) | instskip(SKIP_1) | instid1(VALU_DEP_3)
	v_add_co_ci_u32_e64 v13, null, s5, 0, s9
	v_cmp_gt_u64_e64 s9, 0x10000, s[6:7]
	v_add_co_u32 v1, vcc_lo, s2, v12
	s_delay_alu instid0(VALU_DEP_3) | instskip(SKIP_2) | instid1(VALU_DEP_3)
	v_add_co_ci_u32_e32 v3, vcc_lo, s3, v13, vcc_lo
	s_waitcnt lgkmcnt(0)
	s_and_b32 s10, s8, 0xffff
	s_and_b32 s8, s9, exec_lo
	s_mul_i32 s15, s10, 3
	s_cselect_b32 s9, s7, 0
	s_cselect_b32 s8, s6, 0x10000
	s_lshl_b32 s11, s10, 1
	s_lshl_b32 s14, s10, 2
	s_add_u32 s16, s4, s15
	v_add_co_u32 v4, s15, s15, v0
	s_delay_alu instid0(VALU_DEP_1)
	v_add_co_ci_u32_e64 v5, null, 0, 0, s15
	s_addc_u32 s15, s5, 0
	s_add_u32 s16, s2, s16
	s_addc_u32 s15, s3, s15
	s_add_u32 s4, s4, s11
	;; [unrolled: 2-line block ×3, first 2 shown]
	s_addc_u32 s5, s3, s5
	v_add_co_u32 v8, s4, s4, v0
	s_add_u32 s2, s2, s10
	v_add_co_u32 v6, s16, s16, v0
	v_add_co_ci_u32_e64 v9, null, s5, 0, s4
	v_add_co_u32 v10, s4, s11, v0
	s_addc_u32 s3, s3, 0
	v_add_co_u32 v12, vcc_lo, s2, v12
	v_add_co_u32 v14, s2, v0, s10
	v_add_co_ci_u32_e64 v7, null, s15, 0, s16
	v_add_co_ci_u32_e64 v11, null, 0, 0, s4
	v_add_co_ci_u32_e32 v13, vcc_lo, s3, v13, vcc_lo
	v_add_co_ci_u32_e64 v15, null, 0, 0, s2
	s_mov_b64 s[10:11], 0
	s_branch .LBB97_4
.LBB97_3:                               ;   in Loop: Header=BB97_4 Depth=1
	s_or_b32 exec_lo, exec_lo, s2
	s_add_u32 s10, s10, s14
	s_addc_u32 s11, s11, 0
	s_delay_alu instid0(SALU_CYCLE_1) | instskip(SKIP_1) | instid1(VALU_DEP_1)
	v_cmp_lt_i64_e64 s2, s[10:11], s[6:7]
	v_cmp_gt_u64_e64 s3, 0x10000, s[10:11]
	s_and_b32 s2, s2, s3
	s_delay_alu instid0(SALU_CYCLE_1)
	s_and_b32 vcc_lo, exec_lo, s2
	s_cbranch_vccz .LBB97_20
.LBB97_4:                               ; =>This Inner Loop Header: Depth=1
	s_waitcnt vmcnt(0)
	v_add_co_u32 v16, s2, v0, s10
	s_delay_alu instid0(VALU_DEP_1) | instskip(NEXT) | instid1(VALU_DEP_1)
	v_add_co_ci_u32_e64 v17, null, 0, s11, s2
	v_cmp_gt_u64_e32 vcc_lo, s[8:9], v[16:17]
	v_mov_b32_e32 v16, 0
	s_and_saveexec_b32 s3, vcc_lo
	s_cbranch_execz .LBB97_6
; %bb.5:                                ;   in Loop: Header=BB97_4 Depth=1
	v_add_co_u32 v16, s2, v1, s10
	s_delay_alu instid0(VALU_DEP_1)
	v_add_co_ci_u32_e64 v17, s2, s11, v3, s2
	global_load_u8 v16, v[16:17], off
.LBB97_6:                               ;   in Loop: Header=BB97_4 Depth=1
	s_or_b32 exec_lo, exec_lo, s3
	v_add_co_u32 v17, s2, v14, s10
	s_delay_alu instid0(VALU_DEP_1) | instskip(NEXT) | instid1(VALU_DEP_1)
	v_add_co_ci_u32_e64 v18, s2, s11, v15, s2
	v_cmp_gt_u64_e64 s2, s[8:9], v[17:18]
	v_mov_b32_e32 v18, 0
	s_delay_alu instid0(VALU_DEP_2)
	s_and_saveexec_b32 s4, s2
	s_cbranch_execz .LBB97_8
; %bb.7:                                ;   in Loop: Header=BB97_4 Depth=1
	v_add_co_u32 v17, s3, v12, s10
	s_delay_alu instid0(VALU_DEP_1)
	v_add_co_ci_u32_e64 v18, s3, s11, v13, s3
	global_load_u8 v18, v[17:18], off
.LBB97_8:                               ;   in Loop: Header=BB97_4 Depth=1
	s_or_b32 exec_lo, exec_lo, s4
	v_add_co_u32 v19, s3, v10, s10
	s_delay_alu instid0(VALU_DEP_1) | instskip(SKIP_1) | instid1(VALU_DEP_2)
	v_add_co_ci_u32_e64 v20, s3, s11, v11, s3
	v_mov_b32_e32 v17, 0
	v_cmp_gt_u64_e64 s3, s[8:9], v[19:20]
	v_mov_b32_e32 v19, 0
	s_delay_alu instid0(VALU_DEP_2)
	s_and_saveexec_b32 s5, s3
	s_cbranch_execz .LBB97_10
; %bb.9:                                ;   in Loop: Header=BB97_4 Depth=1
	v_add_co_u32 v19, s4, v8, s10
	s_delay_alu instid0(VALU_DEP_1)
	v_add_co_ci_u32_e64 v20, s4, s11, v9, s4
	global_load_u8 v19, v[19:20], off
.LBB97_10:                              ;   in Loop: Header=BB97_4 Depth=1
	s_or_b32 exec_lo, exec_lo, s5
	v_add_co_u32 v20, s4, v4, s10
	s_delay_alu instid0(VALU_DEP_1) | instskip(NEXT) | instid1(VALU_DEP_1)
	v_add_co_ci_u32_e64 v21, s4, s11, v5, s4
	v_cmp_gt_u64_e64 s4, s[8:9], v[20:21]
	s_delay_alu instid0(VALU_DEP_1)
	s_and_saveexec_b32 s15, s4
	s_cbranch_execnz .LBB97_15
; %bb.11:                               ;   in Loop: Header=BB97_4 Depth=1
	s_or_b32 exec_lo, exec_lo, s15
	s_and_saveexec_b32 s5, vcc_lo
	s_cbranch_execnz .LBB97_16
.LBB97_12:                              ;   in Loop: Header=BB97_4 Depth=1
	s_or_b32 exec_lo, exec_lo, s5
	s_and_saveexec_b32 s5, s2
	s_cbranch_execnz .LBB97_17
.LBB97_13:                              ;   in Loop: Header=BB97_4 Depth=1
	s_or_b32 exec_lo, exec_lo, s5
	s_and_saveexec_b32 s2, s3
	s_cbranch_execnz .LBB97_18
.LBB97_14:                              ;   in Loop: Header=BB97_4 Depth=1
	s_or_b32 exec_lo, exec_lo, s2
	s_and_saveexec_b32 s2, s4
	s_cbranch_execz .LBB97_3
	s_branch .LBB97_19
.LBB97_15:                              ;   in Loop: Header=BB97_4 Depth=1
	v_add_co_u32 v20, s5, v6, s10
	s_delay_alu instid0(VALU_DEP_1)
	v_add_co_ci_u32_e64 v21, s5, s11, v7, s5
	global_load_u8 v17, v[20:21], off
	s_or_b32 exec_lo, exec_lo, s15
	s_and_saveexec_b32 s5, vcc_lo
	s_cbranch_execz .LBB97_12
.LBB97_16:                              ;   in Loop: Header=BB97_4 Depth=1
	v_add_co_u32 v20, vcc_lo, v1, s10
	s_waitcnt vmcnt(0)
	v_sub_nc_u16 v16, v16, v2
	v_add_co_ci_u32_e32 v21, vcc_lo, s11, v3, vcc_lo
	global_store_b8 v[20:21], v16, off
	s_or_b32 exec_lo, exec_lo, s5
	s_and_saveexec_b32 s5, s2
	s_cbranch_execz .LBB97_13
.LBB97_17:                              ;   in Loop: Header=BB97_4 Depth=1
	v_add_co_u32 v20, vcc_lo, v12, s10
	s_waitcnt vmcnt(0)
	v_sub_nc_u16 v16, v18, v2
	v_add_co_ci_u32_e32 v21, vcc_lo, s11, v13, vcc_lo
	global_store_b8 v[20:21], v16, off
	s_or_b32 exec_lo, exec_lo, s5
	s_and_saveexec_b32 s2, s3
	s_cbranch_execz .LBB97_14
.LBB97_18:                              ;   in Loop: Header=BB97_4 Depth=1
	s_waitcnt vmcnt(0)
	v_add_co_u32 v18, vcc_lo, v8, s10
	v_sub_nc_u16 v16, v19, v2
	v_add_co_ci_u32_e32 v19, vcc_lo, s11, v9, vcc_lo
	global_store_b8 v[18:19], v16, off
	s_or_b32 exec_lo, exec_lo, s2
	s_and_saveexec_b32 s2, s4
	s_cbranch_execz .LBB97_3
.LBB97_19:                              ;   in Loop: Header=BB97_4 Depth=1
	s_waitcnt vmcnt(0)
	v_add_co_u32 v16, vcc_lo, v6, s10
	v_sub_nc_u16 v18, v17, v2
	v_add_co_ci_u32_e32 v17, vcc_lo, s11, v7, vcc_lo
	global_store_b8 v[16:17], v18, off
	s_branch .LBB97_3
.LBB97_20:
	s_cbranch_execz .LBB97_22
	s_branch .LBB97_25
.LBB97_21:
.LBB97_22:
	v_dual_mov_b32 v1, 0 :: v_dual_lshlrev_b32 v0, 2, v0
	s_mov_b32 s2, exec_lo
	s_delay_alu instid0(VALU_DEP_1)
	v_cmpx_gt_i64_e64 s[6:7], v[0:1]
	s_cbranch_execz .LBB97_25
; %bb.23:
	s_load_b32 s0, s[0:1], 0xcb4
	s_mov_b32 s2, 0
	s_waitcnt lgkmcnt(0)
	s_and_b32 s0, s0, 0xffff
	s_delay_alu instid0(SALU_CYCLE_1)
	s_lshl_b32 s1, s0, 2
	s_set_inst_prefetch_distance 0x1
	.p2align	6
.LBB97_24:                              ; =>This Inner Loop Header: Depth=1
	v_add_co_u32 v3, vcc_lo, s12, v0
	v_add_co_ci_u32_e32 v4, vcc_lo, s13, v1, vcc_lo
	v_add_co_u32 v0, vcc_lo, s1, v0
	v_add_co_ci_u32_e32 v1, vcc_lo, 0, v1, vcc_lo
	global_load_b32 v5, v[3:4], off
	v_cmp_le_i64_e32 vcc_lo, s[6:7], v[0:1]
	v_cmp_lt_u64_e64 s0, 0xffff, v[0:1]
	s_delay_alu instid0(VALU_DEP_1) | instskip(NEXT) | instid1(SALU_CYCLE_1)
	s_or_b32 s0, vcc_lo, s0
	s_and_b32 s0, exec_lo, s0
	s_delay_alu instid0(SALU_CYCLE_1)
	s_or_b32 s2, s0, s2
	s_waitcnt vmcnt(0)
	v_lshrrev_b32_e32 v6, 16, v5
	v_lshrrev_b32_e32 v7, 8, v5
	;; [unrolled: 1-line block ×3, first 2 shown]
	v_sub_nc_u16 v5, v5, v2
	s_delay_alu instid0(VALU_DEP_4) | instskip(NEXT) | instid1(VALU_DEP_4)
	v_sub_nc_u16 v6, v6, v2
	v_sub_nc_u16 v7, v7, v2
	s_delay_alu instid0(VALU_DEP_4) | instskip(NEXT) | instid1(VALU_DEP_4)
	v_sub_nc_u16 v8, v8, v2
	v_and_b32_e32 v5, 0xff, v5
	s_delay_alu instid0(VALU_DEP_4) | instskip(NEXT) | instid1(VALU_DEP_4)
	v_and_b32_e32 v6, 0xff, v6
	v_and_b32_e32 v7, 0xff, v7
	s_delay_alu instid0(VALU_DEP_2) | instskip(NEXT) | instid1(VALU_DEP_2)
	v_lshlrev_b32_e32 v6, 16, v6
	v_lshlrev_b32_e32 v7, 8, v7
	s_delay_alu instid0(VALU_DEP_2) | instskip(NEXT) | instid1(VALU_DEP_1)
	v_lshl_or_b32 v6, v8, 24, v6
	v_or3_b32 v5, v6, v7, v5
	global_store_b32 v[3:4], v5, off
	s_and_not1_b32 exec_lo, exec_lo, s2
	s_cbranch_execnz .LBB97_24
.LBB97_25:
	s_set_inst_prefetch_distance 0x2
	s_nop 0
	s_sendmsg sendmsg(MSG_DEALLOC_VGPRS)
	s_endpgm
	.section	.rodata,"a",@progbits
	.p2align	6, 0x0
	.amdhsa_kernel _ZN2at6native12_GLOBAL__N_125multi_tensor_apply_kernelINS1_28TensorListScalarListMetadataIaLi1EEENS1_25BinaryOpScalarListFunctorIaLi1ELi1ELi0EEEJSt5minusIaEEEEvT_T0_DpT1_
		.amdhsa_group_segment_fixed_size 0
		.amdhsa_private_segment_fixed_size 0
		.amdhsa_kernarg_size 3496
		.amdhsa_user_sgpr_count 15
		.amdhsa_user_sgpr_dispatch_ptr 0
		.amdhsa_user_sgpr_queue_ptr 0
		.amdhsa_user_sgpr_kernarg_segment_ptr 1
		.amdhsa_user_sgpr_dispatch_id 0
		.amdhsa_user_sgpr_private_segment_size 0
		.amdhsa_wavefront_size32 1
		.amdhsa_uses_dynamic_stack 0
		.amdhsa_enable_private_segment 0
		.amdhsa_system_sgpr_workgroup_id_x 1
		.amdhsa_system_sgpr_workgroup_id_y 0
		.amdhsa_system_sgpr_workgroup_id_z 0
		.amdhsa_system_sgpr_workgroup_info 0
		.amdhsa_system_vgpr_workitem_id 0
		.amdhsa_next_free_vgpr 22
		.amdhsa_next_free_sgpr 17
		.amdhsa_reserve_vcc 1
		.amdhsa_float_round_mode_32 0
		.amdhsa_float_round_mode_16_64 0
		.amdhsa_float_denorm_mode_32 3
		.amdhsa_float_denorm_mode_16_64 3
		.amdhsa_dx10_clamp 1
		.amdhsa_ieee_mode 1
		.amdhsa_fp16_overflow 0
		.amdhsa_workgroup_processor_mode 1
		.amdhsa_memory_ordered 1
		.amdhsa_forward_progress 0
		.amdhsa_shared_vgpr_count 0
		.amdhsa_exception_fp_ieee_invalid_op 0
		.amdhsa_exception_fp_denorm_src 0
		.amdhsa_exception_fp_ieee_div_zero 0
		.amdhsa_exception_fp_ieee_overflow 0
		.amdhsa_exception_fp_ieee_underflow 0
		.amdhsa_exception_fp_ieee_inexact 0
		.amdhsa_exception_int_div_zero 0
	.end_amdhsa_kernel
	.section	.text._ZN2at6native12_GLOBAL__N_125multi_tensor_apply_kernelINS1_28TensorListScalarListMetadataIaLi1EEENS1_25BinaryOpScalarListFunctorIaLi1ELi1ELi0EEEJSt5minusIaEEEEvT_T0_DpT1_,"axG",@progbits,_ZN2at6native12_GLOBAL__N_125multi_tensor_apply_kernelINS1_28TensorListScalarListMetadataIaLi1EEENS1_25BinaryOpScalarListFunctorIaLi1ELi1ELi0EEEJSt5minusIaEEEEvT_T0_DpT1_,comdat
.Lfunc_end97:
	.size	_ZN2at6native12_GLOBAL__N_125multi_tensor_apply_kernelINS1_28TensorListScalarListMetadataIaLi1EEENS1_25BinaryOpScalarListFunctorIaLi1ELi1ELi0EEEJSt5minusIaEEEEvT_T0_DpT1_, .Lfunc_end97-_ZN2at6native12_GLOBAL__N_125multi_tensor_apply_kernelINS1_28TensorListScalarListMetadataIaLi1EEENS1_25BinaryOpScalarListFunctorIaLi1ELi1ELi0EEEJSt5minusIaEEEEvT_T0_DpT1_
                                        ; -- End function
	.section	.AMDGPU.csdata,"",@progbits
; Kernel info:
; codeLenInByte = 1288
; NumSgprs: 19
; NumVgprs: 22
; ScratchSize: 0
; MemoryBound: 0
; FloatMode: 240
; IeeeMode: 1
; LDSByteSize: 0 bytes/workgroup (compile time only)
; SGPRBlocks: 2
; VGPRBlocks: 2
; NumSGPRsForWavesPerEU: 19
; NumVGPRsForWavesPerEU: 22
; Occupancy: 16
; WaveLimiterHint : 0
; COMPUTE_PGM_RSRC2:SCRATCH_EN: 0
; COMPUTE_PGM_RSRC2:USER_SGPR: 15
; COMPUTE_PGM_RSRC2:TRAP_HANDLER: 0
; COMPUTE_PGM_RSRC2:TGID_X_EN: 1
; COMPUTE_PGM_RSRC2:TGID_Y_EN: 0
; COMPUTE_PGM_RSRC2:TGID_Z_EN: 0
; COMPUTE_PGM_RSRC2:TIDIG_COMP_CNT: 0
	.section	.text._ZN2at6native12_GLOBAL__N_125multi_tensor_apply_kernelINS1_28TensorListScalarListMetadataIiLi1EEENS1_25BinaryOpScalarListFunctorIiLi1ELi1ELi0EEEJSt5minusIiEEEEvT_T0_DpT1_,"axG",@progbits,_ZN2at6native12_GLOBAL__N_125multi_tensor_apply_kernelINS1_28TensorListScalarListMetadataIiLi1EEENS1_25BinaryOpScalarListFunctorIiLi1ELi1ELi0EEEJSt5minusIiEEEEvT_T0_DpT1_,comdat
	.globl	_ZN2at6native12_GLOBAL__N_125multi_tensor_apply_kernelINS1_28TensorListScalarListMetadataIiLi1EEENS1_25BinaryOpScalarListFunctorIiLi1ELi1ELi0EEEJSt5minusIiEEEEvT_T0_DpT1_ ; -- Begin function _ZN2at6native12_GLOBAL__N_125multi_tensor_apply_kernelINS1_28TensorListScalarListMetadataIiLi1EEENS1_25BinaryOpScalarListFunctorIiLi1ELi1ELi0EEEJSt5minusIiEEEEvT_T0_DpT1_
	.p2align	8
	.type	_ZN2at6native12_GLOBAL__N_125multi_tensor_apply_kernelINS1_28TensorListScalarListMetadataIiLi1EEENS1_25BinaryOpScalarListFunctorIiLi1ELi1ELi0EEEJSt5minusIiEEEEvT_T0_DpT1_,@function
_ZN2at6native12_GLOBAL__N_125multi_tensor_apply_kernelINS1_28TensorListScalarListMetadataIiLi1EEENS1_25BinaryOpScalarListFunctorIiLi1ELi1ELi0EEEJSt5minusIiEEEEvT_T0_DpT1_: ; @_ZN2at6native12_GLOBAL__N_125multi_tensor_apply_kernelINS1_28TensorListScalarListMetadataIiLi1EEENS1_25BinaryOpScalarListFunctorIiLi1ELi1ELi0EEEJSt5minusIiEEEEvT_T0_DpT1_
; %bb.0:
	v_mov_b32_e32 v1, s15
	s_add_u32 s2, s0, s15
	s_mul_i32 s3, s15, 3
	s_mul_hi_u32 s4, s15, 3
	s_addc_u32 s5, s1, 0
	global_load_u8 v1, v1, s[0:1] offset:1920
	s_add_u32 s2, s2, s3
	s_addc_u32 s3, s5, s4
	s_load_b32 s2, s[2:3], 0x8c0
	s_waitcnt vmcnt(0)
	v_readfirstlane_b32 s3, v1
	v_lshlrev_b32_e32 v1, 2, v1
	s_delay_alu instid0(VALU_DEP_2)
	s_lshl_b32 s6, s3, 3
	s_waitcnt lgkmcnt(0)
	s_ashr_i32 s3, s2, 31
	s_clause 0x1
	s_load_b64 s[4:5], s[0:1], s6 offset:0x300
	s_load_b64 s[8:9], s[0:1], s6 offset:0x0
	s_add_u32 s6, s0, s6
	s_addc_u32 s7, s1, 0
	v_sub_co_u32 v1, s6, s6, v1
	s_delay_alu instid0(VALU_DEP_1) | instskip(SKIP_1) | instid1(VALU_DEP_2)
	v_sub_co_ci_u32_e64 v2, null, s7, 0, s6
	s_lshl_b64 s[10:11], s[2:3], 18
	v_readfirstlane_b32 s6, v1
	s_lshl_b64 s[2:3], s[2:3], 16
	s_delay_alu instid0(VALU_DEP_2)
	v_readfirstlane_b32 s7, v2
	s_load_b32 s16, s[6:7], 0x600
	s_waitcnt lgkmcnt(0)
	s_and_b32 s12, s8, 15
	s_sub_u32 s6, s4, s2
	s_subb_u32 s7, s5, s3
	s_and_b32 s2, s4, 3
	s_mov_b32 s3, 0
	s_or_b32 s2, s12, s2
	s_delay_alu instid0(SALU_CYCLE_1)
	s_cmp_eq_u64 s[2:3], 0
	s_cbranch_scc1 .LBB98_21
; %bb.1:
	v_cmp_lt_i64_e64 s2, s[6:7], 1
	s_delay_alu instid0(VALU_DEP_1)
	s_and_b32 vcc_lo, exec_lo, s2
	s_cbranch_vccnz .LBB98_20
; %bb.2:
	s_load_b32 s2, s[0:1], 0xdd4
	v_cmp_gt_u64_e64 s3, 0x10000, s[6:7]
	v_lshlrev_b32_e32 v1, 2, v0
	s_waitcnt lgkmcnt(0)
	s_and_b32 s2, s2, 0xffff
	s_delay_alu instid0(VALU_DEP_2)
	s_and_b32 s3, s3, exec_lo
	v_add_co_u32 v5, s5, v0, s2
	s_cselect_b32 s13, s7, 0
	s_cselect_b32 s12, s6, 0x10000
	s_lshl_b32 s3, s2, 1
	s_lshl_b32 s17, s2, 2
	v_lshlrev_b32_e32 v3, 2, v5
	v_add_co_ci_u32_e64 v6, null, 0, 0, s5
	s_add_u32 s5, s8, s10
	v_add_co_u32 v9, s3, s3, v0
	s_mul_i32 s4, s2, 3
	s_addc_u32 s14, s9, s11
	v_add_co_ci_u32_e64 v10, null, 0, 0, s3
	v_add_co_u32 v1, s3, s5, v1
	v_add_co_u32 v7, s4, s4, v0
	v_add_co_ci_u32_e64 v2, null, s14, 0, s3
	v_add_co_u32 v3, s3, s5, v3
	v_add_co_ci_u32_e64 v8, null, 0, 0, s4
	v_add_co_ci_u32_e64 v4, null, s14, 0, s3
	s_lshl_b32 s18, s2, 4
	s_mul_i32 s19, s2, 12
	s_lshl_b32 s20, s2, 3
	s_mov_b64 s[14:15], 0
	s_branch .LBB98_4
.LBB98_3:                               ;   in Loop: Header=BB98_4 Depth=1
	s_or_b32 exec_lo, exec_lo, s2
	s_add_u32 s14, s14, s17
	s_addc_u32 s15, s15, 0
	v_add_co_u32 v1, vcc_lo, v1, s18
	v_cmp_lt_i64_e64 s2, s[14:15], s[6:7]
	v_cmp_gt_u64_e64 s3, 0x10000, s[14:15]
	v_add_co_ci_u32_e32 v2, vcc_lo, 0, v2, vcc_lo
	v_add_co_u32 v3, vcc_lo, v3, s18
	v_add_co_ci_u32_e32 v4, vcc_lo, 0, v4, vcc_lo
	s_delay_alu instid0(VALU_DEP_4) | instskip(NEXT) | instid1(SALU_CYCLE_1)
	s_and_b32 s2, s2, s3
	s_and_b32 vcc_lo, exec_lo, s2
	s_cbranch_vccz .LBB98_20
.LBB98_4:                               ; =>This Inner Loop Header: Depth=1
	s_waitcnt vmcnt(0)
	v_add_co_u32 v11, s2, v0, s14
	s_delay_alu instid0(VALU_DEP_1) | instskip(NEXT) | instid1(VALU_DEP_1)
	v_add_co_ci_u32_e64 v12, null, 0, s15, s2
	v_cmp_gt_u64_e32 vcc_lo, s[12:13], v[11:12]
	v_mov_b32_e32 v11, 0
	s_and_saveexec_b32 s2, vcc_lo
	s_cbranch_execz .LBB98_6
; %bb.5:                                ;   in Loop: Header=BB98_4 Depth=1
	global_load_b32 v11, v[1:2], off
.LBB98_6:                               ;   in Loop: Header=BB98_4 Depth=1
	s_or_b32 exec_lo, exec_lo, s2
	v_add_co_u32 v12, s2, v5, s14
	s_delay_alu instid0(VALU_DEP_1) | instskip(NEXT) | instid1(VALU_DEP_1)
	v_add_co_ci_u32_e64 v13, s2, s15, v6, s2
	v_cmp_gt_u64_e64 s2, s[12:13], v[12:13]
	v_mov_b32_e32 v13, 0
	s_delay_alu instid0(VALU_DEP_2)
	s_and_saveexec_b32 s3, s2
	s_cbranch_execz .LBB98_8
; %bb.7:                                ;   in Loop: Header=BB98_4 Depth=1
	global_load_b32 v13, v[3:4], off
.LBB98_8:                               ;   in Loop: Header=BB98_4 Depth=1
	s_or_b32 exec_lo, exec_lo, s3
	v_add_co_u32 v14, s3, v9, s14
	s_delay_alu instid0(VALU_DEP_1) | instskip(SKIP_1) | instid1(VALU_DEP_2)
	v_add_co_ci_u32_e64 v15, s3, s15, v10, s3
	v_mov_b32_e32 v12, 0
	v_cmp_gt_u64_e64 s3, s[12:13], v[14:15]
	v_mov_b32_e32 v14, 0
	s_delay_alu instid0(VALU_DEP_2)
	s_and_saveexec_b32 s5, s3
	s_cbranch_execz .LBB98_10
; %bb.9:                                ;   in Loop: Header=BB98_4 Depth=1
	v_add_co_u32 v14, s4, v1, s20
	s_delay_alu instid0(VALU_DEP_1)
	v_add_co_ci_u32_e64 v15, s4, 0, v2, s4
	global_load_b32 v14, v[14:15], off
.LBB98_10:                              ;   in Loop: Header=BB98_4 Depth=1
	s_or_b32 exec_lo, exec_lo, s5
	v_add_co_u32 v15, s4, v7, s14
	s_delay_alu instid0(VALU_DEP_1) | instskip(NEXT) | instid1(VALU_DEP_1)
	v_add_co_ci_u32_e64 v16, s4, s15, v8, s4
	v_cmp_gt_u64_e64 s4, s[12:13], v[15:16]
	s_delay_alu instid0(VALU_DEP_1)
	s_and_saveexec_b32 s21, s4
	s_cbranch_execnz .LBB98_15
; %bb.11:                               ;   in Loop: Header=BB98_4 Depth=1
	s_or_b32 exec_lo, exec_lo, s21
	s_and_saveexec_b32 s5, vcc_lo
	s_cbranch_execnz .LBB98_16
.LBB98_12:                              ;   in Loop: Header=BB98_4 Depth=1
	s_or_b32 exec_lo, exec_lo, s5
	s_and_saveexec_b32 s5, s2
	s_cbranch_execnz .LBB98_17
.LBB98_13:                              ;   in Loop: Header=BB98_4 Depth=1
	s_or_b32 exec_lo, exec_lo, s5
	s_and_saveexec_b32 s2, s3
	s_cbranch_execnz .LBB98_18
.LBB98_14:                              ;   in Loop: Header=BB98_4 Depth=1
	s_or_b32 exec_lo, exec_lo, s2
	s_and_saveexec_b32 s2, s4
	s_cbranch_execz .LBB98_3
	s_branch .LBB98_19
.LBB98_15:                              ;   in Loop: Header=BB98_4 Depth=1
	v_add_co_u32 v15, s5, v1, s19
	s_delay_alu instid0(VALU_DEP_1)
	v_add_co_ci_u32_e64 v16, s5, 0, v2, s5
	global_load_b32 v12, v[15:16], off
	s_or_b32 exec_lo, exec_lo, s21
	s_and_saveexec_b32 s5, vcc_lo
	s_cbranch_execz .LBB98_12
.LBB98_16:                              ;   in Loop: Header=BB98_4 Depth=1
	s_waitcnt vmcnt(0)
	v_subrev_nc_u32_e32 v11, s16, v11
	global_store_b32 v[1:2], v11, off
	s_or_b32 exec_lo, exec_lo, s5
	s_and_saveexec_b32 s5, s2
	s_cbranch_execz .LBB98_13
.LBB98_17:                              ;   in Loop: Header=BB98_4 Depth=1
	s_waitcnt vmcnt(0)
	v_subrev_nc_u32_e32 v11, s16, v13
	global_store_b32 v[3:4], v11, off
	s_or_b32 exec_lo, exec_lo, s5
	s_and_saveexec_b32 s2, s3
	s_cbranch_execz .LBB98_14
.LBB98_18:                              ;   in Loop: Header=BB98_4 Depth=1
	s_waitcnt vmcnt(0)
	v_add_co_u32 v13, vcc_lo, v1, s20
	v_subrev_nc_u32_e32 v11, s16, v14
	v_add_co_ci_u32_e32 v14, vcc_lo, 0, v2, vcc_lo
	global_store_b32 v[13:14], v11, off
	s_or_b32 exec_lo, exec_lo, s2
	s_and_saveexec_b32 s2, s4
	s_cbranch_execz .LBB98_3
.LBB98_19:                              ;   in Loop: Header=BB98_4 Depth=1
	s_waitcnt vmcnt(0)
	v_add_co_u32 v11, vcc_lo, v1, s19
	v_subrev_nc_u32_e32 v13, s16, v12
	v_add_co_ci_u32_e32 v12, vcc_lo, 0, v2, vcc_lo
	global_store_b32 v[11:12], v13, off
	s_branch .LBB98_3
.LBB98_20:
	s_cbranch_execz .LBB98_22
	s_branch .LBB98_25
.LBB98_21:
.LBB98_22:
	v_dual_mov_b32 v2, 0 :: v_dual_lshlrev_b32 v1, 2, v0
	s_mov_b32 s2, 0
	s_mov_b32 s3, exec_lo
	s_delay_alu instid0(VALU_DEP_1)
	v_cmpx_gt_i64_e64 s[6:7], v[1:2]
	s_cbranch_execz .LBB98_25
; %bb.23:
	s_load_b32 s0, s[0:1], 0xdd4
	v_lshlrev_b32_e32 v1, 4, v0
	s_waitcnt lgkmcnt(0)
	s_and_b32 s0, s0, 0xffff
	s_delay_alu instid0(SALU_CYCLE_1) | instskip(SKIP_3) | instid1(VALU_DEP_1)
	s_lshl_b32 s3, s0, 2
	s_add_u32 s1, s8, s10
	s_addc_u32 s4, s9, s11
	v_add_co_u32 v3, s1, s1, v1
	v_add_co_ci_u32_e64 v4, null, s4, 0, s1
	v_add_lshl_u32 v1, v0, s0, 2
	s_delay_alu instid0(VALU_DEP_3) | instskip(NEXT) | instid1(VALU_DEP_3)
	v_add_co_u32 v3, vcc_lo, v3, 8
	v_add_co_ci_u32_e32 v4, vcc_lo, 0, v4, vcc_lo
	s_lshl_b32 s4, s0, 4
	.p2align	6
.LBB98_24:                              ; =>This Inner Loop Header: Depth=1
	global_load_b128 v[5:8], v[3:4], off offset:-8
	v_cmp_le_i64_e32 vcc_lo, s[6:7], v[1:2]
	v_cmp_lt_u64_e64 s0, 0xffff, v[1:2]
	v_add_co_u32 v1, s1, v1, s3
	s_delay_alu instid0(VALU_DEP_1) | instskip(NEXT) | instid1(VALU_DEP_3)
	v_add_co_ci_u32_e64 v2, s1, 0, v2, s1
	s_or_b32 s0, vcc_lo, s0
	s_delay_alu instid0(SALU_CYCLE_1) | instskip(NEXT) | instid1(SALU_CYCLE_1)
	s_and_b32 s0, exec_lo, s0
	s_or_b32 s2, s0, s2
	s_waitcnt vmcnt(0)
	v_subrev_nc_u32_e32 v5, s16, v5
	v_subrev_nc_u32_e32 v6, s16, v6
	;; [unrolled: 1-line block ×4, first 2 shown]
	global_store_b128 v[3:4], v[5:8], off offset:-8
	v_add_co_u32 v3, vcc_lo, v3, s4
	v_add_co_ci_u32_e32 v4, vcc_lo, 0, v4, vcc_lo
	s_and_not1_b32 exec_lo, exec_lo, s2
	s_cbranch_execnz .LBB98_24
.LBB98_25:
	s_nop 0
	s_sendmsg sendmsg(MSG_DEALLOC_VGPRS)
	s_endpgm
	.section	.rodata,"a",@progbits
	.p2align	6, 0x0
	.amdhsa_kernel _ZN2at6native12_GLOBAL__N_125multi_tensor_apply_kernelINS1_28TensorListScalarListMetadataIiLi1EEENS1_25BinaryOpScalarListFunctorIiLi1ELi1ELi0EEEJSt5minusIiEEEEvT_T0_DpT1_
		.amdhsa_group_segment_fixed_size 0
		.amdhsa_private_segment_fixed_size 0
		.amdhsa_kernarg_size 3784
		.amdhsa_user_sgpr_count 15
		.amdhsa_user_sgpr_dispatch_ptr 0
		.amdhsa_user_sgpr_queue_ptr 0
		.amdhsa_user_sgpr_kernarg_segment_ptr 1
		.amdhsa_user_sgpr_dispatch_id 0
		.amdhsa_user_sgpr_private_segment_size 0
		.amdhsa_wavefront_size32 1
		.amdhsa_uses_dynamic_stack 0
		.amdhsa_enable_private_segment 0
		.amdhsa_system_sgpr_workgroup_id_x 1
		.amdhsa_system_sgpr_workgroup_id_y 0
		.amdhsa_system_sgpr_workgroup_id_z 0
		.amdhsa_system_sgpr_workgroup_info 0
		.amdhsa_system_vgpr_workitem_id 0
		.amdhsa_next_free_vgpr 17
		.amdhsa_next_free_sgpr 22
		.amdhsa_reserve_vcc 1
		.amdhsa_float_round_mode_32 0
		.amdhsa_float_round_mode_16_64 0
		.amdhsa_float_denorm_mode_32 3
		.amdhsa_float_denorm_mode_16_64 3
		.amdhsa_dx10_clamp 1
		.amdhsa_ieee_mode 1
		.amdhsa_fp16_overflow 0
		.amdhsa_workgroup_processor_mode 1
		.amdhsa_memory_ordered 1
		.amdhsa_forward_progress 0
		.amdhsa_shared_vgpr_count 0
		.amdhsa_exception_fp_ieee_invalid_op 0
		.amdhsa_exception_fp_denorm_src 0
		.amdhsa_exception_fp_ieee_div_zero 0
		.amdhsa_exception_fp_ieee_overflow 0
		.amdhsa_exception_fp_ieee_underflow 0
		.amdhsa_exception_fp_ieee_inexact 0
		.amdhsa_exception_int_div_zero 0
	.end_amdhsa_kernel
	.section	.text._ZN2at6native12_GLOBAL__N_125multi_tensor_apply_kernelINS1_28TensorListScalarListMetadataIiLi1EEENS1_25BinaryOpScalarListFunctorIiLi1ELi1ELi0EEEJSt5minusIiEEEEvT_T0_DpT1_,"axG",@progbits,_ZN2at6native12_GLOBAL__N_125multi_tensor_apply_kernelINS1_28TensorListScalarListMetadataIiLi1EEENS1_25BinaryOpScalarListFunctorIiLi1ELi1ELi0EEEJSt5minusIiEEEEvT_T0_DpT1_,comdat
.Lfunc_end98:
	.size	_ZN2at6native12_GLOBAL__N_125multi_tensor_apply_kernelINS1_28TensorListScalarListMetadataIiLi1EEENS1_25BinaryOpScalarListFunctorIiLi1ELi1ELi0EEEJSt5minusIiEEEEvT_T0_DpT1_, .Lfunc_end98-_ZN2at6native12_GLOBAL__N_125multi_tensor_apply_kernelINS1_28TensorListScalarListMetadataIiLi1EEENS1_25BinaryOpScalarListFunctorIiLi1ELi1ELi0EEEJSt5minusIiEEEEvT_T0_DpT1_
                                        ; -- End function
	.section	.AMDGPU.csdata,"",@progbits
; Kernel info:
; codeLenInByte = 1152
; NumSgprs: 24
; NumVgprs: 17
; ScratchSize: 0
; MemoryBound: 0
; FloatMode: 240
; IeeeMode: 1
; LDSByteSize: 0 bytes/workgroup (compile time only)
; SGPRBlocks: 2
; VGPRBlocks: 2
; NumSGPRsForWavesPerEU: 24
; NumVGPRsForWavesPerEU: 17
; Occupancy: 16
; WaveLimiterHint : 0
; COMPUTE_PGM_RSRC2:SCRATCH_EN: 0
; COMPUTE_PGM_RSRC2:USER_SGPR: 15
; COMPUTE_PGM_RSRC2:TRAP_HANDLER: 0
; COMPUTE_PGM_RSRC2:TGID_X_EN: 1
; COMPUTE_PGM_RSRC2:TGID_Y_EN: 0
; COMPUTE_PGM_RSRC2:TGID_Z_EN: 0
; COMPUTE_PGM_RSRC2:TIDIG_COMP_CNT: 0
	.section	.text._ZN2at6native12_GLOBAL__N_125multi_tensor_apply_kernelINS1_28TensorListScalarListMetadataIlLi1EEENS1_25BinaryOpScalarListFunctorIlLi1ELi1ELi0EEEJSt5minusIlEEEEvT_T0_DpT1_,"axG",@progbits,_ZN2at6native12_GLOBAL__N_125multi_tensor_apply_kernelINS1_28TensorListScalarListMetadataIlLi1EEENS1_25BinaryOpScalarListFunctorIlLi1ELi1ELi0EEEJSt5minusIlEEEEvT_T0_DpT1_,comdat
	.globl	_ZN2at6native12_GLOBAL__N_125multi_tensor_apply_kernelINS1_28TensorListScalarListMetadataIlLi1EEENS1_25BinaryOpScalarListFunctorIlLi1ELi1ELi0EEEJSt5minusIlEEEEvT_T0_DpT1_ ; -- Begin function _ZN2at6native12_GLOBAL__N_125multi_tensor_apply_kernelINS1_28TensorListScalarListMetadataIlLi1EEENS1_25BinaryOpScalarListFunctorIlLi1ELi1ELi0EEEJSt5minusIlEEEEvT_T0_DpT1_
	.p2align	8
	.type	_ZN2at6native12_GLOBAL__N_125multi_tensor_apply_kernelINS1_28TensorListScalarListMetadataIlLi1EEENS1_25BinaryOpScalarListFunctorIlLi1ELi1ELi0EEEJSt5minusIlEEEEvT_T0_DpT1_,@function
_ZN2at6native12_GLOBAL__N_125multi_tensor_apply_kernelINS1_28TensorListScalarListMetadataIlLi1EEENS1_25BinaryOpScalarListFunctorIlLi1ELi1ELi0EEEJSt5minusIlEEEEvT_T0_DpT1_: ; @_ZN2at6native12_GLOBAL__N_125multi_tensor_apply_kernelINS1_28TensorListScalarListMetadataIlLi1EEENS1_25BinaryOpScalarListFunctorIlLi1ELi1ELi0EEEJSt5minusIlEEEEvT_T0_DpT1_
; %bb.0:
	v_mov_b32_e32 v1, s15
	s_add_u32 s2, s0, s15
	s_mul_hi_u32 s3, s15, 3
	s_mul_i32 s15, s15, 3
	s_addc_u32 s4, s1, 0
	global_load_u8 v1, v1, s[0:1] offset:2304
	s_add_u32 s2, s2, s15
	s_addc_u32 s3, s4, s3
	s_mov_b32 s15, 0
	s_load_b32 s2, s[2:3], 0xa40
	s_waitcnt vmcnt(0)
	v_readfirstlane_b32 s5, v1
	s_delay_alu instid0(VALU_DEP_1)
	s_lshl_b32 s3, s5, 3
	s_clause 0x2
	s_load_b64 s[6:7], s[0:1], s3 offset:0x600
	s_load_b64 s[10:11], s[0:1], s3 offset:0x0
	;; [unrolled: 1-line block ×3, first 2 shown]
	s_waitcnt lgkmcnt(0)
	s_ashr_i32 s3, s2, 31
	s_delay_alu instid0(SALU_CYCLE_1)
	s_lshl_b64 s[12:13], s[2:3], 19
	s_lshl_b64 s[2:3], s[2:3], 16
	s_and_b32 s14, s10, 31
	s_sub_u32 s8, s4, s2
	s_subb_u32 s9, s5, s3
	s_and_b32 s2, s4, 3
	s_mov_b32 s3, s15
	s_delay_alu instid0(SALU_CYCLE_1) | instskip(NEXT) | instid1(SALU_CYCLE_1)
	s_or_b64 s[2:3], s[14:15], s[2:3]
	s_cmp_eq_u64 s[2:3], 0
	s_cbranch_scc1 .LBB99_21
; %bb.1:
	v_cmp_lt_i64_e64 s2, s[8:9], 1
	s_delay_alu instid0(VALU_DEP_1)
	s_and_b32 vcc_lo, exec_lo, s2
	s_cbranch_vccnz .LBB99_20
; %bb.2:
	s_load_b32 s2, s[0:1], 0xf54
	v_cmp_gt_u64_e64 s3, 0x10000, s[8:9]
	v_lshlrev_b32_e32 v1, 3, v0
	s_waitcnt lgkmcnt(0)
	s_and_b32 s2, s2, 0xffff
	s_delay_alu instid0(VALU_DEP_2)
	s_and_b32 s3, s3, exec_lo
	v_add_co_u32 v13, s5, v0, s2
	s_cselect_b32 s15, s9, 0
	s_cselect_b32 s14, s8, 0x10000
	s_lshl_b32 s3, s2, 1
	s_lshl_b32 s18, s2, 2
	v_lshlrev_b32_e32 v3, 3, v13
	v_add_co_ci_u32_e64 v14, null, 0, 0, s5
	s_add_u32 s5, s10, s12
	v_add_co_u32 v17, s3, s3, v0
	s_mul_i32 s4, s2, 3
	s_addc_u32 s16, s11, s13
	v_add_co_ci_u32_e64 v18, null, 0, 0, s3
	v_add_co_u32 v1, s3, s5, v1
	v_add_co_u32 v15, s4, s4, v0
	v_add_co_ci_u32_e64 v2, null, s16, 0, s3
	v_add_co_u32 v3, s3, s5, v3
	v_add_co_ci_u32_e64 v16, null, 0, 0, s4
	v_add_co_ci_u32_e64 v4, null, s16, 0, s3
	s_lshl_b32 s19, s2, 5
	s_mul_i32 s20, s2, 24
	s_lshl_b32 s21, s2, 4
	s_mov_b64 s[16:17], 0
	s_branch .LBB99_4
.LBB99_3:                               ;   in Loop: Header=BB99_4 Depth=1
	s_or_b32 exec_lo, exec_lo, s2
	s_add_u32 s16, s16, s18
	s_addc_u32 s17, s17, 0
	v_add_co_u32 v1, vcc_lo, v1, s19
	v_cmp_lt_i64_e64 s2, s[16:17], s[8:9]
	v_cmp_gt_u64_e64 s3, 0x10000, s[16:17]
	v_add_co_ci_u32_e32 v2, vcc_lo, 0, v2, vcc_lo
	v_add_co_u32 v3, vcc_lo, v3, s19
	v_add_co_ci_u32_e32 v4, vcc_lo, 0, v4, vcc_lo
	s_delay_alu instid0(VALU_DEP_4) | instskip(NEXT) | instid1(SALU_CYCLE_1)
	s_and_b32 s2, s2, s3
	s_and_b32 vcc_lo, exec_lo, s2
	s_cbranch_vccz .LBB99_20
.LBB99_4:                               ; =>This Inner Loop Header: Depth=1
	s_waitcnt vmcnt(0)
	v_add_co_u32 v7, s2, v0, s16
	s_delay_alu instid0(VALU_DEP_1) | instskip(SKIP_2) | instid1(VALU_DEP_3)
	v_add_co_ci_u32_e64 v8, null, 0, s17, s2
	v_mov_b32_e32 v5, 0
	v_mov_b32_e32 v6, 0
	v_cmp_gt_u64_e32 vcc_lo, s[14:15], v[7:8]
	s_delay_alu instid0(VALU_DEP_2)
	v_dual_mov_b32 v10, v6 :: v_dual_mov_b32 v9, v5
	s_and_saveexec_b32 s2, vcc_lo
	s_cbranch_execz .LBB99_6
; %bb.5:                                ;   in Loop: Header=BB99_4 Depth=1
	global_load_b64 v[9:10], v[1:2], off
.LBB99_6:                               ;   in Loop: Header=BB99_4 Depth=1
	s_or_b32 exec_lo, exec_lo, s2
	v_add_co_u32 v7, s2, v13, s16
	s_delay_alu instid0(VALU_DEP_1) | instskip(NEXT) | instid1(VALU_DEP_1)
	v_add_co_ci_u32_e64 v8, s2, s17, v14, s2
	v_cmp_gt_u64_e64 s2, s[14:15], v[7:8]
	s_delay_alu instid0(VALU_DEP_1)
	s_and_saveexec_b32 s3, s2
	s_cbranch_execz .LBB99_8
; %bb.7:                                ;   in Loop: Header=BB99_4 Depth=1
	global_load_b64 v[5:6], v[3:4], off
.LBB99_8:                               ;   in Loop: Header=BB99_4 Depth=1
	s_or_b32 exec_lo, exec_lo, s3
	v_add_co_u32 v11, s3, v17, s16
	s_delay_alu instid0(VALU_DEP_1) | instskip(SKIP_2) | instid1(VALU_DEP_3)
	v_add_co_ci_u32_e64 v12, s3, s17, v18, s3
	v_mov_b32_e32 v7, 0
	v_mov_b32_e32 v8, 0
	v_cmp_gt_u64_e64 s3, s[14:15], v[11:12]
	s_delay_alu instid0(VALU_DEP_2) | instskip(NEXT) | instid1(VALU_DEP_2)
	v_dual_mov_b32 v12, v8 :: v_dual_mov_b32 v11, v7
	s_and_saveexec_b32 s5, s3
	s_cbranch_execz .LBB99_10
; %bb.9:                                ;   in Loop: Header=BB99_4 Depth=1
	v_add_co_u32 v11, s4, v1, s21
	s_delay_alu instid0(VALU_DEP_1)
	v_add_co_ci_u32_e64 v12, s4, 0, v2, s4
	global_load_b64 v[11:12], v[11:12], off
.LBB99_10:                              ;   in Loop: Header=BB99_4 Depth=1
	s_or_b32 exec_lo, exec_lo, s5
	v_add_co_u32 v19, s4, v15, s16
	s_delay_alu instid0(VALU_DEP_1) | instskip(NEXT) | instid1(VALU_DEP_1)
	v_add_co_ci_u32_e64 v20, s4, s17, v16, s4
	v_cmp_gt_u64_e64 s4, s[14:15], v[19:20]
	s_delay_alu instid0(VALU_DEP_1)
	s_and_saveexec_b32 s22, s4
	s_cbranch_execnz .LBB99_15
; %bb.11:                               ;   in Loop: Header=BB99_4 Depth=1
	s_or_b32 exec_lo, exec_lo, s22
	s_and_saveexec_b32 s5, vcc_lo
	s_cbranch_execnz .LBB99_16
.LBB99_12:                              ;   in Loop: Header=BB99_4 Depth=1
	s_or_b32 exec_lo, exec_lo, s5
	s_and_saveexec_b32 s5, s2
	s_cbranch_execnz .LBB99_17
.LBB99_13:                              ;   in Loop: Header=BB99_4 Depth=1
	s_or_b32 exec_lo, exec_lo, s5
	s_and_saveexec_b32 s2, s3
	s_cbranch_execnz .LBB99_18
.LBB99_14:                              ;   in Loop: Header=BB99_4 Depth=1
	s_or_b32 exec_lo, exec_lo, s2
	s_and_saveexec_b32 s2, s4
	s_cbranch_execz .LBB99_3
	s_branch .LBB99_19
.LBB99_15:                              ;   in Loop: Header=BB99_4 Depth=1
	v_add_co_u32 v7, s5, v1, s20
	s_delay_alu instid0(VALU_DEP_1)
	v_add_co_ci_u32_e64 v8, s5, 0, v2, s5
	global_load_b64 v[7:8], v[7:8], off
	s_or_b32 exec_lo, exec_lo, s22
	s_and_saveexec_b32 s5, vcc_lo
	s_cbranch_execz .LBB99_12
.LBB99_16:                              ;   in Loop: Header=BB99_4 Depth=1
	s_waitcnt vmcnt(0)
	v_sub_co_u32 v9, vcc_lo, v9, s6
	v_subrev_co_ci_u32_e32 v10, vcc_lo, s7, v10, vcc_lo
	global_store_b64 v[1:2], v[9:10], off
	s_or_b32 exec_lo, exec_lo, s5
	s_and_saveexec_b32 s5, s2
	s_cbranch_execz .LBB99_13
.LBB99_17:                              ;   in Loop: Header=BB99_4 Depth=1
	s_waitcnt vmcnt(0)
	v_sub_co_u32 v5, vcc_lo, v5, s6
	v_subrev_co_ci_u32_e32 v6, vcc_lo, s7, v6, vcc_lo
	global_store_b64 v[3:4], v[5:6], off
	s_or_b32 exec_lo, exec_lo, s5
	s_and_saveexec_b32 s2, s3
	s_cbranch_execz .LBB99_14
.LBB99_18:                              ;   in Loop: Header=BB99_4 Depth=1
	s_waitcnt vmcnt(0)
	v_sub_co_u32 v5, vcc_lo, v11, s6
	v_subrev_co_ci_u32_e32 v6, vcc_lo, s7, v12, vcc_lo
	v_add_co_u32 v9, vcc_lo, v1, s21
	v_add_co_ci_u32_e32 v10, vcc_lo, 0, v2, vcc_lo
	global_store_b64 v[9:10], v[5:6], off
	s_or_b32 exec_lo, exec_lo, s2
	s_and_saveexec_b32 s2, s4
	s_cbranch_execz .LBB99_3
.LBB99_19:                              ;   in Loop: Header=BB99_4 Depth=1
	s_waitcnt vmcnt(0)
	v_sub_co_u32 v5, vcc_lo, v7, s6
	v_subrev_co_ci_u32_e32 v6, vcc_lo, s7, v8, vcc_lo
	v_add_co_u32 v7, vcc_lo, v1, s20
	v_add_co_ci_u32_e32 v8, vcc_lo, 0, v2, vcc_lo
	global_store_b64 v[7:8], v[5:6], off
	s_branch .LBB99_3
.LBB99_20:
	s_cbranch_execz .LBB99_22
	s_branch .LBB99_25
.LBB99_21:
.LBB99_22:
	v_dual_mov_b32 v2, 0 :: v_dual_lshlrev_b32 v1, 2, v0
	s_mov_b32 s2, 0
	s_mov_b32 s3, exec_lo
	s_delay_alu instid0(VALU_DEP_1)
	v_cmpx_gt_i64_e64 s[8:9], v[1:2]
	s_cbranch_execz .LBB99_25
; %bb.23:
	s_load_b32 s0, s[0:1], 0xf54
	v_lshlrev_b32_e32 v1, 5, v0
	s_waitcnt lgkmcnt(0)
	s_and_b32 s0, s0, 0xffff
	s_delay_alu instid0(SALU_CYCLE_1) | instskip(SKIP_3) | instid1(VALU_DEP_1)
	s_lshl_b32 s3, s0, 2
	s_add_u32 s1, s10, s12
	s_addc_u32 s4, s11, s13
	v_add_co_u32 v3, s1, s1, v1
	v_add_co_ci_u32_e64 v4, null, s4, 0, s1
	v_add_lshl_u32 v1, v0, s0, 2
	s_delay_alu instid0(VALU_DEP_3) | instskip(NEXT) | instid1(VALU_DEP_3)
	v_add_co_u32 v3, vcc_lo, v3, 16
	v_add_co_ci_u32_e32 v4, vcc_lo, 0, v4, vcc_lo
	s_lshl_b32 s4, s0, 5
	s_set_inst_prefetch_distance 0x1
	.p2align	6
.LBB99_24:                              ; =>This Inner Loop Header: Depth=1
	s_clause 0x1
	global_load_b128 v[5:8], v[3:4], off offset:-16
	global_load_b128 v[9:12], v[3:4], off
	v_cmp_le_i64_e32 vcc_lo, s[8:9], v[1:2]
	v_cmp_lt_u64_e64 s0, 0xffff, v[1:2]
	s_delay_alu instid0(VALU_DEP_1) | instskip(NEXT) | instid1(SALU_CYCLE_1)
	s_or_b32 s0, vcc_lo, s0
	s_and_b32 s0, exec_lo, s0
	s_delay_alu instid0(SALU_CYCLE_1) | instskip(SKIP_2) | instid1(VALU_DEP_1)
	s_or_b32 s2, s0, s2
	s_waitcnt vmcnt(1)
	v_sub_co_u32 v5, s1, v5, s6
	v_subrev_co_ci_u32_e64 v6, s1, s7, v6, s1
	v_sub_co_u32 v7, s1, v7, s6
	s_delay_alu instid0(VALU_DEP_1) | instskip(SKIP_2) | instid1(VALU_DEP_1)
	v_subrev_co_ci_u32_e64 v8, s1, s7, v8, s1
	s_waitcnt vmcnt(0)
	v_sub_co_u32 v9, s1, v9, s6
	v_subrev_co_ci_u32_e64 v10, s1, s7, v10, s1
	v_sub_co_u32 v11, s1, v11, s6
	s_delay_alu instid0(VALU_DEP_1)
	v_subrev_co_ci_u32_e64 v12, s1, s7, v12, s1
	v_add_co_u32 v1, s1, v1, s3
	s_clause 0x1
	global_store_b128 v[3:4], v[5:8], off offset:-16
	global_store_b128 v[3:4], v[9:12], off
	v_add_co_u32 v3, vcc_lo, v3, s4
	v_add_co_ci_u32_e64 v2, s1, 0, v2, s1
	v_add_co_ci_u32_e32 v4, vcc_lo, 0, v4, vcc_lo
	s_and_not1_b32 exec_lo, exec_lo, s2
	s_cbranch_execnz .LBB99_24
.LBB99_25:
	s_set_inst_prefetch_distance 0x2
	s_nop 0
	s_sendmsg sendmsg(MSG_DEALLOC_VGPRS)
	s_endpgm
	.section	.rodata,"a",@progbits
	.p2align	6, 0x0
	.amdhsa_kernel _ZN2at6native12_GLOBAL__N_125multi_tensor_apply_kernelINS1_28TensorListScalarListMetadataIlLi1EEENS1_25BinaryOpScalarListFunctorIlLi1ELi1ELi0EEEJSt5minusIlEEEEvT_T0_DpT1_
		.amdhsa_group_segment_fixed_size 0
		.amdhsa_private_segment_fixed_size 0
		.amdhsa_kernarg_size 4168
		.amdhsa_user_sgpr_count 15
		.amdhsa_user_sgpr_dispatch_ptr 0
		.amdhsa_user_sgpr_queue_ptr 0
		.amdhsa_user_sgpr_kernarg_segment_ptr 1
		.amdhsa_user_sgpr_dispatch_id 0
		.amdhsa_user_sgpr_private_segment_size 0
		.amdhsa_wavefront_size32 1
		.amdhsa_uses_dynamic_stack 0
		.amdhsa_enable_private_segment 0
		.amdhsa_system_sgpr_workgroup_id_x 1
		.amdhsa_system_sgpr_workgroup_id_y 0
		.amdhsa_system_sgpr_workgroup_id_z 0
		.amdhsa_system_sgpr_workgroup_info 0
		.amdhsa_system_vgpr_workitem_id 0
		.amdhsa_next_free_vgpr 21
		.amdhsa_next_free_sgpr 23
		.amdhsa_reserve_vcc 1
		.amdhsa_float_round_mode_32 0
		.amdhsa_float_round_mode_16_64 0
		.amdhsa_float_denorm_mode_32 3
		.amdhsa_float_denorm_mode_16_64 3
		.amdhsa_dx10_clamp 1
		.amdhsa_ieee_mode 1
		.amdhsa_fp16_overflow 0
		.amdhsa_workgroup_processor_mode 1
		.amdhsa_memory_ordered 1
		.amdhsa_forward_progress 0
		.amdhsa_shared_vgpr_count 0
		.amdhsa_exception_fp_ieee_invalid_op 0
		.amdhsa_exception_fp_denorm_src 0
		.amdhsa_exception_fp_ieee_div_zero 0
		.amdhsa_exception_fp_ieee_overflow 0
		.amdhsa_exception_fp_ieee_underflow 0
		.amdhsa_exception_fp_ieee_inexact 0
		.amdhsa_exception_int_div_zero 0
	.end_amdhsa_kernel
	.section	.text._ZN2at6native12_GLOBAL__N_125multi_tensor_apply_kernelINS1_28TensorListScalarListMetadataIlLi1EEENS1_25BinaryOpScalarListFunctorIlLi1ELi1ELi0EEEJSt5minusIlEEEEvT_T0_DpT1_,"axG",@progbits,_ZN2at6native12_GLOBAL__N_125multi_tensor_apply_kernelINS1_28TensorListScalarListMetadataIlLi1EEENS1_25BinaryOpScalarListFunctorIlLi1ELi1ELi0EEEJSt5minusIlEEEEvT_T0_DpT1_,comdat
.Lfunc_end99:
	.size	_ZN2at6native12_GLOBAL__N_125multi_tensor_apply_kernelINS1_28TensorListScalarListMetadataIlLi1EEENS1_25BinaryOpScalarListFunctorIlLi1ELi1ELi0EEEJSt5minusIlEEEEvT_T0_DpT1_, .Lfunc_end99-_ZN2at6native12_GLOBAL__N_125multi_tensor_apply_kernelINS1_28TensorListScalarListMetadataIlLi1EEENS1_25BinaryOpScalarListFunctorIlLi1ELi1ELi0EEEJSt5minusIlEEEEvT_T0_DpT1_
                                        ; -- End function
	.section	.AMDGPU.csdata,"",@progbits
; Kernel info:
; codeLenInByte = 1256
; NumSgprs: 25
; NumVgprs: 21
; ScratchSize: 0
; MemoryBound: 0
; FloatMode: 240
; IeeeMode: 1
; LDSByteSize: 0 bytes/workgroup (compile time only)
; SGPRBlocks: 3
; VGPRBlocks: 2
; NumSGPRsForWavesPerEU: 25
; NumVGPRsForWavesPerEU: 21
; Occupancy: 16
; WaveLimiterHint : 1
; COMPUTE_PGM_RSRC2:SCRATCH_EN: 0
; COMPUTE_PGM_RSRC2:USER_SGPR: 15
; COMPUTE_PGM_RSRC2:TRAP_HANDLER: 0
; COMPUTE_PGM_RSRC2:TGID_X_EN: 1
; COMPUTE_PGM_RSRC2:TGID_Y_EN: 0
; COMPUTE_PGM_RSRC2:TGID_Z_EN: 0
; COMPUTE_PGM_RSRC2:TIDIG_COMP_CNT: 0
	.section	.text._ZN2at6native12_GLOBAL__N_125multi_tensor_apply_kernelINS1_28TensorListScalarListMetadataIsLi1EEENS1_25BinaryOpScalarListFunctorIsLi1ELi1ELi0EEEJSt5minusIsEEEEvT_T0_DpT1_,"axG",@progbits,_ZN2at6native12_GLOBAL__N_125multi_tensor_apply_kernelINS1_28TensorListScalarListMetadataIsLi1EEENS1_25BinaryOpScalarListFunctorIsLi1ELi1ELi0EEEJSt5minusIsEEEEvT_T0_DpT1_,comdat
	.globl	_ZN2at6native12_GLOBAL__N_125multi_tensor_apply_kernelINS1_28TensorListScalarListMetadataIsLi1EEENS1_25BinaryOpScalarListFunctorIsLi1ELi1ELi0EEEJSt5minusIsEEEEvT_T0_DpT1_ ; -- Begin function _ZN2at6native12_GLOBAL__N_125multi_tensor_apply_kernelINS1_28TensorListScalarListMetadataIsLi1EEENS1_25BinaryOpScalarListFunctorIsLi1ELi1ELi0EEEJSt5minusIsEEEEvT_T0_DpT1_
	.p2align	8
	.type	_ZN2at6native12_GLOBAL__N_125multi_tensor_apply_kernelINS1_28TensorListScalarListMetadataIsLi1EEENS1_25BinaryOpScalarListFunctorIsLi1ELi1ELi0EEEJSt5minusIsEEEEvT_T0_DpT1_,@function
_ZN2at6native12_GLOBAL__N_125multi_tensor_apply_kernelINS1_28TensorListScalarListMetadataIsLi1EEENS1_25BinaryOpScalarListFunctorIsLi1ELi1ELi0EEEJSt5minusIsEEEEvT_T0_DpT1_: ; @_ZN2at6native12_GLOBAL__N_125multi_tensor_apply_kernelINS1_28TensorListScalarListMetadataIsLi1EEENS1_25BinaryOpScalarListFunctorIsLi1ELi1ELi0EEEJSt5minusIsEEEEvT_T0_DpT1_
; %bb.0:
	v_mov_b32_e32 v1, s15
	s_add_u32 s2, s0, s15
	s_mul_i32 s3, s15, 3
	s_mul_hi_u32 s4, s15, 3
	s_addc_u32 s5, s1, 0
	global_load_u8 v1, v1, s[0:1] offset:1728
	s_add_u32 s2, s2, s3
	s_addc_u32 s3, s5, s4
	s_load_b32 s2, s[2:3], 0x800
	s_waitcnt vmcnt(0)
	v_readfirstlane_b32 s3, v1
	v_mul_lo_u32 v2, v1, -6
	v_mul_hi_i32 v3, v1, -6
	s_delay_alu instid0(VALU_DEP_3) | instskip(SKIP_4) | instid1(VALU_DEP_2)
	s_lshl_b32 s6, s3, 3
	s_waitcnt lgkmcnt(0)
	s_ashr_i32 s3, s2, 31
	s_add_u32 s7, s0, s6
	s_addc_u32 s8, s1, 0
	v_add_co_u32 v1, vcc_lo, s7, v2
	s_delay_alu instid0(VALU_DEP_2)
	v_add_co_ci_u32_e32 v2, vcc_lo, s8, v3, vcc_lo
	s_load_b64 s[4:5], s[0:1], s6 offset:0x300
	s_lshl_b64 s[10:11], s[2:3], 17
	s_lshl_b64 s[2:3], s[2:3], 16
	global_load_u16 v5, v[1:2], off offset:1536
	s_load_b64 s[8:9], s[0:1], s6 offset:0x0
	s_waitcnt lgkmcnt(0)
	s_and_b32 s12, s8, 7
	s_sub_u32 s6, s4, s2
	s_subb_u32 s7, s5, s3
	s_and_b32 s2, s4, 3
	s_mov_b32 s3, 0
	s_or_b32 s2, s12, s2
	s_delay_alu instid0(SALU_CYCLE_1)
	s_cmp_eq_u64 s[2:3], 0
	s_cbranch_scc1 .LBB100_21
; %bb.1:
	v_cmp_lt_i64_e64 s2, s[6:7], 1
	s_delay_alu instid0(VALU_DEP_1)
	s_and_b32 vcc_lo, exec_lo, s2
	s_cbranch_vccnz .LBB100_20
; %bb.2:
	s_load_b32 s2, s[0:1], 0xd14
	v_cmp_gt_u64_e64 s3, 0x10000, s[6:7]
	v_lshlrev_b32_e32 v1, 1, v0
	s_waitcnt lgkmcnt(0)
	s_and_b32 s2, s2, 0xffff
	s_delay_alu instid0(VALU_DEP_2)
	s_and_b32 s3, s3, exec_lo
	v_add_co_u32 v6, s5, v0, s2
	s_cselect_b32 s13, s7, 0
	s_cselect_b32 s12, s6, 0x10000
	s_lshl_b32 s3, s2, 1
	s_lshl_b32 s16, s2, 2
	v_lshlrev_b32_e32 v3, 1, v6
	v_add_co_ci_u32_e64 v7, null, 0, 0, s5
	s_add_u32 s5, s8, s10
	v_add_co_u32 v10, s3, s3, v0
	s_mul_i32 s4, s2, 3
	s_addc_u32 s14, s9, s11
	v_add_co_ci_u32_e64 v11, null, 0, 0, s3
	v_add_co_u32 v1, s3, s5, v1
	v_add_co_u32 v8, s4, s4, v0
	v_add_co_ci_u32_e64 v2, null, s14, 0, s3
	v_add_co_u32 v3, s3, s5, v3
	v_add_co_ci_u32_e64 v9, null, 0, 0, s4
	v_add_co_ci_u32_e64 v4, null, s14, 0, s3
	s_lshl_b32 s17, s2, 3
	s_mul_i32 s18, s2, 6
	s_mov_b64 s[14:15], 0
	s_branch .LBB100_4
.LBB100_3:                              ;   in Loop: Header=BB100_4 Depth=1
	s_or_b32 exec_lo, exec_lo, s2
	s_add_u32 s14, s14, s16
	s_addc_u32 s15, s15, 0
	v_add_co_u32 v1, vcc_lo, v1, s17
	v_cmp_lt_i64_e64 s2, s[14:15], s[6:7]
	v_cmp_gt_u64_e64 s3, 0x10000, s[14:15]
	v_add_co_ci_u32_e32 v2, vcc_lo, 0, v2, vcc_lo
	v_add_co_u32 v3, vcc_lo, v3, s17
	v_add_co_ci_u32_e32 v4, vcc_lo, 0, v4, vcc_lo
	s_delay_alu instid0(VALU_DEP_4) | instskip(NEXT) | instid1(SALU_CYCLE_1)
	s_and_b32 s2, s2, s3
	s_and_b32 vcc_lo, exec_lo, s2
	s_cbranch_vccz .LBB100_20
.LBB100_4:                              ; =>This Inner Loop Header: Depth=1
	s_waitcnt vmcnt(0)
	v_add_co_u32 v12, s2, v0, s14
	s_delay_alu instid0(VALU_DEP_1) | instskip(NEXT) | instid1(VALU_DEP_1)
	v_add_co_ci_u32_e64 v13, null, 0, s15, s2
	v_cmp_gt_u64_e32 vcc_lo, s[12:13], v[12:13]
	v_mov_b32_e32 v12, 0
	s_and_saveexec_b32 s2, vcc_lo
	s_cbranch_execz .LBB100_6
; %bb.5:                                ;   in Loop: Header=BB100_4 Depth=1
	global_load_u16 v12, v[1:2], off
.LBB100_6:                              ;   in Loop: Header=BB100_4 Depth=1
	s_or_b32 exec_lo, exec_lo, s2
	v_add_co_u32 v13, s2, v6, s14
	s_delay_alu instid0(VALU_DEP_1) | instskip(NEXT) | instid1(VALU_DEP_1)
	v_add_co_ci_u32_e64 v14, s2, s15, v7, s2
	v_cmp_gt_u64_e64 s2, s[12:13], v[13:14]
	v_mov_b32_e32 v14, 0
	s_delay_alu instid0(VALU_DEP_2)
	s_and_saveexec_b32 s3, s2
	s_cbranch_execz .LBB100_8
; %bb.7:                                ;   in Loop: Header=BB100_4 Depth=1
	global_load_u16 v14, v[3:4], off
.LBB100_8:                              ;   in Loop: Header=BB100_4 Depth=1
	s_or_b32 exec_lo, exec_lo, s3
	v_add_co_u32 v15, s3, v10, s14
	s_delay_alu instid0(VALU_DEP_1) | instskip(SKIP_1) | instid1(VALU_DEP_2)
	v_add_co_ci_u32_e64 v16, s3, s15, v11, s3
	v_mov_b32_e32 v13, 0
	v_cmp_gt_u64_e64 s3, s[12:13], v[15:16]
	v_mov_b32_e32 v15, 0
	s_delay_alu instid0(VALU_DEP_2)
	s_and_saveexec_b32 s5, s3
	s_cbranch_execz .LBB100_10
; %bb.9:                                ;   in Loop: Header=BB100_4 Depth=1
	v_add_co_u32 v15, s4, v1, s16
	s_delay_alu instid0(VALU_DEP_1)
	v_add_co_ci_u32_e64 v16, s4, 0, v2, s4
	global_load_u16 v15, v[15:16], off
.LBB100_10:                             ;   in Loop: Header=BB100_4 Depth=1
	s_or_b32 exec_lo, exec_lo, s5
	v_add_co_u32 v16, s4, v8, s14
	s_delay_alu instid0(VALU_DEP_1) | instskip(NEXT) | instid1(VALU_DEP_1)
	v_add_co_ci_u32_e64 v17, s4, s15, v9, s4
	v_cmp_gt_u64_e64 s4, s[12:13], v[16:17]
	s_delay_alu instid0(VALU_DEP_1)
	s_and_saveexec_b32 s19, s4
	s_cbranch_execnz .LBB100_15
; %bb.11:                               ;   in Loop: Header=BB100_4 Depth=1
	s_or_b32 exec_lo, exec_lo, s19
	s_and_saveexec_b32 s5, vcc_lo
	s_cbranch_execnz .LBB100_16
.LBB100_12:                             ;   in Loop: Header=BB100_4 Depth=1
	s_or_b32 exec_lo, exec_lo, s5
	s_and_saveexec_b32 s5, s2
	s_cbranch_execnz .LBB100_17
.LBB100_13:                             ;   in Loop: Header=BB100_4 Depth=1
	s_or_b32 exec_lo, exec_lo, s5
	s_and_saveexec_b32 s2, s3
	s_cbranch_execnz .LBB100_18
.LBB100_14:                             ;   in Loop: Header=BB100_4 Depth=1
	s_or_b32 exec_lo, exec_lo, s2
	s_and_saveexec_b32 s2, s4
	s_cbranch_execz .LBB100_3
	s_branch .LBB100_19
.LBB100_15:                             ;   in Loop: Header=BB100_4 Depth=1
	v_add_co_u32 v16, s5, v1, s18
	s_delay_alu instid0(VALU_DEP_1)
	v_add_co_ci_u32_e64 v17, s5, 0, v2, s5
	global_load_u16 v13, v[16:17], off
	s_or_b32 exec_lo, exec_lo, s19
	s_and_saveexec_b32 s5, vcc_lo
	s_cbranch_execz .LBB100_12
.LBB100_16:                             ;   in Loop: Header=BB100_4 Depth=1
	s_waitcnt vmcnt(0)
	v_sub_nc_u16 v12, v12, v5
	global_store_b16 v[1:2], v12, off
	s_or_b32 exec_lo, exec_lo, s5
	s_and_saveexec_b32 s5, s2
	s_cbranch_execz .LBB100_13
.LBB100_17:                             ;   in Loop: Header=BB100_4 Depth=1
	s_waitcnt vmcnt(0)
	v_sub_nc_u16 v12, v14, v5
	global_store_b16 v[3:4], v12, off
	s_or_b32 exec_lo, exec_lo, s5
	s_and_saveexec_b32 s2, s3
	s_cbranch_execz .LBB100_14
.LBB100_18:                             ;   in Loop: Header=BB100_4 Depth=1
	s_waitcnt vmcnt(0)
	v_add_co_u32 v14, vcc_lo, v1, s16
	v_sub_nc_u16 v12, v15, v5
	v_add_co_ci_u32_e32 v15, vcc_lo, 0, v2, vcc_lo
	global_store_b16 v[14:15], v12, off
	s_or_b32 exec_lo, exec_lo, s2
	s_and_saveexec_b32 s2, s4
	s_cbranch_execz .LBB100_3
.LBB100_19:                             ;   in Loop: Header=BB100_4 Depth=1
	s_waitcnt vmcnt(0)
	v_add_co_u32 v12, vcc_lo, v1, s18
	v_sub_nc_u16 v14, v13, v5
	v_add_co_ci_u32_e32 v13, vcc_lo, 0, v2, vcc_lo
	global_store_b16 v[12:13], v14, off
	s_branch .LBB100_3
.LBB100_20:
	s_cbranch_execz .LBB100_22
	s_branch .LBB100_25
.LBB100_21:
.LBB100_22:
	v_dual_mov_b32 v2, 0 :: v_dual_lshlrev_b32 v1, 2, v0
	s_mov_b32 s2, 0
	s_mov_b32 s3, exec_lo
	s_delay_alu instid0(VALU_DEP_1)
	v_cmpx_gt_i64_e64 s[6:7], v[1:2]
	s_cbranch_execz .LBB100_25
; %bb.23:
	s_load_b32 s0, s[0:1], 0xd14
	v_lshlrev_b32_e32 v1, 3, v0
	s_waitcnt lgkmcnt(0)
	s_and_b32 s0, s0, 0xffff
	s_add_u32 s1, s8, s10
	s_addc_u32 s3, s9, s11
	v_add_co_u32 v3, s1, s1, v1
	s_delay_alu instid0(VALU_DEP_1)
	v_add_co_ci_u32_e64 v4, null, s3, 0, s1
	v_add_lshl_u32 v1, v0, s0, 2
	s_lshl_b32 s3, s0, 3
	s_lshl_b32 s4, s0, 2
	s_set_inst_prefetch_distance 0x1
	.p2align	6
.LBB100_24:                             ; =>This Inner Loop Header: Depth=1
	global_load_b64 v[6:7], v[3:4], off
	v_cmp_le_i64_e32 vcc_lo, s[6:7], v[1:2]
	v_cmp_lt_u64_e64 s0, 0xffff, v[1:2]
	v_add_co_u32 v1, s1, v1, s4
	s_delay_alu instid0(VALU_DEP_1) | instskip(NEXT) | instid1(VALU_DEP_3)
	v_add_co_ci_u32_e64 v2, s1, 0, v2, s1
	s_or_b32 s0, vcc_lo, s0
	s_delay_alu instid0(SALU_CYCLE_1) | instskip(NEXT) | instid1(SALU_CYCLE_1)
	s_and_b32 s0, exec_lo, s0
	s_or_b32 s2, s0, s2
	s_waitcnt vmcnt(0)
	v_lshrrev_b32_e32 v0, 16, v7
	v_lshrrev_b32_e32 v8, 16, v6
	v_sub_nc_u16 v7, v7, v5
	v_sub_nc_u16 v6, v6, v5
	s_delay_alu instid0(VALU_DEP_4) | instskip(NEXT) | instid1(VALU_DEP_4)
	v_sub_nc_u16 v0, v0, v5
	v_sub_nc_u16 v8, v8, v5
	s_delay_alu instid0(VALU_DEP_4) | instskip(NEXT) | instid1(VALU_DEP_4)
	v_and_b32_e32 v7, 0xffff, v7
	v_and_b32_e32 v6, 0xffff, v6
	s_delay_alu instid0(VALU_DEP_4) | instskip(NEXT) | instid1(VALU_DEP_4)
	v_lshlrev_b32_e32 v0, 16, v0
	v_lshlrev_b32_e32 v8, 16, v8
	s_delay_alu instid0(VALU_DEP_2) | instskip(NEXT) | instid1(VALU_DEP_2)
	v_or_b32_e32 v7, v0, v7
	v_or_b32_e32 v6, v8, v6
	global_store_b64 v[3:4], v[6:7], off
	v_add_co_u32 v3, vcc_lo, v3, s3
	v_add_co_ci_u32_e32 v4, vcc_lo, 0, v4, vcc_lo
	s_and_not1_b32 exec_lo, exec_lo, s2
	s_cbranch_execnz .LBB100_24
.LBB100_25:
	s_set_inst_prefetch_distance 0x2
	s_nop 0
	s_sendmsg sendmsg(MSG_DEALLOC_VGPRS)
	s_endpgm
	.section	.rodata,"a",@progbits
	.p2align	6, 0x0
	.amdhsa_kernel _ZN2at6native12_GLOBAL__N_125multi_tensor_apply_kernelINS1_28TensorListScalarListMetadataIsLi1EEENS1_25BinaryOpScalarListFunctorIsLi1ELi1ELi0EEEJSt5minusIsEEEEvT_T0_DpT1_
		.amdhsa_group_segment_fixed_size 0
		.amdhsa_private_segment_fixed_size 0
		.amdhsa_kernarg_size 3592
		.amdhsa_user_sgpr_count 15
		.amdhsa_user_sgpr_dispatch_ptr 0
		.amdhsa_user_sgpr_queue_ptr 0
		.amdhsa_user_sgpr_kernarg_segment_ptr 1
		.amdhsa_user_sgpr_dispatch_id 0
		.amdhsa_user_sgpr_private_segment_size 0
		.amdhsa_wavefront_size32 1
		.amdhsa_uses_dynamic_stack 0
		.amdhsa_enable_private_segment 0
		.amdhsa_system_sgpr_workgroup_id_x 1
		.amdhsa_system_sgpr_workgroup_id_y 0
		.amdhsa_system_sgpr_workgroup_id_z 0
		.amdhsa_system_sgpr_workgroup_info 0
		.amdhsa_system_vgpr_workitem_id 0
		.amdhsa_next_free_vgpr 18
		.amdhsa_next_free_sgpr 20
		.amdhsa_reserve_vcc 1
		.amdhsa_float_round_mode_32 0
		.amdhsa_float_round_mode_16_64 0
		.amdhsa_float_denorm_mode_32 3
		.amdhsa_float_denorm_mode_16_64 3
		.amdhsa_dx10_clamp 1
		.amdhsa_ieee_mode 1
		.amdhsa_fp16_overflow 0
		.amdhsa_workgroup_processor_mode 1
		.amdhsa_memory_ordered 1
		.amdhsa_forward_progress 0
		.amdhsa_shared_vgpr_count 0
		.amdhsa_exception_fp_ieee_invalid_op 0
		.amdhsa_exception_fp_denorm_src 0
		.amdhsa_exception_fp_ieee_div_zero 0
		.amdhsa_exception_fp_ieee_overflow 0
		.amdhsa_exception_fp_ieee_underflow 0
		.amdhsa_exception_fp_ieee_inexact 0
		.amdhsa_exception_int_div_zero 0
	.end_amdhsa_kernel
	.section	.text._ZN2at6native12_GLOBAL__N_125multi_tensor_apply_kernelINS1_28TensorListScalarListMetadataIsLi1EEENS1_25BinaryOpScalarListFunctorIsLi1ELi1ELi0EEEJSt5minusIsEEEEvT_T0_DpT1_,"axG",@progbits,_ZN2at6native12_GLOBAL__N_125multi_tensor_apply_kernelINS1_28TensorListScalarListMetadataIsLi1EEENS1_25BinaryOpScalarListFunctorIsLi1ELi1ELi0EEEJSt5minusIsEEEEvT_T0_DpT1_,comdat
.Lfunc_end100:
	.size	_ZN2at6native12_GLOBAL__N_125multi_tensor_apply_kernelINS1_28TensorListScalarListMetadataIsLi1EEENS1_25BinaryOpScalarListFunctorIsLi1ELi1ELi0EEEJSt5minusIsEEEEvT_T0_DpT1_, .Lfunc_end100-_ZN2at6native12_GLOBAL__N_125multi_tensor_apply_kernelINS1_28TensorListScalarListMetadataIsLi1EEENS1_25BinaryOpScalarListFunctorIsLi1ELi1ELi0EEEJSt5minusIsEEEEvT_T0_DpT1_
                                        ; -- End function
	.section	.AMDGPU.csdata,"",@progbits
; Kernel info:
; codeLenInByte = 1220
; NumSgprs: 22
; NumVgprs: 18
; ScratchSize: 0
; MemoryBound: 0
; FloatMode: 240
; IeeeMode: 1
; LDSByteSize: 0 bytes/workgroup (compile time only)
; SGPRBlocks: 2
; VGPRBlocks: 2
; NumSGPRsForWavesPerEU: 22
; NumVGPRsForWavesPerEU: 18
; Occupancy: 16
; WaveLimiterHint : 0
; COMPUTE_PGM_RSRC2:SCRATCH_EN: 0
; COMPUTE_PGM_RSRC2:USER_SGPR: 15
; COMPUTE_PGM_RSRC2:TRAP_HANDLER: 0
; COMPUTE_PGM_RSRC2:TGID_X_EN: 1
; COMPUTE_PGM_RSRC2:TGID_Y_EN: 0
; COMPUTE_PGM_RSRC2:TGID_Z_EN: 0
; COMPUTE_PGM_RSRC2:TIDIG_COMP_CNT: 0
	.section	.text._ZN2at6native12_GLOBAL__N_125multi_tensor_apply_kernelINS1_28TensorListScalarListMetadataIdLi1EEENS1_25BinaryOpScalarListFunctorIdLi1ELi1ELi0EEEJSt5minusIdEEEEvT_T0_DpT1_,"axG",@progbits,_ZN2at6native12_GLOBAL__N_125multi_tensor_apply_kernelINS1_28TensorListScalarListMetadataIdLi1EEENS1_25BinaryOpScalarListFunctorIdLi1ELi1ELi0EEEJSt5minusIdEEEEvT_T0_DpT1_,comdat
	.globl	_ZN2at6native12_GLOBAL__N_125multi_tensor_apply_kernelINS1_28TensorListScalarListMetadataIdLi1EEENS1_25BinaryOpScalarListFunctorIdLi1ELi1ELi0EEEJSt5minusIdEEEEvT_T0_DpT1_ ; -- Begin function _ZN2at6native12_GLOBAL__N_125multi_tensor_apply_kernelINS1_28TensorListScalarListMetadataIdLi1EEENS1_25BinaryOpScalarListFunctorIdLi1ELi1ELi0EEEJSt5minusIdEEEEvT_T0_DpT1_
	.p2align	8
	.type	_ZN2at6native12_GLOBAL__N_125multi_tensor_apply_kernelINS1_28TensorListScalarListMetadataIdLi1EEENS1_25BinaryOpScalarListFunctorIdLi1ELi1ELi0EEEJSt5minusIdEEEEvT_T0_DpT1_,@function
_ZN2at6native12_GLOBAL__N_125multi_tensor_apply_kernelINS1_28TensorListScalarListMetadataIdLi1EEENS1_25BinaryOpScalarListFunctorIdLi1ELi1ELi0EEEJSt5minusIdEEEEvT_T0_DpT1_: ; @_ZN2at6native12_GLOBAL__N_125multi_tensor_apply_kernelINS1_28TensorListScalarListMetadataIdLi1EEENS1_25BinaryOpScalarListFunctorIdLi1ELi1ELi0EEEJSt5minusIdEEEEvT_T0_DpT1_
; %bb.0:
	v_mov_b32_e32 v1, s15
	s_add_u32 s2, s0, s15
	s_mul_hi_u32 s3, s15, 3
	s_mul_i32 s15, s15, 3
	s_addc_u32 s4, s1, 0
	global_load_u8 v1, v1, s[0:1] offset:2304
	s_add_u32 s2, s2, s15
	s_addc_u32 s3, s4, s3
	s_mov_b32 s15, 0
	s_load_b32 s2, s[2:3], 0xa40
	s_waitcnt vmcnt(0)
	v_readfirstlane_b32 s5, v1
	s_delay_alu instid0(VALU_DEP_1)
	s_lshl_b32 s3, s5, 3
	s_clause 0x2
	s_load_b64 s[6:7], s[0:1], s3 offset:0x600
	s_load_b64 s[10:11], s[0:1], s3 offset:0x0
	;; [unrolled: 1-line block ×3, first 2 shown]
	s_waitcnt lgkmcnt(0)
	s_ashr_i32 s3, s2, 31
	s_delay_alu instid0(SALU_CYCLE_1)
	s_lshl_b64 s[12:13], s[2:3], 19
	s_lshl_b64 s[2:3], s[2:3], 16
	s_and_b32 s14, s10, 31
	s_sub_u32 s8, s4, s2
	s_subb_u32 s9, s5, s3
	s_and_b32 s2, s4, 3
	s_mov_b32 s3, s15
	s_delay_alu instid0(SALU_CYCLE_1) | instskip(NEXT) | instid1(SALU_CYCLE_1)
	s_or_b64 s[2:3], s[14:15], s[2:3]
	s_cmp_eq_u64 s[2:3], 0
	s_cbranch_scc1 .LBB101_21
; %bb.1:
	v_cmp_lt_i64_e64 s2, s[8:9], 1
	s_delay_alu instid0(VALU_DEP_1)
	s_and_b32 vcc_lo, exec_lo, s2
	s_cbranch_vccnz .LBB101_20
; %bb.2:
	s_load_b32 s2, s[0:1], 0xf54
	v_cmp_gt_u64_e64 s3, 0x10000, s[8:9]
	v_lshlrev_b32_e32 v1, 3, v0
	s_waitcnt lgkmcnt(0)
	s_and_b32 s2, s2, 0xffff
	s_delay_alu instid0(VALU_DEP_2)
	s_and_b32 s3, s3, exec_lo
	v_add_co_u32 v13, s5, v0, s2
	s_cselect_b32 s15, s9, 0
	s_cselect_b32 s14, s8, 0x10000
	s_lshl_b32 s3, s2, 1
	s_lshl_b32 s18, s2, 2
	v_lshlrev_b32_e32 v3, 3, v13
	v_add_co_ci_u32_e64 v14, null, 0, 0, s5
	s_add_u32 s5, s10, s12
	v_add_co_u32 v17, s3, s3, v0
	s_mul_i32 s4, s2, 3
	s_addc_u32 s16, s11, s13
	v_add_co_ci_u32_e64 v18, null, 0, 0, s3
	v_add_co_u32 v1, s3, s5, v1
	v_add_co_u32 v15, s4, s4, v0
	v_add_co_ci_u32_e64 v2, null, s16, 0, s3
	v_add_co_u32 v3, s3, s5, v3
	v_add_co_ci_u32_e64 v16, null, 0, 0, s4
	v_add_co_ci_u32_e64 v4, null, s16, 0, s3
	s_lshl_b32 s19, s2, 5
	s_mul_i32 s20, s2, 24
	s_lshl_b32 s21, s2, 4
	s_mov_b64 s[16:17], 0
	s_branch .LBB101_4
.LBB101_3:                              ;   in Loop: Header=BB101_4 Depth=1
	s_or_b32 exec_lo, exec_lo, s2
	s_add_u32 s16, s16, s18
	s_addc_u32 s17, s17, 0
	v_add_co_u32 v1, vcc_lo, v1, s19
	v_cmp_lt_i64_e64 s2, s[16:17], s[8:9]
	v_cmp_gt_u64_e64 s3, 0x10000, s[16:17]
	v_add_co_ci_u32_e32 v2, vcc_lo, 0, v2, vcc_lo
	v_add_co_u32 v3, vcc_lo, v3, s19
	v_add_co_ci_u32_e32 v4, vcc_lo, 0, v4, vcc_lo
	s_delay_alu instid0(VALU_DEP_4) | instskip(NEXT) | instid1(SALU_CYCLE_1)
	s_and_b32 s2, s2, s3
	s_and_b32 vcc_lo, exec_lo, s2
	s_cbranch_vccz .LBB101_20
.LBB101_4:                              ; =>This Inner Loop Header: Depth=1
	s_waitcnt vmcnt(0)
	v_add_co_u32 v7, s2, v0, s16
	s_delay_alu instid0(VALU_DEP_1) | instskip(SKIP_2) | instid1(VALU_DEP_3)
	v_add_co_ci_u32_e64 v8, null, 0, s17, s2
	v_mov_b32_e32 v5, 0
	v_mov_b32_e32 v6, 0
	v_cmp_gt_u64_e32 vcc_lo, s[14:15], v[7:8]
	s_delay_alu instid0(VALU_DEP_2)
	v_dual_mov_b32 v8, v6 :: v_dual_mov_b32 v7, v5
	s_and_saveexec_b32 s2, vcc_lo
	s_cbranch_execz .LBB101_6
; %bb.5:                                ;   in Loop: Header=BB101_4 Depth=1
	global_load_b64 v[7:8], v[1:2], off
.LBB101_6:                              ;   in Loop: Header=BB101_4 Depth=1
	s_or_b32 exec_lo, exec_lo, s2
	v_add_co_u32 v9, s2, v13, s16
	s_delay_alu instid0(VALU_DEP_1) | instskip(NEXT) | instid1(VALU_DEP_1)
	v_add_co_ci_u32_e64 v10, s2, s17, v14, s2
	v_cmp_gt_u64_e64 s2, s[14:15], v[9:10]
	s_delay_alu instid0(VALU_DEP_1)
	s_and_saveexec_b32 s3, s2
	s_cbranch_execz .LBB101_8
; %bb.7:                                ;   in Loop: Header=BB101_4 Depth=1
	global_load_b64 v[5:6], v[3:4], off
.LBB101_8:                              ;   in Loop: Header=BB101_4 Depth=1
	s_or_b32 exec_lo, exec_lo, s3
	v_add_co_u32 v11, s3, v17, s16
	s_delay_alu instid0(VALU_DEP_1) | instskip(SKIP_2) | instid1(VALU_DEP_3)
	v_add_co_ci_u32_e64 v12, s3, s17, v18, s3
	v_mov_b32_e32 v9, 0
	v_mov_b32_e32 v10, 0
	v_cmp_gt_u64_e64 s3, s[14:15], v[11:12]
	s_delay_alu instid0(VALU_DEP_2) | instskip(NEXT) | instid1(VALU_DEP_2)
	v_dual_mov_b32 v12, v10 :: v_dual_mov_b32 v11, v9
	s_and_saveexec_b32 s5, s3
	s_cbranch_execz .LBB101_10
; %bb.9:                                ;   in Loop: Header=BB101_4 Depth=1
	v_add_co_u32 v11, s4, v1, s21
	s_delay_alu instid0(VALU_DEP_1)
	v_add_co_ci_u32_e64 v12, s4, 0, v2, s4
	global_load_b64 v[11:12], v[11:12], off
.LBB101_10:                             ;   in Loop: Header=BB101_4 Depth=1
	s_or_b32 exec_lo, exec_lo, s5
	v_add_co_u32 v19, s4, v15, s16
	s_delay_alu instid0(VALU_DEP_1) | instskip(NEXT) | instid1(VALU_DEP_1)
	v_add_co_ci_u32_e64 v20, s4, s17, v16, s4
	v_cmp_gt_u64_e64 s4, s[14:15], v[19:20]
	s_delay_alu instid0(VALU_DEP_1)
	s_and_saveexec_b32 s22, s4
	s_cbranch_execnz .LBB101_15
; %bb.11:                               ;   in Loop: Header=BB101_4 Depth=1
	s_or_b32 exec_lo, exec_lo, s22
	s_and_saveexec_b32 s5, vcc_lo
	s_cbranch_execnz .LBB101_16
.LBB101_12:                             ;   in Loop: Header=BB101_4 Depth=1
	s_or_b32 exec_lo, exec_lo, s5
	s_and_saveexec_b32 s5, s2
	s_cbranch_execnz .LBB101_17
.LBB101_13:                             ;   in Loop: Header=BB101_4 Depth=1
	s_or_b32 exec_lo, exec_lo, s5
	s_and_saveexec_b32 s2, s3
	s_cbranch_execnz .LBB101_18
.LBB101_14:                             ;   in Loop: Header=BB101_4 Depth=1
	s_or_b32 exec_lo, exec_lo, s2
	s_and_saveexec_b32 s2, s4
	s_cbranch_execz .LBB101_3
	s_branch .LBB101_19
.LBB101_15:                             ;   in Loop: Header=BB101_4 Depth=1
	v_add_co_u32 v9, s5, v1, s20
	s_delay_alu instid0(VALU_DEP_1)
	v_add_co_ci_u32_e64 v10, s5, 0, v2, s5
	global_load_b64 v[9:10], v[9:10], off
	s_or_b32 exec_lo, exec_lo, s22
	s_and_saveexec_b32 s5, vcc_lo
	s_cbranch_execz .LBB101_12
.LBB101_16:                             ;   in Loop: Header=BB101_4 Depth=1
	s_waitcnt vmcnt(0)
	v_add_f64 v[7:8], v[7:8], -s[6:7]
	global_store_b64 v[1:2], v[7:8], off
	s_or_b32 exec_lo, exec_lo, s5
	s_and_saveexec_b32 s5, s2
	s_cbranch_execz .LBB101_13
.LBB101_17:                             ;   in Loop: Header=BB101_4 Depth=1
	s_waitcnt vmcnt(0)
	v_add_f64 v[5:6], v[5:6], -s[6:7]
	global_store_b64 v[3:4], v[5:6], off
	s_or_b32 exec_lo, exec_lo, s5
	s_and_saveexec_b32 s2, s3
	s_cbranch_execz .LBB101_14
.LBB101_18:                             ;   in Loop: Header=BB101_4 Depth=1
	s_waitcnt vmcnt(0)
	v_add_f64 v[5:6], v[11:12], -s[6:7]
	v_add_co_u32 v7, vcc_lo, v1, s21
	v_add_co_ci_u32_e32 v8, vcc_lo, 0, v2, vcc_lo
	global_store_b64 v[7:8], v[5:6], off
	s_or_b32 exec_lo, exec_lo, s2
	s_and_saveexec_b32 s2, s4
	s_cbranch_execz .LBB101_3
.LBB101_19:                             ;   in Loop: Header=BB101_4 Depth=1
	s_waitcnt vmcnt(0)
	v_add_f64 v[5:6], v[9:10], -s[6:7]
	v_add_co_u32 v7, vcc_lo, v1, s20
	v_add_co_ci_u32_e32 v8, vcc_lo, 0, v2, vcc_lo
	global_store_b64 v[7:8], v[5:6], off
	s_branch .LBB101_3
.LBB101_20:
	s_cbranch_execz .LBB101_22
	s_branch .LBB101_25
.LBB101_21:
.LBB101_22:
	v_dual_mov_b32 v2, 0 :: v_dual_lshlrev_b32 v1, 2, v0
	s_mov_b32 s2, 0
	s_mov_b32 s3, exec_lo
	s_delay_alu instid0(VALU_DEP_1)
	v_cmpx_gt_i64_e64 s[8:9], v[1:2]
	s_cbranch_execz .LBB101_25
; %bb.23:
	s_load_b32 s0, s[0:1], 0xf54
	v_lshlrev_b32_e32 v1, 5, v0
	s_waitcnt lgkmcnt(0)
	s_and_b32 s0, s0, 0xffff
	s_delay_alu instid0(SALU_CYCLE_1) | instskip(SKIP_3) | instid1(VALU_DEP_1)
	s_lshl_b32 s3, s0, 2
	s_add_u32 s1, s10, s12
	s_addc_u32 s4, s11, s13
	v_add_co_u32 v3, s1, s1, v1
	v_add_co_ci_u32_e64 v4, null, s4, 0, s1
	v_add_lshl_u32 v1, v0, s0, 2
	s_delay_alu instid0(VALU_DEP_3) | instskip(NEXT) | instid1(VALU_DEP_3)
	v_add_co_u32 v3, vcc_lo, v3, 16
	v_add_co_ci_u32_e32 v4, vcc_lo, 0, v4, vcc_lo
	s_lshl_b32 s4, s0, 5
	.p2align	6
.LBB101_24:                             ; =>This Inner Loop Header: Depth=1
	s_clause 0x1
	global_load_b128 v[5:8], v[3:4], off offset:-16
	global_load_b128 v[9:12], v[3:4], off
	v_cmp_le_i64_e32 vcc_lo, s[8:9], v[1:2]
	v_cmp_lt_u64_e64 s0, 0xffff, v[1:2]
	v_add_co_u32 v1, s1, v1, s3
	s_delay_alu instid0(VALU_DEP_1) | instskip(NEXT) | instid1(VALU_DEP_3)
	v_add_co_ci_u32_e64 v2, s1, 0, v2, s1
	s_or_b32 s0, vcc_lo, s0
	s_delay_alu instid0(SALU_CYCLE_1) | instskip(NEXT) | instid1(SALU_CYCLE_1)
	s_and_b32 s0, exec_lo, s0
	s_or_b32 s2, s0, s2
	s_waitcnt vmcnt(1)
	v_add_f64 v[5:6], v[5:6], -s[6:7]
	v_add_f64 v[7:8], v[7:8], -s[6:7]
	s_waitcnt vmcnt(0)
	v_add_f64 v[9:10], v[9:10], -s[6:7]
	v_add_f64 v[11:12], v[11:12], -s[6:7]
	s_clause 0x1
	global_store_b128 v[3:4], v[5:8], off offset:-16
	global_store_b128 v[3:4], v[9:12], off
	v_add_co_u32 v3, vcc_lo, v3, s4
	v_add_co_ci_u32_e32 v4, vcc_lo, 0, v4, vcc_lo
	s_and_not1_b32 exec_lo, exec_lo, s2
	s_cbranch_execnz .LBB101_24
.LBB101_25:
	s_nop 0
	s_sendmsg sendmsg(MSG_DEALLOC_VGPRS)
	s_endpgm
	.section	.rodata,"a",@progbits
	.p2align	6, 0x0
	.amdhsa_kernel _ZN2at6native12_GLOBAL__N_125multi_tensor_apply_kernelINS1_28TensorListScalarListMetadataIdLi1EEENS1_25BinaryOpScalarListFunctorIdLi1ELi1ELi0EEEJSt5minusIdEEEEvT_T0_DpT1_
		.amdhsa_group_segment_fixed_size 0
		.amdhsa_private_segment_fixed_size 0
		.amdhsa_kernarg_size 4168
		.amdhsa_user_sgpr_count 15
		.amdhsa_user_sgpr_dispatch_ptr 0
		.amdhsa_user_sgpr_queue_ptr 0
		.amdhsa_user_sgpr_kernarg_segment_ptr 1
		.amdhsa_user_sgpr_dispatch_id 0
		.amdhsa_user_sgpr_private_segment_size 0
		.amdhsa_wavefront_size32 1
		.amdhsa_uses_dynamic_stack 0
		.amdhsa_enable_private_segment 0
		.amdhsa_system_sgpr_workgroup_id_x 1
		.amdhsa_system_sgpr_workgroup_id_y 0
		.amdhsa_system_sgpr_workgroup_id_z 0
		.amdhsa_system_sgpr_workgroup_info 0
		.amdhsa_system_vgpr_workitem_id 0
		.amdhsa_next_free_vgpr 21
		.amdhsa_next_free_sgpr 23
		.amdhsa_reserve_vcc 1
		.amdhsa_float_round_mode_32 0
		.amdhsa_float_round_mode_16_64 0
		.amdhsa_float_denorm_mode_32 3
		.amdhsa_float_denorm_mode_16_64 3
		.amdhsa_dx10_clamp 1
		.amdhsa_ieee_mode 1
		.amdhsa_fp16_overflow 0
		.amdhsa_workgroup_processor_mode 1
		.amdhsa_memory_ordered 1
		.amdhsa_forward_progress 0
		.amdhsa_shared_vgpr_count 0
		.amdhsa_exception_fp_ieee_invalid_op 0
		.amdhsa_exception_fp_denorm_src 0
		.amdhsa_exception_fp_ieee_div_zero 0
		.amdhsa_exception_fp_ieee_overflow 0
		.amdhsa_exception_fp_ieee_underflow 0
		.amdhsa_exception_fp_ieee_inexact 0
		.amdhsa_exception_int_div_zero 0
	.end_amdhsa_kernel
	.section	.text._ZN2at6native12_GLOBAL__N_125multi_tensor_apply_kernelINS1_28TensorListScalarListMetadataIdLi1EEENS1_25BinaryOpScalarListFunctorIdLi1ELi1ELi0EEEJSt5minusIdEEEEvT_T0_DpT1_,"axG",@progbits,_ZN2at6native12_GLOBAL__N_125multi_tensor_apply_kernelINS1_28TensorListScalarListMetadataIdLi1EEENS1_25BinaryOpScalarListFunctorIdLi1ELi1ELi0EEEJSt5minusIdEEEEvT_T0_DpT1_,comdat
.Lfunc_end101:
	.size	_ZN2at6native12_GLOBAL__N_125multi_tensor_apply_kernelINS1_28TensorListScalarListMetadataIdLi1EEENS1_25BinaryOpScalarListFunctorIdLi1ELi1ELi0EEEJSt5minusIdEEEEvT_T0_DpT1_, .Lfunc_end101-_ZN2at6native12_GLOBAL__N_125multi_tensor_apply_kernelINS1_28TensorListScalarListMetadataIdLi1EEENS1_25BinaryOpScalarListFunctorIdLi1ELi1ELi0EEEJSt5minusIdEEEEvT_T0_DpT1_
                                        ; -- End function
	.section	.AMDGPU.csdata,"",@progbits
; Kernel info:
; codeLenInByte = 1192
; NumSgprs: 25
; NumVgprs: 21
; ScratchSize: 0
; MemoryBound: 0
; FloatMode: 240
; IeeeMode: 1
; LDSByteSize: 0 bytes/workgroup (compile time only)
; SGPRBlocks: 3
; VGPRBlocks: 2
; NumSGPRsForWavesPerEU: 25
; NumVGPRsForWavesPerEU: 21
; Occupancy: 16
; WaveLimiterHint : 1
; COMPUTE_PGM_RSRC2:SCRATCH_EN: 0
; COMPUTE_PGM_RSRC2:USER_SGPR: 15
; COMPUTE_PGM_RSRC2:TRAP_HANDLER: 0
; COMPUTE_PGM_RSRC2:TGID_X_EN: 1
; COMPUTE_PGM_RSRC2:TGID_Y_EN: 0
; COMPUTE_PGM_RSRC2:TGID_Z_EN: 0
; COMPUTE_PGM_RSRC2:TIDIG_COMP_CNT: 0
	.section	.text._ZN2at6native12_GLOBAL__N_125multi_tensor_apply_kernelINS1_28TensorListScalarListMetadataIfLi1EEENS1_25BinaryOpScalarListFunctorIfLi1ELi1ELi0EEEJSt5minusIfEEEEvT_T0_DpT1_,"axG",@progbits,_ZN2at6native12_GLOBAL__N_125multi_tensor_apply_kernelINS1_28TensorListScalarListMetadataIfLi1EEENS1_25BinaryOpScalarListFunctorIfLi1ELi1ELi0EEEJSt5minusIfEEEEvT_T0_DpT1_,comdat
	.globl	_ZN2at6native12_GLOBAL__N_125multi_tensor_apply_kernelINS1_28TensorListScalarListMetadataIfLi1EEENS1_25BinaryOpScalarListFunctorIfLi1ELi1ELi0EEEJSt5minusIfEEEEvT_T0_DpT1_ ; -- Begin function _ZN2at6native12_GLOBAL__N_125multi_tensor_apply_kernelINS1_28TensorListScalarListMetadataIfLi1EEENS1_25BinaryOpScalarListFunctorIfLi1ELi1ELi0EEEJSt5minusIfEEEEvT_T0_DpT1_
	.p2align	8
	.type	_ZN2at6native12_GLOBAL__N_125multi_tensor_apply_kernelINS1_28TensorListScalarListMetadataIfLi1EEENS1_25BinaryOpScalarListFunctorIfLi1ELi1ELi0EEEJSt5minusIfEEEEvT_T0_DpT1_,@function
_ZN2at6native12_GLOBAL__N_125multi_tensor_apply_kernelINS1_28TensorListScalarListMetadataIfLi1EEENS1_25BinaryOpScalarListFunctorIfLi1ELi1ELi0EEEJSt5minusIfEEEEvT_T0_DpT1_: ; @_ZN2at6native12_GLOBAL__N_125multi_tensor_apply_kernelINS1_28TensorListScalarListMetadataIfLi1EEENS1_25BinaryOpScalarListFunctorIfLi1ELi1ELi0EEEJSt5minusIfEEEEvT_T0_DpT1_
; %bb.0:
	v_mov_b32_e32 v1, s15
	s_add_u32 s2, s0, s15
	s_mul_i32 s3, s15, 3
	s_mul_hi_u32 s4, s15, 3
	s_addc_u32 s5, s1, 0
	global_load_u8 v1, v1, s[0:1] offset:1920
	s_add_u32 s2, s2, s3
	s_addc_u32 s3, s5, s4
	s_load_b32 s2, s[2:3], 0x8c0
	s_waitcnt vmcnt(0)
	v_readfirstlane_b32 s3, v1
	v_lshlrev_b32_e32 v1, 2, v1
	s_delay_alu instid0(VALU_DEP_2)
	s_lshl_b32 s6, s3, 3
	s_waitcnt lgkmcnt(0)
	s_ashr_i32 s3, s2, 31
	s_clause 0x1
	s_load_b64 s[4:5], s[0:1], s6 offset:0x300
	s_load_b64 s[8:9], s[0:1], s6 offset:0x0
	s_add_u32 s6, s0, s6
	s_addc_u32 s7, s1, 0
	v_sub_co_u32 v1, s6, s6, v1
	s_delay_alu instid0(VALU_DEP_1) | instskip(SKIP_1) | instid1(VALU_DEP_2)
	v_sub_co_ci_u32_e64 v2, null, s7, 0, s6
	s_lshl_b64 s[10:11], s[2:3], 18
	v_readfirstlane_b32 s6, v1
	s_lshl_b64 s[2:3], s[2:3], 16
	s_delay_alu instid0(VALU_DEP_2)
	v_readfirstlane_b32 s7, v2
	s_load_b32 s16, s[6:7], 0x600
	s_waitcnt lgkmcnt(0)
	s_and_b32 s12, s8, 15
	s_sub_u32 s6, s4, s2
	s_subb_u32 s7, s5, s3
	s_and_b32 s2, s4, 3
	s_mov_b32 s3, 0
	s_or_b32 s2, s12, s2
	s_delay_alu instid0(SALU_CYCLE_1)
	s_cmp_eq_u64 s[2:3], 0
	s_cbranch_scc1 .LBB102_21
; %bb.1:
	v_cmp_lt_i64_e64 s2, s[6:7], 1
	s_delay_alu instid0(VALU_DEP_1)
	s_and_b32 vcc_lo, exec_lo, s2
	s_cbranch_vccnz .LBB102_20
; %bb.2:
	s_load_b32 s2, s[0:1], 0xdd4
	v_cmp_gt_u64_e64 s3, 0x10000, s[6:7]
	v_lshlrev_b32_e32 v1, 2, v0
	s_waitcnt lgkmcnt(0)
	s_and_b32 s2, s2, 0xffff
	s_delay_alu instid0(VALU_DEP_2)
	s_and_b32 s3, s3, exec_lo
	v_add_co_u32 v5, s5, v0, s2
	s_cselect_b32 s13, s7, 0
	s_cselect_b32 s12, s6, 0x10000
	s_lshl_b32 s3, s2, 1
	s_lshl_b32 s17, s2, 2
	v_lshlrev_b32_e32 v3, 2, v5
	v_add_co_ci_u32_e64 v6, null, 0, 0, s5
	s_add_u32 s5, s8, s10
	v_add_co_u32 v9, s3, s3, v0
	s_mul_i32 s4, s2, 3
	s_addc_u32 s14, s9, s11
	v_add_co_ci_u32_e64 v10, null, 0, 0, s3
	v_add_co_u32 v1, s3, s5, v1
	v_add_co_u32 v7, s4, s4, v0
	v_add_co_ci_u32_e64 v2, null, s14, 0, s3
	v_add_co_u32 v3, s3, s5, v3
	v_add_co_ci_u32_e64 v8, null, 0, 0, s4
	v_add_co_ci_u32_e64 v4, null, s14, 0, s3
	s_lshl_b32 s18, s2, 4
	s_mul_i32 s19, s2, 12
	s_lshl_b32 s20, s2, 3
	s_mov_b64 s[14:15], 0
	s_branch .LBB102_4
.LBB102_3:                              ;   in Loop: Header=BB102_4 Depth=1
	s_or_b32 exec_lo, exec_lo, s2
	s_add_u32 s14, s14, s17
	s_addc_u32 s15, s15, 0
	v_add_co_u32 v1, vcc_lo, v1, s18
	v_cmp_lt_i64_e64 s2, s[14:15], s[6:7]
	v_cmp_gt_u64_e64 s3, 0x10000, s[14:15]
	v_add_co_ci_u32_e32 v2, vcc_lo, 0, v2, vcc_lo
	v_add_co_u32 v3, vcc_lo, v3, s18
	v_add_co_ci_u32_e32 v4, vcc_lo, 0, v4, vcc_lo
	s_delay_alu instid0(VALU_DEP_4) | instskip(NEXT) | instid1(SALU_CYCLE_1)
	s_and_b32 s2, s2, s3
	s_and_b32 vcc_lo, exec_lo, s2
	s_cbranch_vccz .LBB102_20
.LBB102_4:                              ; =>This Inner Loop Header: Depth=1
	s_waitcnt vmcnt(0)
	v_add_co_u32 v11, s2, v0, s14
	s_delay_alu instid0(VALU_DEP_1) | instskip(NEXT) | instid1(VALU_DEP_1)
	v_add_co_ci_u32_e64 v12, null, 0, s15, s2
	v_cmp_gt_u64_e32 vcc_lo, s[12:13], v[11:12]
	v_mov_b32_e32 v11, 0
	s_and_saveexec_b32 s2, vcc_lo
	s_cbranch_execz .LBB102_6
; %bb.5:                                ;   in Loop: Header=BB102_4 Depth=1
	global_load_b32 v11, v[1:2], off
.LBB102_6:                              ;   in Loop: Header=BB102_4 Depth=1
	s_or_b32 exec_lo, exec_lo, s2
	v_add_co_u32 v12, s2, v5, s14
	s_delay_alu instid0(VALU_DEP_1) | instskip(NEXT) | instid1(VALU_DEP_1)
	v_add_co_ci_u32_e64 v13, s2, s15, v6, s2
	v_cmp_gt_u64_e64 s2, s[12:13], v[12:13]
	v_mov_b32_e32 v13, 0
	s_delay_alu instid0(VALU_DEP_2)
	s_and_saveexec_b32 s3, s2
	s_cbranch_execz .LBB102_8
; %bb.7:                                ;   in Loop: Header=BB102_4 Depth=1
	global_load_b32 v13, v[3:4], off
.LBB102_8:                              ;   in Loop: Header=BB102_4 Depth=1
	s_or_b32 exec_lo, exec_lo, s3
	v_add_co_u32 v14, s3, v9, s14
	s_delay_alu instid0(VALU_DEP_1) | instskip(SKIP_1) | instid1(VALU_DEP_2)
	v_add_co_ci_u32_e64 v15, s3, s15, v10, s3
	v_mov_b32_e32 v12, 0
	v_cmp_gt_u64_e64 s3, s[12:13], v[14:15]
	v_mov_b32_e32 v14, 0
	s_delay_alu instid0(VALU_DEP_2)
	s_and_saveexec_b32 s5, s3
	s_cbranch_execz .LBB102_10
; %bb.9:                                ;   in Loop: Header=BB102_4 Depth=1
	v_add_co_u32 v14, s4, v1, s20
	s_delay_alu instid0(VALU_DEP_1)
	v_add_co_ci_u32_e64 v15, s4, 0, v2, s4
	global_load_b32 v14, v[14:15], off
.LBB102_10:                             ;   in Loop: Header=BB102_4 Depth=1
	s_or_b32 exec_lo, exec_lo, s5
	v_add_co_u32 v15, s4, v7, s14
	s_delay_alu instid0(VALU_DEP_1) | instskip(NEXT) | instid1(VALU_DEP_1)
	v_add_co_ci_u32_e64 v16, s4, s15, v8, s4
	v_cmp_gt_u64_e64 s4, s[12:13], v[15:16]
	s_delay_alu instid0(VALU_DEP_1)
	s_and_saveexec_b32 s21, s4
	s_cbranch_execnz .LBB102_15
; %bb.11:                               ;   in Loop: Header=BB102_4 Depth=1
	s_or_b32 exec_lo, exec_lo, s21
	s_and_saveexec_b32 s5, vcc_lo
	s_cbranch_execnz .LBB102_16
.LBB102_12:                             ;   in Loop: Header=BB102_4 Depth=1
	s_or_b32 exec_lo, exec_lo, s5
	s_and_saveexec_b32 s5, s2
	s_cbranch_execnz .LBB102_17
.LBB102_13:                             ;   in Loop: Header=BB102_4 Depth=1
	s_or_b32 exec_lo, exec_lo, s5
	s_and_saveexec_b32 s2, s3
	s_cbranch_execnz .LBB102_18
.LBB102_14:                             ;   in Loop: Header=BB102_4 Depth=1
	s_or_b32 exec_lo, exec_lo, s2
	s_and_saveexec_b32 s2, s4
	s_cbranch_execz .LBB102_3
	s_branch .LBB102_19
.LBB102_15:                             ;   in Loop: Header=BB102_4 Depth=1
	v_add_co_u32 v15, s5, v1, s19
	s_delay_alu instid0(VALU_DEP_1)
	v_add_co_ci_u32_e64 v16, s5, 0, v2, s5
	global_load_b32 v12, v[15:16], off
	s_or_b32 exec_lo, exec_lo, s21
	s_and_saveexec_b32 s5, vcc_lo
	s_cbranch_execz .LBB102_12
.LBB102_16:                             ;   in Loop: Header=BB102_4 Depth=1
	s_waitcnt vmcnt(0)
	v_subrev_f32_e32 v11, s16, v11
	global_store_b32 v[1:2], v11, off
	s_or_b32 exec_lo, exec_lo, s5
	s_and_saveexec_b32 s5, s2
	s_cbranch_execz .LBB102_13
.LBB102_17:                             ;   in Loop: Header=BB102_4 Depth=1
	s_waitcnt vmcnt(0)
	v_subrev_f32_e32 v11, s16, v13
	global_store_b32 v[3:4], v11, off
	s_or_b32 exec_lo, exec_lo, s5
	s_and_saveexec_b32 s2, s3
	s_cbranch_execz .LBB102_14
.LBB102_18:                             ;   in Loop: Header=BB102_4 Depth=1
	s_waitcnt vmcnt(0)
	v_add_co_u32 v13, vcc_lo, v1, s20
	v_subrev_f32_e32 v11, s16, v14
	v_add_co_ci_u32_e32 v14, vcc_lo, 0, v2, vcc_lo
	global_store_b32 v[13:14], v11, off
	s_or_b32 exec_lo, exec_lo, s2
	s_and_saveexec_b32 s2, s4
	s_cbranch_execz .LBB102_3
.LBB102_19:                             ;   in Loop: Header=BB102_4 Depth=1
	s_waitcnt vmcnt(0)
	v_add_co_u32 v11, vcc_lo, v1, s19
	v_subrev_f32_e32 v13, s16, v12
	v_add_co_ci_u32_e32 v12, vcc_lo, 0, v2, vcc_lo
	global_store_b32 v[11:12], v13, off
	s_branch .LBB102_3
.LBB102_20:
	s_cbranch_execz .LBB102_22
	s_branch .LBB102_25
.LBB102_21:
.LBB102_22:
	v_dual_mov_b32 v2, 0 :: v_dual_lshlrev_b32 v1, 2, v0
	s_mov_b32 s2, 0
	s_mov_b32 s3, exec_lo
	s_delay_alu instid0(VALU_DEP_1)
	v_cmpx_gt_i64_e64 s[6:7], v[1:2]
	s_cbranch_execz .LBB102_25
; %bb.23:
	s_load_b32 s0, s[0:1], 0xdd4
	v_lshlrev_b32_e32 v1, 4, v0
	s_waitcnt lgkmcnt(0)
	s_and_b32 s0, s0, 0xffff
	s_delay_alu instid0(SALU_CYCLE_1) | instskip(SKIP_3) | instid1(VALU_DEP_1)
	s_lshl_b32 s3, s0, 2
	s_add_u32 s1, s8, s10
	s_addc_u32 s4, s9, s11
	v_add_co_u32 v3, s1, s1, v1
	v_add_co_ci_u32_e64 v4, null, s4, 0, s1
	v_add_lshl_u32 v1, v0, s0, 2
	s_delay_alu instid0(VALU_DEP_3) | instskip(NEXT) | instid1(VALU_DEP_3)
	v_add_co_u32 v3, vcc_lo, v3, 8
	v_add_co_ci_u32_e32 v4, vcc_lo, 0, v4, vcc_lo
	s_lshl_b32 s4, s0, 4
	.p2align	6
.LBB102_24:                             ; =>This Inner Loop Header: Depth=1
	global_load_b128 v[5:8], v[3:4], off offset:-8
	v_cmp_le_i64_e32 vcc_lo, s[6:7], v[1:2]
	v_cmp_lt_u64_e64 s0, 0xffff, v[1:2]
	v_add_co_u32 v1, s1, v1, s3
	s_delay_alu instid0(VALU_DEP_1) | instskip(NEXT) | instid1(VALU_DEP_3)
	v_add_co_ci_u32_e64 v2, s1, 0, v2, s1
	s_or_b32 s0, vcc_lo, s0
	s_delay_alu instid0(SALU_CYCLE_1) | instskip(NEXT) | instid1(SALU_CYCLE_1)
	s_and_b32 s0, exec_lo, s0
	s_or_b32 s2, s0, s2
	s_waitcnt vmcnt(0)
	v_dual_subrev_f32 v5, s16, v5 :: v_dual_subrev_f32 v6, s16, v6
	v_dual_subrev_f32 v7, s16, v7 :: v_dual_subrev_f32 v8, s16, v8
	global_store_b128 v[3:4], v[5:8], off offset:-8
	v_add_co_u32 v3, vcc_lo, v3, s4
	v_add_co_ci_u32_e32 v4, vcc_lo, 0, v4, vcc_lo
	s_and_not1_b32 exec_lo, exec_lo, s2
	s_cbranch_execnz .LBB102_24
.LBB102_25:
	s_nop 0
	s_sendmsg sendmsg(MSG_DEALLOC_VGPRS)
	s_endpgm
	.section	.rodata,"a",@progbits
	.p2align	6, 0x0
	.amdhsa_kernel _ZN2at6native12_GLOBAL__N_125multi_tensor_apply_kernelINS1_28TensorListScalarListMetadataIfLi1EEENS1_25BinaryOpScalarListFunctorIfLi1ELi1ELi0EEEJSt5minusIfEEEEvT_T0_DpT1_
		.amdhsa_group_segment_fixed_size 0
		.amdhsa_private_segment_fixed_size 0
		.amdhsa_kernarg_size 3784
		.amdhsa_user_sgpr_count 15
		.amdhsa_user_sgpr_dispatch_ptr 0
		.amdhsa_user_sgpr_queue_ptr 0
		.amdhsa_user_sgpr_kernarg_segment_ptr 1
		.amdhsa_user_sgpr_dispatch_id 0
		.amdhsa_user_sgpr_private_segment_size 0
		.amdhsa_wavefront_size32 1
		.amdhsa_uses_dynamic_stack 0
		.amdhsa_enable_private_segment 0
		.amdhsa_system_sgpr_workgroup_id_x 1
		.amdhsa_system_sgpr_workgroup_id_y 0
		.amdhsa_system_sgpr_workgroup_id_z 0
		.amdhsa_system_sgpr_workgroup_info 0
		.amdhsa_system_vgpr_workitem_id 0
		.amdhsa_next_free_vgpr 17
		.amdhsa_next_free_sgpr 22
		.amdhsa_reserve_vcc 1
		.amdhsa_float_round_mode_32 0
		.amdhsa_float_round_mode_16_64 0
		.amdhsa_float_denorm_mode_32 3
		.amdhsa_float_denorm_mode_16_64 3
		.amdhsa_dx10_clamp 1
		.amdhsa_ieee_mode 1
		.amdhsa_fp16_overflow 0
		.amdhsa_workgroup_processor_mode 1
		.amdhsa_memory_ordered 1
		.amdhsa_forward_progress 0
		.amdhsa_shared_vgpr_count 0
		.amdhsa_exception_fp_ieee_invalid_op 0
		.amdhsa_exception_fp_denorm_src 0
		.amdhsa_exception_fp_ieee_div_zero 0
		.amdhsa_exception_fp_ieee_overflow 0
		.amdhsa_exception_fp_ieee_underflow 0
		.amdhsa_exception_fp_ieee_inexact 0
		.amdhsa_exception_int_div_zero 0
	.end_amdhsa_kernel
	.section	.text._ZN2at6native12_GLOBAL__N_125multi_tensor_apply_kernelINS1_28TensorListScalarListMetadataIfLi1EEENS1_25BinaryOpScalarListFunctorIfLi1ELi1ELi0EEEJSt5minusIfEEEEvT_T0_DpT1_,"axG",@progbits,_ZN2at6native12_GLOBAL__N_125multi_tensor_apply_kernelINS1_28TensorListScalarListMetadataIfLi1EEENS1_25BinaryOpScalarListFunctorIfLi1ELi1ELi0EEEJSt5minusIfEEEEvT_T0_DpT1_,comdat
.Lfunc_end102:
	.size	_ZN2at6native12_GLOBAL__N_125multi_tensor_apply_kernelINS1_28TensorListScalarListMetadataIfLi1EEENS1_25BinaryOpScalarListFunctorIfLi1ELi1ELi0EEEJSt5minusIfEEEEvT_T0_DpT1_, .Lfunc_end102-_ZN2at6native12_GLOBAL__N_125multi_tensor_apply_kernelINS1_28TensorListScalarListMetadataIfLi1EEENS1_25BinaryOpScalarListFunctorIfLi1ELi1ELi0EEEJSt5minusIfEEEEvT_T0_DpT1_
                                        ; -- End function
	.section	.AMDGPU.csdata,"",@progbits
; Kernel info:
; codeLenInByte = 1152
; NumSgprs: 24
; NumVgprs: 17
; ScratchSize: 0
; MemoryBound: 0
; FloatMode: 240
; IeeeMode: 1
; LDSByteSize: 0 bytes/workgroup (compile time only)
; SGPRBlocks: 2
; VGPRBlocks: 2
; NumSGPRsForWavesPerEU: 24
; NumVGPRsForWavesPerEU: 17
; Occupancy: 16
; WaveLimiterHint : 0
; COMPUTE_PGM_RSRC2:SCRATCH_EN: 0
; COMPUTE_PGM_RSRC2:USER_SGPR: 15
; COMPUTE_PGM_RSRC2:TRAP_HANDLER: 0
; COMPUTE_PGM_RSRC2:TGID_X_EN: 1
; COMPUTE_PGM_RSRC2:TGID_Y_EN: 0
; COMPUTE_PGM_RSRC2:TGID_Z_EN: 0
; COMPUTE_PGM_RSRC2:TIDIG_COMP_CNT: 0
	.section	.text._ZN2at6native12_GLOBAL__N_125multi_tensor_apply_kernelINS1_28TensorListScalarListMetadataIN3c107complexIdEELi1EEENS1_25BinaryOpScalarListFunctorIS6_Li1ELi1ELi0EEEJSt5minusIS6_EEEEvT_T0_DpT1_,"axG",@progbits,_ZN2at6native12_GLOBAL__N_125multi_tensor_apply_kernelINS1_28TensorListScalarListMetadataIN3c107complexIdEELi1EEENS1_25BinaryOpScalarListFunctorIS6_Li1ELi1ELi0EEEJSt5minusIS6_EEEEvT_T0_DpT1_,comdat
	.globl	_ZN2at6native12_GLOBAL__N_125multi_tensor_apply_kernelINS1_28TensorListScalarListMetadataIN3c107complexIdEELi1EEENS1_25BinaryOpScalarListFunctorIS6_Li1ELi1ELi0EEEJSt5minusIS6_EEEEvT_T0_DpT1_ ; -- Begin function _ZN2at6native12_GLOBAL__N_125multi_tensor_apply_kernelINS1_28TensorListScalarListMetadataIN3c107complexIdEELi1EEENS1_25BinaryOpScalarListFunctorIS6_Li1ELi1ELi0EEEJSt5minusIS6_EEEEvT_T0_DpT1_
	.p2align	8
	.type	_ZN2at6native12_GLOBAL__N_125multi_tensor_apply_kernelINS1_28TensorListScalarListMetadataIN3c107complexIdEELi1EEENS1_25BinaryOpScalarListFunctorIS6_Li1ELi1ELi0EEEJSt5minusIS6_EEEEvT_T0_DpT1_,@function
_ZN2at6native12_GLOBAL__N_125multi_tensor_apply_kernelINS1_28TensorListScalarListMetadataIN3c107complexIdEELi1EEENS1_25BinaryOpScalarListFunctorIS6_Li1ELi1ELi0EEEJSt5minusIS6_EEEEvT_T0_DpT1_: ; @_ZN2at6native12_GLOBAL__N_125multi_tensor_apply_kernelINS1_28TensorListScalarListMetadataIN3c107complexIdEELi1EEENS1_25BinaryOpScalarListFunctorIS6_Li1ELi1ELi0EEEJSt5minusIS6_EEEEvT_T0_DpT1_
; %bb.0:
	v_mov_b32_e32 v1, s15
	s_add_u32 s2, s0, s15
	s_mul_i32 s3, s15, 3
	s_mul_hi_u32 s4, s15, 3
	s_addc_u32 s5, s1, 0
	global_load_u8 v1, v1, s[0:1] offset:2304
	s_add_u32 s2, s2, s3
	s_addc_u32 s3, s5, s4
	s_load_b32 s2, s[2:3], 0xa40
	s_waitcnt vmcnt(0)
	v_readfirstlane_b32 s3, v1
	s_delay_alu instid0(VALU_DEP_1)
	s_lshl_b32 s8, s3, 3
	s_waitcnt lgkmcnt(0)
	s_ashr_i32 s3, s2, 31
	s_clause 0x1
	s_load_b64 s[12:13], s[0:1], s8 offset:0x0
	s_load_b64 s[4:5], s[0:1], s8 offset:0x240
	s_add_u32 s6, s0, s8
	s_addc_u32 s7, s1, 0
	s_lshl_b64 s[14:15], s[2:3], 20
	s_load_b128 s[8:11], s[6:7], s8 offset:0x480
	s_waitcnt lgkmcnt(0)
	s_add_u32 s20, s12, s14
	s_addc_u32 s21, s13, s15
	s_lshl_b64 s[2:3], s[2:3], 16
	s_and_b32 s16, s20, 63
	s_sub_u32 s6, s4, s2
	s_subb_u32 s7, s5, s3
	s_and_b32 s2, s4, 3
	s_mov_b32 s3, 0
	s_or_b32 s2, s16, s2
	s_delay_alu instid0(SALU_CYCLE_1)
	s_cmp_eq_u64 s[2:3], 0
	s_cbranch_scc1 .LBB103_21
; %bb.1:
	v_cmp_lt_i64_e64 s2, s[6:7], 1
	s_delay_alu instid0(VALU_DEP_1)
	s_and_b32 vcc_lo, exec_lo, s2
	s_cbranch_vccnz .LBB103_20
; %bb.2:
	s_load_b32 s2, s[0:1], 0xf54
	v_cmp_gt_u64_e64 s3, 0x10000, s[6:7]
	v_dual_mov_b32 v18, 0 :: v_dual_lshlrev_b32 v17, 4, v0
	s_mov_b64 s[18:19], 0
	s_waitcnt lgkmcnt(0)
	s_and_b32 s2, s2, 0xffff
	s_delay_alu instid0(VALU_DEP_2)
	s_and_b32 s3, s3, exec_lo
	v_add_co_u32 v21, s5, v0, s2
	v_mad_u64_u32 v[19:20], null, s2, 48, v[17:18]
	s_cselect_b32 s17, s7, 0
	s_cselect_b32 s16, s6, 0x10000
	v_add_co_ci_u32_e64 v22, null, 0, 0, s5
	s_lshl_b32 s5, s2, 5
	s_lshl_b32 s3, s2, 1
	v_add_co_u32 v1, s5, s5, v17
	s_mul_i32 s4, s2, 3
	v_add_co_u32 v27, s3, s3, v0
	v_add_co_u32 v18, s4, s4, v0
	s_delay_alu instid0(VALU_DEP_1)
	v_add_co_ci_u32_e64 v23, null, 0, 0, s4
	v_add_co_ci_u32_e64 v24, null, 0, 0, s5
	v_lshlrev_b32_e32 v25, 4, v21
	v_or_b32_e32 v26, 8, v1
	v_or_b32_e32 v19, 8, v19
	v_add_co_ci_u32_e64 v28, null, 0, 0, s3
	s_lshl_b32 s22, s2, 2
	s_lshl_b32 s23, s2, 6
	s_branch .LBB103_4
.LBB103_3:                              ;   in Loop: Header=BB103_4 Depth=1
	s_or_b32 exec_lo, exec_lo, s2
	s_add_u32 s18, s18, s22
	s_addc_u32 s19, s19, 0
	s_delay_alu instid0(SALU_CYCLE_1) | instskip(SKIP_1) | instid1(VALU_DEP_1)
	v_cmp_lt_i64_e64 s2, s[18:19], s[6:7]
	v_cmp_gt_u64_e64 s3, 0x10000, s[18:19]
	s_and_b32 s2, s2, s3
	s_add_u32 s20, s20, s23
	s_addc_u32 s21, s21, 0
	s_and_b32 vcc_lo, exec_lo, s2
	s_cbranch_vccz .LBB103_20
.LBB103_4:                              ; =>This Inner Loop Header: Depth=1
	s_waitcnt vmcnt(0)
	v_add_co_u32 v1, s2, v0, s18
	s_delay_alu instid0(VALU_DEP_1) | instskip(SKIP_2) | instid1(VALU_DEP_3)
	v_add_co_ci_u32_e64 v2, null, 0, s19, s2
	v_mov_b32_e32 v3, 0
	v_mov_b32_e32 v4, 0
	v_cmp_gt_u64_e32 vcc_lo, s[16:17], v[1:2]
	s_delay_alu instid0(VALU_DEP_2)
	v_dual_mov_b32 v12, v4 :: v_dual_mov_b32 v11, v3
	v_dual_mov_b32 v10, v4 :: v_dual_mov_b32 v9, v3
	s_and_saveexec_b32 s2, vcc_lo
	s_cbranch_execz .LBB103_6
; %bb.5:                                ;   in Loop: Header=BB103_4 Depth=1
	v_add_co_u32 v1, s3, s20, v17
	s_delay_alu instid0(VALU_DEP_1)
	v_add_co_ci_u32_e64 v2, null, s21, 0, s3
	global_load_b128 v[9:12], v[1:2], off
.LBB103_6:                              ;   in Loop: Header=BB103_4 Depth=1
	s_or_b32 exec_lo, exec_lo, s2
	v_add_co_u32 v1, s2, v21, s18
	s_delay_alu instid0(VALU_DEP_1) | instskip(NEXT) | instid1(VALU_DEP_1)
	v_add_co_ci_u32_e64 v2, s2, s19, v22, s2
	v_cmp_gt_u64_e64 s2, s[16:17], v[1:2]
	v_dual_mov_b32 v1, v3 :: v_dual_mov_b32 v2, v4
	s_delay_alu instid0(VALU_DEP_2)
	s_and_saveexec_b32 s3, s2
	s_cbranch_execz .LBB103_8
; %bb.7:                                ;   in Loop: Header=BB103_4 Depth=1
	v_add_co_u32 v1, s4, s20, v25
	s_delay_alu instid0(VALU_DEP_1)
	v_add_co_ci_u32_e64 v2, null, s21, 0, s4
	global_load_b128 v[1:4], v[1:2], off
.LBB103_8:                              ;   in Loop: Header=BB103_4 Depth=1
	s_or_b32 exec_lo, exec_lo, s3
	v_add_co_u32 v5, s3, v27, s18
	s_delay_alu instid0(VALU_DEP_1) | instskip(SKIP_2) | instid1(VALU_DEP_3)
	v_add_co_ci_u32_e64 v6, s3, s19, v28, s3
	v_mov_b32_e32 v7, 0
	v_mov_b32_e32 v8, 0
	v_cmp_gt_u64_e64 s3, s[16:17], v[5:6]
	s_delay_alu instid0(VALU_DEP_2) | instskip(SKIP_1) | instid1(VALU_DEP_3)
	v_dual_mov_b32 v16, v8 :: v_dual_mov_b32 v15, v7
	v_dual_mov_b32 v14, v8 :: v_dual_mov_b32 v13, v7
	s_and_saveexec_b32 s5, s3
	s_cbranch_execz .LBB103_10
; %bb.9:                                ;   in Loop: Header=BB103_4 Depth=1
	v_add_co_u32 v5, s4, s20, v26
	s_delay_alu instid0(VALU_DEP_1)
	v_add_co_ci_u32_e64 v6, s4, s21, v24, s4
	global_load_b128 v[13:16], v[5:6], off offset:-8
.LBB103_10:                             ;   in Loop: Header=BB103_4 Depth=1
	s_or_b32 exec_lo, exec_lo, s5
	v_add_co_u32 v5, s4, v18, s18
	s_delay_alu instid0(VALU_DEP_1) | instskip(NEXT) | instid1(VALU_DEP_1)
	v_add_co_ci_u32_e64 v6, s4, s19, v23, s4
	v_cmp_gt_u64_e64 s4, s[16:17], v[5:6]
	v_dual_mov_b32 v5, v7 :: v_dual_mov_b32 v6, v8
	s_delay_alu instid0(VALU_DEP_2)
	s_and_saveexec_b32 s24, s4
	s_cbranch_execnz .LBB103_15
; %bb.11:                               ;   in Loop: Header=BB103_4 Depth=1
	s_or_b32 exec_lo, exec_lo, s24
	s_and_saveexec_b32 s5, vcc_lo
	s_cbranch_execnz .LBB103_16
.LBB103_12:                             ;   in Loop: Header=BB103_4 Depth=1
	s_or_b32 exec_lo, exec_lo, s5
	s_and_saveexec_b32 s5, s2
	s_cbranch_execnz .LBB103_17
.LBB103_13:                             ;   in Loop: Header=BB103_4 Depth=1
	s_or_b32 exec_lo, exec_lo, s5
	s_and_saveexec_b32 s2, s3
	s_cbranch_execnz .LBB103_18
.LBB103_14:                             ;   in Loop: Header=BB103_4 Depth=1
	s_or_b32 exec_lo, exec_lo, s2
	s_and_saveexec_b32 s2, s4
	s_cbranch_execz .LBB103_3
	s_branch .LBB103_19
.LBB103_15:                             ;   in Loop: Header=BB103_4 Depth=1
	v_add_co_u32 v5, s5, s20, v19
	s_delay_alu instid0(VALU_DEP_1)
	v_add_co_ci_u32_e64 v6, s5, s21, v20, s5
	global_load_b128 v[5:8], v[5:6], off offset:-8
	s_or_b32 exec_lo, exec_lo, s24
	s_and_saveexec_b32 s5, vcc_lo
	s_cbranch_execz .LBB103_12
.LBB103_16:                             ;   in Loop: Header=BB103_4 Depth=1
	s_waitcnt vmcnt(0)
	v_add_f64 v[11:12], v[11:12], -s[10:11]
	v_add_f64 v[9:10], v[9:10], -s[8:9]
	v_add_co_u32 v29, s24, s20, v17
	s_delay_alu instid0(VALU_DEP_1)
	v_add_co_ci_u32_e64 v30, null, s21, 0, s24
	global_store_b128 v[29:30], v[9:12], off
	s_or_b32 exec_lo, exec_lo, s5
	s_and_saveexec_b32 s5, s2
	s_cbranch_execz .LBB103_13
.LBB103_17:                             ;   in Loop: Header=BB103_4 Depth=1
	s_waitcnt vmcnt(0)
	v_add_f64 v[1:2], v[1:2], -s[8:9]
	v_add_f64 v[3:4], v[3:4], -s[10:11]
	v_add_co_u32 v9, s2, s20, v25
	s_delay_alu instid0(VALU_DEP_1)
	v_add_co_ci_u32_e64 v10, null, s21, 0, s2
	global_store_b128 v[9:10], v[1:4], off
	s_or_b32 exec_lo, exec_lo, s5
	s_and_saveexec_b32 s2, s3
	s_cbranch_execz .LBB103_14
.LBB103_18:                             ;   in Loop: Header=BB103_4 Depth=1
	s_waitcnt vmcnt(0)
	v_add_f64 v[1:2], v[13:14], -s[8:9]
	v_add_f64 v[3:4], v[15:16], -s[10:11]
	v_add_co_u32 v9, vcc_lo, s20, v26
	v_add_co_ci_u32_e32 v10, vcc_lo, s21, v24, vcc_lo
	global_store_b128 v[9:10], v[1:4], off offset:-8
	s_or_b32 exec_lo, exec_lo, s2
	s_and_saveexec_b32 s2, s4
	s_cbranch_execz .LBB103_3
.LBB103_19:                             ;   in Loop: Header=BB103_4 Depth=1
	s_waitcnt vmcnt(0)
	v_add_f64 v[1:2], v[5:6], -s[8:9]
	v_add_f64 v[3:4], v[7:8], -s[10:11]
	v_add_co_u32 v5, vcc_lo, s20, v19
	v_add_co_ci_u32_e32 v6, vcc_lo, s21, v20, vcc_lo
	global_store_b128 v[5:6], v[1:4], off offset:-8
	s_branch .LBB103_3
.LBB103_20:
	s_cbranch_execz .LBB103_22
	s_branch .LBB103_25
.LBB103_21:
.LBB103_22:
	s_waitcnt vmcnt(0)
	v_dual_mov_b32 v2, 0 :: v_dual_lshlrev_b32 v1, 2, v0
	s_mov_b32 s2, 0
	s_mov_b32 s3, exec_lo
	s_delay_alu instid0(VALU_DEP_1)
	v_cmpx_gt_i64_e64 s[6:7], v[1:2]
	s_cbranch_execz .LBB103_25
; %bb.23:
	s_load_b32 s0, s[0:1], 0xf54
	v_lshlrev_b32_e32 v3, 6, v0
	s_waitcnt lgkmcnt(0)
	s_and_b32 s0, s0, 0xffff
	s_delay_alu instid0(SALU_CYCLE_1)
	s_lshl_b32 s3, s0, 2
	s_add_u32 s1, s12, s14
	s_addc_u32 s4, s13, s15
	v_add_co_u32 v3, s1, s1, v3
	v_add_lshl_u32 v1, v0, s0, 2
	v_add_co_ci_u32_e64 v4, null, s4, 0, s1
	s_lshl_b32 s4, s0, 6
	s_set_inst_prefetch_distance 0x1
	.p2align	6
.LBB103_24:                             ; =>This Inner Loop Header: Depth=1
	s_clause 0x3
	global_load_b128 v[5:8], v[3:4], off
	global_load_b128 v[9:12], v[3:4], off offset:16
	global_load_b128 v[13:16], v[3:4], off offset:32
	;; [unrolled: 1-line block ×3, first 2 shown]
	v_cmp_le_i64_e32 vcc_lo, s[6:7], v[1:2]
	v_cmp_lt_u64_e64 s0, 0xffff, v[1:2]
	v_add_co_u32 v1, s1, v1, s3
	s_delay_alu instid0(VALU_DEP_1) | instskip(NEXT) | instid1(VALU_DEP_3)
	v_add_co_ci_u32_e64 v2, s1, 0, v2, s1
	s_or_b32 s0, vcc_lo, s0
	s_delay_alu instid0(SALU_CYCLE_1) | instskip(NEXT) | instid1(SALU_CYCLE_1)
	s_and_b32 s0, exec_lo, s0
	s_or_b32 s2, s0, s2
	s_waitcnt vmcnt(3)
	v_add_f64 v[5:6], v[5:6], -s[8:9]
	v_add_f64 v[7:8], v[7:8], -s[10:11]
	s_waitcnt vmcnt(2)
	v_add_f64 v[9:10], v[9:10], -s[8:9]
	v_add_f64 v[11:12], v[11:12], -s[10:11]
	;; [unrolled: 3-line block ×4, first 2 shown]
	s_clause 0x3
	global_store_b128 v[3:4], v[5:8], off
	global_store_b128 v[3:4], v[9:12], off offset:16
	global_store_b128 v[3:4], v[13:16], off offset:32
	;; [unrolled: 1-line block ×3, first 2 shown]
	v_add_co_u32 v3, vcc_lo, v3, s4
	v_add_co_ci_u32_e32 v4, vcc_lo, 0, v4, vcc_lo
	s_and_not1_b32 exec_lo, exec_lo, s2
	s_cbranch_execnz .LBB103_24
.LBB103_25:
	s_set_inst_prefetch_distance 0x2
	s_nop 0
	s_sendmsg sendmsg(MSG_DEALLOC_VGPRS)
	s_endpgm
	.section	.rodata,"a",@progbits
	.p2align	6, 0x0
	.amdhsa_kernel _ZN2at6native12_GLOBAL__N_125multi_tensor_apply_kernelINS1_28TensorListScalarListMetadataIN3c107complexIdEELi1EEENS1_25BinaryOpScalarListFunctorIS6_Li1ELi1ELi0EEEJSt5minusIS6_EEEEvT_T0_DpT1_
		.amdhsa_group_segment_fixed_size 0
		.amdhsa_private_segment_fixed_size 0
		.amdhsa_kernarg_size 4168
		.amdhsa_user_sgpr_count 15
		.amdhsa_user_sgpr_dispatch_ptr 0
		.amdhsa_user_sgpr_queue_ptr 0
		.amdhsa_user_sgpr_kernarg_segment_ptr 1
		.amdhsa_user_sgpr_dispatch_id 0
		.amdhsa_user_sgpr_private_segment_size 0
		.amdhsa_wavefront_size32 1
		.amdhsa_uses_dynamic_stack 0
		.amdhsa_enable_private_segment 0
		.amdhsa_system_sgpr_workgroup_id_x 1
		.amdhsa_system_sgpr_workgroup_id_y 0
		.amdhsa_system_sgpr_workgroup_id_z 0
		.amdhsa_system_sgpr_workgroup_info 0
		.amdhsa_system_vgpr_workitem_id 0
		.amdhsa_next_free_vgpr 31
		.amdhsa_next_free_sgpr 25
		.amdhsa_reserve_vcc 1
		.amdhsa_float_round_mode_32 0
		.amdhsa_float_round_mode_16_64 0
		.amdhsa_float_denorm_mode_32 3
		.amdhsa_float_denorm_mode_16_64 3
		.amdhsa_dx10_clamp 1
		.amdhsa_ieee_mode 1
		.amdhsa_fp16_overflow 0
		.amdhsa_workgroup_processor_mode 1
		.amdhsa_memory_ordered 1
		.amdhsa_forward_progress 0
		.amdhsa_shared_vgpr_count 0
		.amdhsa_exception_fp_ieee_invalid_op 0
		.amdhsa_exception_fp_denorm_src 0
		.amdhsa_exception_fp_ieee_div_zero 0
		.amdhsa_exception_fp_ieee_overflow 0
		.amdhsa_exception_fp_ieee_underflow 0
		.amdhsa_exception_fp_ieee_inexact 0
		.amdhsa_exception_int_div_zero 0
	.end_amdhsa_kernel
	.section	.text._ZN2at6native12_GLOBAL__N_125multi_tensor_apply_kernelINS1_28TensorListScalarListMetadataIN3c107complexIdEELi1EEENS1_25BinaryOpScalarListFunctorIS6_Li1ELi1ELi0EEEJSt5minusIS6_EEEEvT_T0_DpT1_,"axG",@progbits,_ZN2at6native12_GLOBAL__N_125multi_tensor_apply_kernelINS1_28TensorListScalarListMetadataIN3c107complexIdEELi1EEENS1_25BinaryOpScalarListFunctorIS6_Li1ELi1ELi0EEEJSt5minusIS6_EEEEvT_T0_DpT1_,comdat
.Lfunc_end103:
	.size	_ZN2at6native12_GLOBAL__N_125multi_tensor_apply_kernelINS1_28TensorListScalarListMetadataIN3c107complexIdEELi1EEENS1_25BinaryOpScalarListFunctorIS6_Li1ELi1ELi0EEEJSt5minusIS6_EEEEvT_T0_DpT1_, .Lfunc_end103-_ZN2at6native12_GLOBAL__N_125multi_tensor_apply_kernelINS1_28TensorListScalarListMetadataIN3c107complexIdEELi1EEENS1_25BinaryOpScalarListFunctorIS6_Li1ELi1ELi0EEEJSt5minusIS6_EEEEvT_T0_DpT1_
                                        ; -- End function
	.section	.AMDGPU.csdata,"",@progbits
; Kernel info:
; codeLenInByte = 1396
; NumSgprs: 27
; NumVgprs: 31
; ScratchSize: 0
; MemoryBound: 1
; FloatMode: 240
; IeeeMode: 1
; LDSByteSize: 0 bytes/workgroup (compile time only)
; SGPRBlocks: 3
; VGPRBlocks: 3
; NumSGPRsForWavesPerEU: 27
; NumVGPRsForWavesPerEU: 31
; Occupancy: 16
; WaveLimiterHint : 0
; COMPUTE_PGM_RSRC2:SCRATCH_EN: 0
; COMPUTE_PGM_RSRC2:USER_SGPR: 15
; COMPUTE_PGM_RSRC2:TRAP_HANDLER: 0
; COMPUTE_PGM_RSRC2:TGID_X_EN: 1
; COMPUTE_PGM_RSRC2:TGID_Y_EN: 0
; COMPUTE_PGM_RSRC2:TGID_Z_EN: 0
; COMPUTE_PGM_RSRC2:TIDIG_COMP_CNT: 0
	.section	.text._ZN2at6native12_GLOBAL__N_125multi_tensor_apply_kernelINS1_28TensorListScalarListMetadataIN3c107complexIfEELi1EEENS1_25BinaryOpScalarListFunctorIS6_Li1ELi1ELi0EEEJSt5minusIS6_EEEEvT_T0_DpT1_,"axG",@progbits,_ZN2at6native12_GLOBAL__N_125multi_tensor_apply_kernelINS1_28TensorListScalarListMetadataIN3c107complexIfEELi1EEENS1_25BinaryOpScalarListFunctorIS6_Li1ELi1ELi0EEEJSt5minusIS6_EEEEvT_T0_DpT1_,comdat
	.globl	_ZN2at6native12_GLOBAL__N_125multi_tensor_apply_kernelINS1_28TensorListScalarListMetadataIN3c107complexIfEELi1EEENS1_25BinaryOpScalarListFunctorIS6_Li1ELi1ELi0EEEJSt5minusIS6_EEEEvT_T0_DpT1_ ; -- Begin function _ZN2at6native12_GLOBAL__N_125multi_tensor_apply_kernelINS1_28TensorListScalarListMetadataIN3c107complexIfEELi1EEENS1_25BinaryOpScalarListFunctorIS6_Li1ELi1ELi0EEEJSt5minusIS6_EEEEvT_T0_DpT1_
	.p2align	8
	.type	_ZN2at6native12_GLOBAL__N_125multi_tensor_apply_kernelINS1_28TensorListScalarListMetadataIN3c107complexIfEELi1EEENS1_25BinaryOpScalarListFunctorIS6_Li1ELi1ELi0EEEJSt5minusIS6_EEEEvT_T0_DpT1_,@function
_ZN2at6native12_GLOBAL__N_125multi_tensor_apply_kernelINS1_28TensorListScalarListMetadataIN3c107complexIfEELi1EEENS1_25BinaryOpScalarListFunctorIS6_Li1ELi1ELi0EEEJSt5minusIS6_EEEEvT_T0_DpT1_: ; @_ZN2at6native12_GLOBAL__N_125multi_tensor_apply_kernelINS1_28TensorListScalarListMetadataIN3c107complexIfEELi1EEENS1_25BinaryOpScalarListFunctorIS6_Li1ELi1ELi0EEEJSt5minusIS6_EEEEvT_T0_DpT1_
; %bb.0:
	v_mov_b32_e32 v1, s15
	s_load_b64 s[0:1], s[0:1], 0x4
	s_mul_i32 s4, s15, 3
	s_mul_hi_u32 s5, s15, 3
	v_and_b32_e32 v15, 0x3ff, v0
	global_load_u8 v1, v1, s[2:3] offset:2304
	v_bfe_u32 v2, v0, 10, 10
	v_bfe_u32 v0, v0, 20, 10
	s_mov_b32 s17, 0
	s_waitcnt lgkmcnt(0)
	s_lshr_b32 s0, s0, 16
	s_add_u32 s6, s2, s15
	s_addc_u32 s7, s3, 0
	s_add_u32 s4, s6, s4
	s_addc_u32 s5, s7, s5
	s_mul_i32 s0, s0, s1
	s_load_b32 s8, s[4:5], 0xa40
	s_waitcnt vmcnt(0)
	v_readfirstlane_b32 s9, v1
	v_mul_lo_u32 v1, s0, v15
	s_delay_alu instid0(VALU_DEP_2)
	s_lshl_b32 s4, s9, 3
	s_waitcnt lgkmcnt(0)
	s_ashr_i32 s9, s8, 31
	s_clause 0x2
	s_load_b64 s[6:7], s[2:3], s4 offset:0x600
	s_load_b64 s[10:11], s[2:3], s4 offset:0x0
	;; [unrolled: 1-line block ×3, first 2 shown]
	s_lshl_b64 s[12:13], s[8:9], 19
	v_mad_u32_u24 v1, v2, s1, v1
	s_delay_alu instid0(VALU_DEP_1)
	v_add_lshl_u32 v14, v1, v0, 3
	s_waitcnt lgkmcnt(0)
	s_add_u32 s5, s10, s12
	s_addc_u32 s18, s11, s13
	s_lshl_b64 s[0:1], s[8:9], 16
	s_and_b32 s16, s5, 31
	s_sub_u32 s8, s14, s0
	s_subb_u32 s9, s15, s1
	s_and_b32 s0, s14, 3
	s_mov_b32 s1, s17
	s_delay_alu instid0(SALU_CYCLE_1) | instskip(NEXT) | instid1(SALU_CYCLE_1)
	s_or_b64 s[0:1], s[16:17], s[0:1]
	s_cmp_eq_u64 s[0:1], 0
	s_cbranch_scc1 .LBB104_19
; %bb.1:
	v_cmp_lt_i64_e64 s0, s[8:9], 1
	s_delay_alu instid0(VALU_DEP_1)
	s_and_b32 vcc_lo, exec_lo, s0
	s_cbranch_vccnz .LBB104_18
; %bb.2:
	s_load_b32 s4, s[2:3], 0xf54
	v_cmp_gt_u64_e64 s14, 0x10000, s[8:9]
	s_mov_b64 s[0:1], src_shared_base
	v_dual_mov_b32 v1, 0 :: v_dual_lshlrev_b32 v0, 3, v15
	s_delay_alu instid0(VALU_DEP_1)
	v_dual_mov_b32 v16, s1 :: v_dual_mov_b32 v5, v1
	s_waitcnt lgkmcnt(0)
	s_and_b32 s0, s4, 0xffff
	s_and_b32 s1, s14, exec_lo
	v_add_co_u32 v17, s16, v15, s0
	s_cselect_b32 s15, s9, 0
	s_cselect_b32 s14, s8, 0x10000
	v_add_co_ci_u32_e64 v18, null, 0, 0, s16
	s_lshl_b32 s16, s0, 4
	s_lshl_b32 s1, s0, 1
	v_add_co_u32 v4, s16, s16, v0
	s_mul_i32 s4, s0, 3
	v_mad_u64_u32 v[2:3], null, s0, 24, v[0:1]
	v_add_co_u32 v19, s4, s4, v15
	v_add_co_u32 v23, s1, s1, v15
	v_add_co_ci_u32_e64 v20, null, 0, 0, s4
	v_add_co_ci_u32_e64 v21, null, 0, 0, s16
	v_or_b32_e32 v22, 4, v4
	v_add_co_ci_u32_e64 v24, null, 0, 0, s1
	v_lshl_or_b32 v25, v17, 3, 4
	v_mov_b32_e32 v4, v1
	s_lshl_b32 s19, s0, 2
	s_lshl_b32 s20, s0, 5
	s_mov_b64 s[16:17], 0
	s_branch .LBB104_4
.LBB104_3:                              ;   in Loop: Header=BB104_4 Depth=1
	s_or_b32 exec_lo, exec_lo, s0
	s_add_u32 s16, s16, s19
	s_addc_u32 s17, s17, 0
	s_delay_alu instid0(SALU_CYCLE_1) | instskip(SKIP_1) | instid1(VALU_DEP_1)
	v_cmp_lt_i64_e64 s0, s[16:17], s[8:9]
	v_cmp_gt_u64_e64 s1, 0x10000, s[16:17]
	s_and_b32 s0, s0, s1
	s_add_u32 s5, s5, s20
	s_addc_u32 s18, s18, 0
	s_and_b32 vcc_lo, exec_lo, s0
	s_cbranch_vccz .LBB104_18
.LBB104_4:                              ; =>This Inner Loop Header: Depth=1
	v_add_co_u32 v6, s0, v15, s16
	s_delay_alu instid0(VALU_DEP_1) | instskip(SKIP_1) | instid1(VALU_DEP_2)
	v_add_co_ci_u32_e64 v7, null, 0, s17, s0
	v_dual_mov_b32 v9, 0 :: v_dual_mov_b32 v8, 0
	v_cmp_gt_u64_e32 vcc_lo, s[14:15], v[6:7]
	s_and_saveexec_b32 s0, vcc_lo
	s_cbranch_execz .LBB104_6
; %bb.5:                                ;   in Loop: Header=BB104_4 Depth=1
	v_add_co_u32 v6, s1, s5, v0
	s_delay_alu instid0(VALU_DEP_1)
	v_add_co_ci_u32_e64 v7, null, s18, 0, s1
	global_load_b64 v[8:9], v[6:7], off
.LBB104_6:                              ;   in Loop: Header=BB104_4 Depth=1
	s_or_b32 exec_lo, exec_lo, s0
	v_add_co_u32 v10, s0, v17, s16
	s_delay_alu instid0(VALU_DEP_1) | instskip(SKIP_1) | instid1(VALU_DEP_2)
	v_add_co_ci_u32_e64 v11, s0, s17, v18, s0
	v_mov_b32_e32 v7, 0
	v_cmp_gt_u64_e64 s0, s[14:15], v[10:11]
	v_dual_mov_b32 v10, 0 :: v_dual_mov_b32 v11, 0
	s_delay_alu instid0(VALU_DEP_2)
	s_and_saveexec_b32 s1, s0
	s_cbranch_execz .LBB104_8
; %bb.7:                                ;   in Loop: Header=BB104_4 Depth=1
	v_add_co_u32 v10, s4, s5, v25
	s_delay_alu instid0(VALU_DEP_1)
	v_add_co_ci_u32_e64 v11, null, s18, 0, s4
	global_load_b64 v[10:11], v[10:11], off offset:-4
.LBB104_8:                              ;   in Loop: Header=BB104_4 Depth=1
	s_or_b32 exec_lo, exec_lo, s1
	v_add_co_u32 v12, s1, v23, s16
	s_delay_alu instid0(VALU_DEP_1) | instskip(SKIP_1) | instid1(VALU_DEP_2)
	v_add_co_ci_u32_e64 v13, s1, s17, v24, s1
	v_mov_b32_e32 v6, 0
	v_cmp_gt_u64_e64 s1, s[14:15], v[12:13]
	s_delay_alu instid0(VALU_DEP_1)
	s_and_saveexec_b32 s21, s1
	s_cbranch_execz .LBB104_10
; %bb.9:                                ;   in Loop: Header=BB104_4 Depth=1
	v_add_co_u32 v6, s4, s5, v22
	s_delay_alu instid0(VALU_DEP_1)
	v_add_co_ci_u32_e64 v7, s4, s18, v21, s4
	global_load_b64 v[6:7], v[6:7], off offset:-4
.LBB104_10:                             ;   in Loop: Header=BB104_4 Depth=1
	s_or_b32 exec_lo, exec_lo, s21
	v_add_co_u32 v26, s4, v19, s16
	s_delay_alu instid0(VALU_DEP_1) | instskip(SKIP_1) | instid1(VALU_DEP_1)
	v_add_co_ci_u32_e64 v27, s4, s17, v20, s4
	v_add_co_u32 v12, s4, s5, v2
	v_add_co_ci_u32_e64 v13, s4, s18, v3, s4
	s_delay_alu instid0(VALU_DEP_3)
	v_cmp_gt_u64_e64 s4, s[14:15], v[26:27]
	ds_store_b64 v14, v[4:5]
	v_cndmask_b32_e64 v27, v16, v13, s4
	v_cndmask_b32_e64 v26, v14, v12, s4
	flat_load_b64 v[26:27], v[26:27]
	s_waitcnt vmcnt(0) lgkmcnt(0)
	v_dual_subrev_f32 v26, s6, v26 :: v_dual_subrev_f32 v27, s7, v27
	ds_store_b64 v14, v[26:27]
	s_and_saveexec_b32 s21, vcc_lo
	s_cbranch_execnz .LBB104_14
; %bb.11:                               ;   in Loop: Header=BB104_4 Depth=1
	s_or_b32 exec_lo, exec_lo, s21
	s_and_saveexec_b32 s21, s0
	s_cbranch_execnz .LBB104_15
.LBB104_12:                             ;   in Loop: Header=BB104_4 Depth=1
	s_or_b32 exec_lo, exec_lo, s21
	s_and_saveexec_b32 s0, s1
	s_cbranch_execnz .LBB104_16
.LBB104_13:                             ;   in Loop: Header=BB104_4 Depth=1
	s_or_b32 exec_lo, exec_lo, s0
	s_and_saveexec_b32 s0, s4
	s_cbranch_execz .LBB104_3
	s_branch .LBB104_17
.LBB104_14:                             ;   in Loop: Header=BB104_4 Depth=1
	v_add_co_u32 v26, s22, s5, v0
	s_delay_alu instid0(VALU_DEP_1)
	v_add_co_ci_u32_e64 v27, null, s18, 0, s22
	v_dual_subrev_f32 v8, s6, v8 :: v_dual_subrev_f32 v9, s7, v9
	global_store_b64 v[26:27], v[8:9], off
	s_or_b32 exec_lo, exec_lo, s21
	s_and_saveexec_b32 s21, s0
	s_cbranch_execz .LBB104_12
.LBB104_15:                             ;   in Loop: Header=BB104_4 Depth=1
	v_dual_subrev_f32 v8, s6, v10 :: v_dual_subrev_f32 v9, s7, v11
	v_add_co_u32 v10, s0, s5, v25
	s_delay_alu instid0(VALU_DEP_1)
	v_add_co_ci_u32_e64 v11, null, s18, 0, s0
	global_store_b64 v[10:11], v[8:9], off offset:-4
	s_or_b32 exec_lo, exec_lo, s21
	s_and_saveexec_b32 s0, s1
	s_cbranch_execz .LBB104_13
.LBB104_16:                             ;   in Loop: Header=BB104_4 Depth=1
	v_add_co_u32 v8, vcc_lo, s5, v22
	v_dual_subrev_f32 v6, s6, v6 :: v_dual_subrev_f32 v7, s7, v7
	v_add_co_ci_u32_e32 v9, vcc_lo, s18, v21, vcc_lo
	global_store_b64 v[8:9], v[6:7], off offset:-4
	s_or_b32 exec_lo, exec_lo, s0
	s_and_saveexec_b32 s0, s4
	s_cbranch_execz .LBB104_3
.LBB104_17:                             ;   in Loop: Header=BB104_4 Depth=1
	ds_load_b64 v[6:7], v14
	s_waitcnt lgkmcnt(0)
	global_store_b64 v[12:13], v[6:7], off
	s_branch .LBB104_3
.LBB104_18:
	s_cbranch_execz .LBB104_20
	s_branch .LBB104_23
.LBB104_19:
.LBB104_20:
	v_dual_mov_b32 v1, 0 :: v_dual_lshlrev_b32 v0, 2, v15
	s_mov_b32 s4, 0
	s_mov_b32 s0, exec_lo
	s_delay_alu instid0(VALU_DEP_1)
	v_cmpx_gt_i64_e64 s[8:9], v[0:1]
	s_cbranch_execz .LBB104_23
; %bb.21:
	s_load_b32 s0, s[2:3], 0xf54
	v_lshlrev_b32_e32 v2, 5, v15
	s_waitcnt lgkmcnt(0)
	s_and_b32 s0, s0, 0xffff
	s_delay_alu instid0(SALU_CYCLE_1)
	s_lshl_b32 s2, s0, 2
	s_add_u32 s1, s10, s12
	s_addc_u32 s3, s11, s13
	v_add_co_u32 v2, s1, s1, v2
	v_add_lshl_u32 v0, v15, s0, 2
	v_add_co_ci_u32_e64 v3, null, s3, 0, s1
	s_lshl_b32 s3, s0, 5
	s_set_inst_prefetch_distance 0x1
	.p2align	6
.LBB104_22:                             ; =>This Inner Loop Header: Depth=1
	s_clause 0x1
	global_load_b128 v[4:7], v[2:3], off
	global_load_b128 v[8:11], v[2:3], off offset:16
	v_cmp_le_i64_e32 vcc_lo, s[8:9], v[0:1]
	v_cmp_lt_u64_e64 s0, 0xffff, v[0:1]
	v_add_co_u32 v0, s1, v0, s2
	s_delay_alu instid0(VALU_DEP_1) | instskip(NEXT) | instid1(VALU_DEP_3)
	v_add_co_ci_u32_e64 v1, s1, 0, v1, s1
	s_or_b32 s0, vcc_lo, s0
	s_delay_alu instid0(SALU_CYCLE_1) | instskip(NEXT) | instid1(SALU_CYCLE_1)
	s_and_b32 s0, exec_lo, s0
	s_or_b32 s4, s0, s4
	s_waitcnt vmcnt(1)
	v_dual_subrev_f32 v4, s6, v4 :: v_dual_subrev_f32 v5, s7, v5
	v_dual_subrev_f32 v6, s6, v6 :: v_dual_subrev_f32 v7, s7, v7
	s_waitcnt vmcnt(0)
	v_dual_subrev_f32 v8, s6, v8 :: v_dual_subrev_f32 v9, s7, v9
	v_dual_subrev_f32 v10, s6, v10 :: v_dual_subrev_f32 v11, s7, v11
	s_clause 0x1
	global_store_b128 v[2:3], v[4:7], off
	global_store_b128 v[2:3], v[8:11], off offset:16
	v_add_co_u32 v2, vcc_lo, v2, s3
	v_add_co_ci_u32_e32 v3, vcc_lo, 0, v3, vcc_lo
	ds_store_b64 v14, v[10:11]
	s_and_not1_b32 exec_lo, exec_lo, s4
	s_cbranch_execnz .LBB104_22
.LBB104_23:
	s_set_inst_prefetch_distance 0x2
	s_nop 0
	s_sendmsg sendmsg(MSG_DEALLOC_VGPRS)
	s_endpgm
	.section	.rodata,"a",@progbits
	.p2align	6, 0x0
	.amdhsa_kernel _ZN2at6native12_GLOBAL__N_125multi_tensor_apply_kernelINS1_28TensorListScalarListMetadataIN3c107complexIfEELi1EEENS1_25BinaryOpScalarListFunctorIS6_Li1ELi1ELi0EEEJSt5minusIS6_EEEEvT_T0_DpT1_
		.amdhsa_group_segment_fixed_size 4096
		.amdhsa_private_segment_fixed_size 0
		.amdhsa_kernarg_size 4168
		.amdhsa_user_sgpr_count 15
		.amdhsa_user_sgpr_dispatch_ptr 1
		.amdhsa_user_sgpr_queue_ptr 0
		.amdhsa_user_sgpr_kernarg_segment_ptr 1
		.amdhsa_user_sgpr_dispatch_id 0
		.amdhsa_user_sgpr_private_segment_size 0
		.amdhsa_wavefront_size32 1
		.amdhsa_uses_dynamic_stack 0
		.amdhsa_enable_private_segment 0
		.amdhsa_system_sgpr_workgroup_id_x 1
		.amdhsa_system_sgpr_workgroup_id_y 0
		.amdhsa_system_sgpr_workgroup_id_z 0
		.amdhsa_system_sgpr_workgroup_info 0
		.amdhsa_system_vgpr_workitem_id 2
		.amdhsa_next_free_vgpr 28
		.amdhsa_next_free_sgpr 23
		.amdhsa_reserve_vcc 1
		.amdhsa_float_round_mode_32 0
		.amdhsa_float_round_mode_16_64 0
		.amdhsa_float_denorm_mode_32 3
		.amdhsa_float_denorm_mode_16_64 3
		.amdhsa_dx10_clamp 1
		.amdhsa_ieee_mode 1
		.amdhsa_fp16_overflow 0
		.amdhsa_workgroup_processor_mode 1
		.amdhsa_memory_ordered 1
		.amdhsa_forward_progress 0
		.amdhsa_shared_vgpr_count 0
		.amdhsa_exception_fp_ieee_invalid_op 0
		.amdhsa_exception_fp_denorm_src 0
		.amdhsa_exception_fp_ieee_div_zero 0
		.amdhsa_exception_fp_ieee_overflow 0
		.amdhsa_exception_fp_ieee_underflow 0
		.amdhsa_exception_fp_ieee_inexact 0
		.amdhsa_exception_int_div_zero 0
	.end_amdhsa_kernel
	.section	.text._ZN2at6native12_GLOBAL__N_125multi_tensor_apply_kernelINS1_28TensorListScalarListMetadataIN3c107complexIfEELi1EEENS1_25BinaryOpScalarListFunctorIS6_Li1ELi1ELi0EEEJSt5minusIS6_EEEEvT_T0_DpT1_,"axG",@progbits,_ZN2at6native12_GLOBAL__N_125multi_tensor_apply_kernelINS1_28TensorListScalarListMetadataIN3c107complexIfEELi1EEENS1_25BinaryOpScalarListFunctorIS6_Li1ELi1ELi0EEEJSt5minusIS6_EEEEvT_T0_DpT1_,comdat
.Lfunc_end104:
	.size	_ZN2at6native12_GLOBAL__N_125multi_tensor_apply_kernelINS1_28TensorListScalarListMetadataIN3c107complexIfEELi1EEENS1_25BinaryOpScalarListFunctorIS6_Li1ELi1ELi0EEEJSt5minusIS6_EEEEvT_T0_DpT1_, .Lfunc_end104-_ZN2at6native12_GLOBAL__N_125multi_tensor_apply_kernelINS1_28TensorListScalarListMetadataIN3c107complexIfEELi1EEENS1_25BinaryOpScalarListFunctorIS6_Li1ELi1ELi0EEEJSt5minusIS6_EEEEvT_T0_DpT1_
                                        ; -- End function
	.section	.AMDGPU.csdata,"",@progbits
; Kernel info:
; codeLenInByte = 1320
; NumSgprs: 25
; NumVgprs: 28
; ScratchSize: 0
; MemoryBound: 0
; FloatMode: 240
; IeeeMode: 1
; LDSByteSize: 4096 bytes/workgroup (compile time only)
; SGPRBlocks: 3
; VGPRBlocks: 3
; NumSGPRsForWavesPerEU: 25
; NumVGPRsForWavesPerEU: 28
; Occupancy: 16
; WaveLimiterHint : 1
; COMPUTE_PGM_RSRC2:SCRATCH_EN: 0
; COMPUTE_PGM_RSRC2:USER_SGPR: 15
; COMPUTE_PGM_RSRC2:TRAP_HANDLER: 0
; COMPUTE_PGM_RSRC2:TGID_X_EN: 1
; COMPUTE_PGM_RSRC2:TGID_Y_EN: 0
; COMPUTE_PGM_RSRC2:TGID_Z_EN: 0
; COMPUTE_PGM_RSRC2:TIDIG_COMP_CNT: 2
	.section	.text._ZN2at6native12_GLOBAL__N_125multi_tensor_apply_kernelINS1_28TensorListScalarListMetadataIbLi1EEENS1_25BinaryOpScalarListFunctorIbLi1ELi1ELi0EEEJSt5minusIbEEEEvT_T0_DpT1_,"axG",@progbits,_ZN2at6native12_GLOBAL__N_125multi_tensor_apply_kernelINS1_28TensorListScalarListMetadataIbLi1EEENS1_25BinaryOpScalarListFunctorIbLi1ELi1ELi0EEEJSt5minusIbEEEEvT_T0_DpT1_,comdat
	.globl	_ZN2at6native12_GLOBAL__N_125multi_tensor_apply_kernelINS1_28TensorListScalarListMetadataIbLi1EEENS1_25BinaryOpScalarListFunctorIbLi1ELi1ELi0EEEJSt5minusIbEEEEvT_T0_DpT1_ ; -- Begin function _ZN2at6native12_GLOBAL__N_125multi_tensor_apply_kernelINS1_28TensorListScalarListMetadataIbLi1EEENS1_25BinaryOpScalarListFunctorIbLi1ELi1ELi0EEEJSt5minusIbEEEEvT_T0_DpT1_
	.p2align	8
	.type	_ZN2at6native12_GLOBAL__N_125multi_tensor_apply_kernelINS1_28TensorListScalarListMetadataIbLi1EEENS1_25BinaryOpScalarListFunctorIbLi1ELi1ELi0EEEJSt5minusIbEEEEvT_T0_DpT1_,@function
_ZN2at6native12_GLOBAL__N_125multi_tensor_apply_kernelINS1_28TensorListScalarListMetadataIbLi1EEENS1_25BinaryOpScalarListFunctorIbLi1ELi1ELi0EEEJSt5minusIbEEEEvT_T0_DpT1_: ; @_ZN2at6native12_GLOBAL__N_125multi_tensor_apply_kernelINS1_28TensorListScalarListMetadataIbLi1EEENS1_25BinaryOpScalarListFunctorIbLi1ELi1ELi0EEEJSt5minusIbEEEEvT_T0_DpT1_
; %bb.0:
	v_mov_b32_e32 v1, s15
	s_mul_i32 s4, s15, 3
	s_mul_hi_u32 s5, s15, 3
	global_load_u8 v3, v1, s[0:1] offset:1632
	s_waitcnt vmcnt(0)
	v_add_co_u32 v1, s2, s0, v3
	s_delay_alu instid0(VALU_DEP_1)
	v_add_co_ci_u32_e64 v2, null, s1, 0, s2
	s_add_u32 s2, s0, s15
	s_addc_u32 s3, s1, 0
	s_add_u32 s2, s2, s4
	global_load_u8 v2, v[1:2], off offset:1536
	v_readfirstlane_b32 s6, v3
	s_addc_u32 s3, s3, s5
	s_load_b32 s4, s[2:3], 0x7a0
	s_delay_alu instid0(VALU_DEP_1)
	s_lshl_b32 s5, s6, 3
	s_clause 0x1
	s_load_b64 s[2:3], s[0:1], s5 offset:0x0
	s_load_b64 s[8:9], s[0:1], s5 offset:0x300
	s_waitcnt lgkmcnt(0)
	s_ashr_i32 s5, s4, 31
	s_delay_alu instid0(SALU_CYCLE_1) | instskip(NEXT) | instid1(SALU_CYCLE_1)
	s_lshl_b64 s[4:5], s[4:5], 16
	s_add_u32 s12, s2, s4
	s_addc_u32 s13, s3, s5
	s_sub_u32 s6, s8, s4
	s_subb_u32 s7, s9, s5
	s_or_b32 s8, s8, s12
	s_delay_alu instid0(SALU_CYCLE_1) | instskip(NEXT) | instid1(SALU_CYCLE_1)
	s_and_b32 s8, s8, 3
	s_cmp_eq_u32 s8, 0
	s_cbranch_scc1 .LBB105_21
; %bb.1:
	v_cmp_lt_i64_e64 s8, s[6:7], 1
	s_delay_alu instid0(VALU_DEP_1)
	s_and_b32 vcc_lo, exec_lo, s8
	s_cbranch_vccnz .LBB105_20
; %bb.2:
	s_load_b32 s8, s[0:1], 0xcb4
	v_add_co_u32 v12, s9, s4, v0
	s_delay_alu instid0(VALU_DEP_1) | instskip(SKIP_1) | instid1(VALU_DEP_3)
	v_add_co_ci_u32_e64 v13, null, s5, 0, s9
	v_cmp_gt_u64_e64 s9, 0x10000, s[6:7]
	v_add_co_u32 v1, vcc_lo, s2, v12
	s_delay_alu instid0(VALU_DEP_3)
	v_add_co_ci_u32_e32 v3, vcc_lo, s3, v13, vcc_lo
	s_waitcnt vmcnt(0)
	v_and_b32_e32 v16, 0xff, v2
	s_waitcnt lgkmcnt(0)
	s_and_b32 s10, s8, 0xffff
	s_and_b32 s8, s9, exec_lo
	s_mul_i32 s15, s10, 3
	s_cselect_b32 s9, s7, 0
	s_cselect_b32 s8, s6, 0x10000
	s_lshl_b32 s11, s10, 1
	s_lshl_b32 s14, s10, 2
	s_add_u32 s16, s4, s15
	v_add_co_u32 v4, s15, s15, v0
	s_delay_alu instid0(VALU_DEP_1)
	v_add_co_ci_u32_e64 v5, null, 0, 0, s15
	s_addc_u32 s15, s5, 0
	s_add_u32 s16, s2, s16
	s_addc_u32 s15, s3, s15
	s_add_u32 s4, s4, s11
	s_addc_u32 s5, s5, 0
	s_add_u32 s4, s2, s4
	s_addc_u32 s5, s3, s5
	v_add_co_u32 v8, s4, s4, v0
	s_add_u32 s2, s2, s10
	v_add_co_u32 v6, s16, s16, v0
	v_add_co_ci_u32_e64 v9, null, s5, 0, s4
	v_add_co_u32 v10, s4, s11, v0
	s_addc_u32 s3, s3, 0
	v_add_co_u32 v12, vcc_lo, s2, v12
	v_add_co_u32 v14, s2, v0, s10
	v_add_co_ci_u32_e64 v7, null, s15, 0, s16
	v_add_co_ci_u32_e64 v11, null, 0, 0, s4
	v_add_co_ci_u32_e32 v13, vcc_lo, s3, v13, vcc_lo
	v_add_co_ci_u32_e64 v15, null, 0, 0, s2
	s_mov_b64 s[10:11], 0
	s_branch .LBB105_4
.LBB105_3:                              ;   in Loop: Header=BB105_4 Depth=1
	s_or_b32 exec_lo, exec_lo, s2
	s_add_u32 s10, s10, s14
	s_addc_u32 s11, s11, 0
	s_delay_alu instid0(SALU_CYCLE_1) | instskip(SKIP_1) | instid1(VALU_DEP_1)
	v_cmp_lt_i64_e64 s2, s[10:11], s[6:7]
	v_cmp_gt_u64_e64 s3, 0x10000, s[10:11]
	s_and_b32 s2, s2, s3
	s_delay_alu instid0(SALU_CYCLE_1)
	s_and_b32 vcc_lo, exec_lo, s2
	s_cbranch_vccz .LBB105_20
.LBB105_4:                              ; =>This Inner Loop Header: Depth=1
	s_waitcnt vmcnt(0)
	v_add_co_u32 v17, s2, v0, s10
	s_delay_alu instid0(VALU_DEP_1) | instskip(NEXT) | instid1(VALU_DEP_1)
	v_add_co_ci_u32_e64 v18, null, 0, s11, s2
	v_cmp_gt_u64_e32 vcc_lo, s[8:9], v[17:18]
	v_mov_b32_e32 v18, 0
	s_and_saveexec_b32 s3, vcc_lo
	s_cbranch_execz .LBB105_6
; %bb.5:                                ;   in Loop: Header=BB105_4 Depth=1
	v_add_co_u32 v17, s2, v1, s10
	s_delay_alu instid0(VALU_DEP_1)
	v_add_co_ci_u32_e64 v18, s2, s11, v3, s2
	global_load_u8 v18, v[17:18], off
.LBB105_6:                              ;   in Loop: Header=BB105_4 Depth=1
	s_or_b32 exec_lo, exec_lo, s3
	v_add_co_u32 v19, s2, v14, s10
	s_delay_alu instid0(VALU_DEP_1) | instskip(NEXT) | instid1(VALU_DEP_1)
	v_add_co_ci_u32_e64 v20, s2, s11, v15, s2
	v_cmp_gt_u64_e64 s2, s[8:9], v[19:20]
	v_mov_b32_e32 v19, 0
	s_delay_alu instid0(VALU_DEP_2)
	s_and_saveexec_b32 s4, s2
	s_cbranch_execz .LBB105_8
; %bb.7:                                ;   in Loop: Header=BB105_4 Depth=1
	v_add_co_u32 v19, s3, v12, s10
	s_delay_alu instid0(VALU_DEP_1)
	v_add_co_ci_u32_e64 v20, s3, s11, v13, s3
	global_load_u8 v19, v[19:20], off
.LBB105_8:                              ;   in Loop: Header=BB105_4 Depth=1
	s_or_b32 exec_lo, exec_lo, s4
	v_add_co_u32 v20, s3, v10, s10
	s_delay_alu instid0(VALU_DEP_1) | instskip(SKIP_1) | instid1(VALU_DEP_2)
	v_add_co_ci_u32_e64 v21, s3, s11, v11, s3
	v_mov_b32_e32 v17, 0
	v_cmp_gt_u64_e64 s3, s[8:9], v[20:21]
	v_mov_b32_e32 v20, 0
	s_delay_alu instid0(VALU_DEP_2)
	s_and_saveexec_b32 s5, s3
	s_cbranch_execz .LBB105_10
; %bb.9:                                ;   in Loop: Header=BB105_4 Depth=1
	v_add_co_u32 v20, s4, v8, s10
	s_delay_alu instid0(VALU_DEP_1)
	v_add_co_ci_u32_e64 v21, s4, s11, v9, s4
	global_load_u8 v20, v[20:21], off
.LBB105_10:                             ;   in Loop: Header=BB105_4 Depth=1
	s_or_b32 exec_lo, exec_lo, s5
	v_add_co_u32 v21, s4, v4, s10
	s_delay_alu instid0(VALU_DEP_1) | instskip(NEXT) | instid1(VALU_DEP_1)
	v_add_co_ci_u32_e64 v22, s4, s11, v5, s4
	v_cmp_gt_u64_e64 s4, s[8:9], v[21:22]
	s_delay_alu instid0(VALU_DEP_1)
	s_and_saveexec_b32 s15, s4
	s_cbranch_execnz .LBB105_15
; %bb.11:                               ;   in Loop: Header=BB105_4 Depth=1
	s_or_b32 exec_lo, exec_lo, s15
	s_and_saveexec_b32 s5, vcc_lo
	s_cbranch_execnz .LBB105_16
.LBB105_12:                             ;   in Loop: Header=BB105_4 Depth=1
	s_or_b32 exec_lo, exec_lo, s5
	s_and_saveexec_b32 s5, s2
	s_cbranch_execnz .LBB105_17
.LBB105_13:                             ;   in Loop: Header=BB105_4 Depth=1
	s_or_b32 exec_lo, exec_lo, s5
	s_and_saveexec_b32 s2, s3
	s_cbranch_execnz .LBB105_18
.LBB105_14:                             ;   in Loop: Header=BB105_4 Depth=1
	s_or_b32 exec_lo, exec_lo, s2
	s_and_saveexec_b32 s2, s4
	s_cbranch_execz .LBB105_3
	s_branch .LBB105_19
.LBB105_15:                             ;   in Loop: Header=BB105_4 Depth=1
	v_add_co_u32 v21, s5, v6, s10
	s_delay_alu instid0(VALU_DEP_1)
	v_add_co_ci_u32_e64 v22, s5, s11, v7, s5
	global_load_u8 v17, v[21:22], off
	s_or_b32 exec_lo, exec_lo, s15
	s_and_saveexec_b32 s5, vcc_lo
	s_cbranch_execz .LBB105_12
.LBB105_16:                             ;   in Loop: Header=BB105_4 Depth=1
	s_waitcnt vmcnt(0)
	v_and_b32_e32 v18, 0xff, v18
	s_delay_alu instid0(VALU_DEP_1)
	v_cmp_ne_u16_e32 vcc_lo, v18, v16
	v_cndmask_b32_e64 v18, 0, 1, vcc_lo
	v_add_co_u32 v21, vcc_lo, v1, s10
	v_add_co_ci_u32_e32 v22, vcc_lo, s11, v3, vcc_lo
	global_store_b8 v[21:22], v18, off
	s_or_b32 exec_lo, exec_lo, s5
	s_and_saveexec_b32 s5, s2
	s_cbranch_execz .LBB105_13
.LBB105_17:                             ;   in Loop: Header=BB105_4 Depth=1
	s_waitcnt vmcnt(0)
	v_and_b32_e32 v18, 0xff, v19
	s_delay_alu instid0(VALU_DEP_1)
	v_cmp_ne_u16_e32 vcc_lo, v18, v16
	v_cndmask_b32_e64 v21, 0, 1, vcc_lo
	v_add_co_u32 v18, vcc_lo, v12, s10
	v_add_co_ci_u32_e32 v19, vcc_lo, s11, v13, vcc_lo
	global_store_b8 v[18:19], v21, off
	s_or_b32 exec_lo, exec_lo, s5
	s_and_saveexec_b32 s2, s3
	s_cbranch_execz .LBB105_14
.LBB105_18:                             ;   in Loop: Header=BB105_4 Depth=1
	s_waitcnt vmcnt(0)
	v_and_b32_e32 v18, 0xff, v20
	s_delay_alu instid0(VALU_DEP_1)
	v_cmp_ne_u16_e32 vcc_lo, v18, v16
	v_cndmask_b32_e64 v20, 0, 1, vcc_lo
	v_add_co_u32 v18, vcc_lo, v8, s10
	v_add_co_ci_u32_e32 v19, vcc_lo, s11, v9, vcc_lo
	global_store_b8 v[18:19], v20, off
	s_or_b32 exec_lo, exec_lo, s2
	s_and_saveexec_b32 s2, s4
	s_cbranch_execz .LBB105_3
.LBB105_19:                             ;   in Loop: Header=BB105_4 Depth=1
	s_waitcnt vmcnt(0)
	v_and_b32_e32 v17, 0xff, v17
	s_delay_alu instid0(VALU_DEP_1)
	v_cmp_ne_u16_e32 vcc_lo, v17, v16
	v_cndmask_b32_e64 v19, 0, 1, vcc_lo
	v_add_co_u32 v17, vcc_lo, v6, s10
	v_add_co_ci_u32_e32 v18, vcc_lo, s11, v7, vcc_lo
	global_store_b8 v[17:18], v19, off
	s_branch .LBB105_3
.LBB105_20:
	s_cbranch_execz .LBB105_22
	s_branch .LBB105_25
.LBB105_21:
.LBB105_22:
	v_dual_mov_b32 v1, 0 :: v_dual_lshlrev_b32 v0, 2, v0
	s_mov_b32 s2, exec_lo
	s_delay_alu instid0(VALU_DEP_1)
	v_cmpx_gt_i64_e64 s[6:7], v[0:1]
	s_cbranch_execz .LBB105_25
; %bb.23:
	s_load_b32 s0, s[0:1], 0xcb4
	s_waitcnt vmcnt(0)
	v_and_b32_e32 v2, 0xff, v2
	s_mov_b32 s2, 0
	s_waitcnt lgkmcnt(0)
	s_and_b32 s0, s0, 0xffff
	s_delay_alu instid0(SALU_CYCLE_1)
	s_lshl_b32 s1, s0, 2
	s_set_inst_prefetch_distance 0x1
	.p2align	6
.LBB105_24:                             ; =>This Inner Loop Header: Depth=1
	v_add_co_u32 v3, vcc_lo, s12, v0
	v_add_co_ci_u32_e32 v4, vcc_lo, s13, v1, vcc_lo
	v_add_co_u32 v0, vcc_lo, s1, v0
	v_add_co_ci_u32_e32 v1, vcc_lo, 0, v1, vcc_lo
	global_load_b32 v5, v[3:4], off
	v_cmp_lt_u64_e64 s0, 0xffff, v[0:1]
	s_waitcnt vmcnt(0)
	v_lshrrev_b32_e32 v8, 24, v5
	v_lshrrev_b32_e32 v6, 16, v5
	;; [unrolled: 1-line block ×3, first 2 shown]
	v_and_b32_e32 v5, 0xff, v5
	s_delay_alu instid0(VALU_DEP_4) | instskip(NEXT) | instid1(VALU_DEP_4)
	v_cmp_ne_u16_e32 vcc_lo, v2, v8
	v_and_b32_e32 v6, 0xff, v6
	s_delay_alu instid0(VALU_DEP_4) | instskip(SKIP_2) | instid1(VALU_DEP_2)
	v_and_b32_e32 v7, 0xff, v7
	v_cndmask_b32_e64 v8, 0, 1, vcc_lo
	v_cmp_ne_u16_e32 vcc_lo, v2, v5
	v_lshlrev_b32_e32 v8, 24, v8
	v_cndmask_b32_e64 v5, 0, 1, vcc_lo
	v_cmp_ne_u16_e32 vcc_lo, v2, v7
	v_cndmask_b32_e64 v7, 0, 1, vcc_lo
	v_cmp_ne_u16_e32 vcc_lo, v2, v6
	s_delay_alu instid0(VALU_DEP_2) | instskip(SKIP_2) | instid1(VALU_DEP_2)
	v_lshlrev_b32_e32 v7, 8, v7
	v_cndmask_b32_e64 v6, 0, 1, vcc_lo
	v_cmp_le_i64_e32 vcc_lo, s[6:7], v[0:1]
	v_lshl_or_b32 v5, v6, 16, v5
	s_or_b32 s0, vcc_lo, s0
	s_delay_alu instid0(SALU_CYCLE_1) | instskip(NEXT) | instid1(VALU_DEP_1)
	s_and_b32 s0, exec_lo, s0
	v_or3_b32 v5, v5, v8, v7
	s_or_b32 s2, s0, s2
	global_store_b32 v[3:4], v5, off
	s_and_not1_b32 exec_lo, exec_lo, s2
	s_cbranch_execnz .LBB105_24
.LBB105_25:
	s_set_inst_prefetch_distance 0x2
	s_nop 0
	s_sendmsg sendmsg(MSG_DEALLOC_VGPRS)
	s_endpgm
	.section	.rodata,"a",@progbits
	.p2align	6, 0x0
	.amdhsa_kernel _ZN2at6native12_GLOBAL__N_125multi_tensor_apply_kernelINS1_28TensorListScalarListMetadataIbLi1EEENS1_25BinaryOpScalarListFunctorIbLi1ELi1ELi0EEEJSt5minusIbEEEEvT_T0_DpT1_
		.amdhsa_group_segment_fixed_size 0
		.amdhsa_private_segment_fixed_size 0
		.amdhsa_kernarg_size 3496
		.amdhsa_user_sgpr_count 15
		.amdhsa_user_sgpr_dispatch_ptr 0
		.amdhsa_user_sgpr_queue_ptr 0
		.amdhsa_user_sgpr_kernarg_segment_ptr 1
		.amdhsa_user_sgpr_dispatch_id 0
		.amdhsa_user_sgpr_private_segment_size 0
		.amdhsa_wavefront_size32 1
		.amdhsa_uses_dynamic_stack 0
		.amdhsa_enable_private_segment 0
		.amdhsa_system_sgpr_workgroup_id_x 1
		.amdhsa_system_sgpr_workgroup_id_y 0
		.amdhsa_system_sgpr_workgroup_id_z 0
		.amdhsa_system_sgpr_workgroup_info 0
		.amdhsa_system_vgpr_workitem_id 0
		.amdhsa_next_free_vgpr 23
		.amdhsa_next_free_sgpr 17
		.amdhsa_reserve_vcc 1
		.amdhsa_float_round_mode_32 0
		.amdhsa_float_round_mode_16_64 0
		.amdhsa_float_denorm_mode_32 3
		.amdhsa_float_denorm_mode_16_64 3
		.amdhsa_dx10_clamp 1
		.amdhsa_ieee_mode 1
		.amdhsa_fp16_overflow 0
		.amdhsa_workgroup_processor_mode 1
		.amdhsa_memory_ordered 1
		.amdhsa_forward_progress 0
		.amdhsa_shared_vgpr_count 0
		.amdhsa_exception_fp_ieee_invalid_op 0
		.amdhsa_exception_fp_denorm_src 0
		.amdhsa_exception_fp_ieee_div_zero 0
		.amdhsa_exception_fp_ieee_overflow 0
		.amdhsa_exception_fp_ieee_underflow 0
		.amdhsa_exception_fp_ieee_inexact 0
		.amdhsa_exception_int_div_zero 0
	.end_amdhsa_kernel
	.section	.text._ZN2at6native12_GLOBAL__N_125multi_tensor_apply_kernelINS1_28TensorListScalarListMetadataIbLi1EEENS1_25BinaryOpScalarListFunctorIbLi1ELi1ELi0EEEJSt5minusIbEEEEvT_T0_DpT1_,"axG",@progbits,_ZN2at6native12_GLOBAL__N_125multi_tensor_apply_kernelINS1_28TensorListScalarListMetadataIbLi1EEENS1_25BinaryOpScalarListFunctorIbLi1ELi1ELi0EEEJSt5minusIbEEEEvT_T0_DpT1_,comdat
.Lfunc_end105:
	.size	_ZN2at6native12_GLOBAL__N_125multi_tensor_apply_kernelINS1_28TensorListScalarListMetadataIbLi1EEENS1_25BinaryOpScalarListFunctorIbLi1ELi1ELi0EEEJSt5minusIbEEEEvT_T0_DpT1_, .Lfunc_end105-_ZN2at6native12_GLOBAL__N_125multi_tensor_apply_kernelINS1_28TensorListScalarListMetadataIbLi1EEENS1_25BinaryOpScalarListFunctorIbLi1ELi1ELi0EEEJSt5minusIbEEEEvT_T0_DpT1_
                                        ; -- End function
	.section	.AMDGPU.csdata,"",@progbits
; Kernel info:
; codeLenInByte = 1380
; NumSgprs: 19
; NumVgprs: 23
; ScratchSize: 0
; MemoryBound: 0
; FloatMode: 240
; IeeeMode: 1
; LDSByteSize: 0 bytes/workgroup (compile time only)
; SGPRBlocks: 2
; VGPRBlocks: 2
; NumSGPRsForWavesPerEU: 19
; NumVGPRsForWavesPerEU: 23
; Occupancy: 16
; WaveLimiterHint : 0
; COMPUTE_PGM_RSRC2:SCRATCH_EN: 0
; COMPUTE_PGM_RSRC2:USER_SGPR: 15
; COMPUTE_PGM_RSRC2:TRAP_HANDLER: 0
; COMPUTE_PGM_RSRC2:TGID_X_EN: 1
; COMPUTE_PGM_RSRC2:TGID_Y_EN: 0
; COMPUTE_PGM_RSRC2:TGID_Z_EN: 0
; COMPUTE_PGM_RSRC2:TIDIG_COMP_CNT: 0
	.section	.text._ZN2at6native12_GLOBAL__N_125multi_tensor_apply_kernelINS1_28TensorListScalarListMetadataIfLi1EEENS1_25BinaryOpScalarListFunctorIN3c104HalfELi1ELi1ELi0EEEJSt5minusIfEEEEvT_T0_DpT1_,"axG",@progbits,_ZN2at6native12_GLOBAL__N_125multi_tensor_apply_kernelINS1_28TensorListScalarListMetadataIfLi1EEENS1_25BinaryOpScalarListFunctorIN3c104HalfELi1ELi1ELi0EEEJSt5minusIfEEEEvT_T0_DpT1_,comdat
	.globl	_ZN2at6native12_GLOBAL__N_125multi_tensor_apply_kernelINS1_28TensorListScalarListMetadataIfLi1EEENS1_25BinaryOpScalarListFunctorIN3c104HalfELi1ELi1ELi0EEEJSt5minusIfEEEEvT_T0_DpT1_ ; -- Begin function _ZN2at6native12_GLOBAL__N_125multi_tensor_apply_kernelINS1_28TensorListScalarListMetadataIfLi1EEENS1_25BinaryOpScalarListFunctorIN3c104HalfELi1ELi1ELi0EEEJSt5minusIfEEEEvT_T0_DpT1_
	.p2align	8
	.type	_ZN2at6native12_GLOBAL__N_125multi_tensor_apply_kernelINS1_28TensorListScalarListMetadataIfLi1EEENS1_25BinaryOpScalarListFunctorIN3c104HalfELi1ELi1ELi0EEEJSt5minusIfEEEEvT_T0_DpT1_,@function
_ZN2at6native12_GLOBAL__N_125multi_tensor_apply_kernelINS1_28TensorListScalarListMetadataIfLi1EEENS1_25BinaryOpScalarListFunctorIN3c104HalfELi1ELi1ELi0EEEJSt5minusIfEEEEvT_T0_DpT1_: ; @_ZN2at6native12_GLOBAL__N_125multi_tensor_apply_kernelINS1_28TensorListScalarListMetadataIfLi1EEENS1_25BinaryOpScalarListFunctorIN3c104HalfELi1ELi1ELi0EEEJSt5minusIfEEEEvT_T0_DpT1_
; %bb.0:
	v_mov_b32_e32 v1, s15
	s_add_u32 s2, s0, s15
	s_mul_i32 s3, s15, 3
	s_mul_hi_u32 s4, s15, 3
	s_addc_u32 s5, s1, 0
	global_load_u8 v1, v1, s[0:1] offset:1920
	s_add_u32 s2, s2, s3
	s_addc_u32 s3, s5, s4
	s_load_b32 s2, s[2:3], 0x8c0
	s_waitcnt vmcnt(0)
	v_readfirstlane_b32 s3, v1
	v_lshlrev_b32_e32 v1, 2, v1
	s_delay_alu instid0(VALU_DEP_2)
	s_lshl_b32 s6, s3, 3
	s_waitcnt lgkmcnt(0)
	s_ashr_i32 s3, s2, 31
	s_clause 0x1
	s_load_b64 s[4:5], s[0:1], s6 offset:0x300
	s_load_b64 s[8:9], s[0:1], s6 offset:0x0
	s_add_u32 s6, s0, s6
	s_addc_u32 s7, s1, 0
	v_sub_co_u32 v1, s6, s6, v1
	s_delay_alu instid0(VALU_DEP_1) | instskip(SKIP_1) | instid1(VALU_DEP_2)
	v_sub_co_ci_u32_e64 v2, null, s7, 0, s6
	s_lshl_b64 s[10:11], s[2:3], 17
	v_readfirstlane_b32 s6, v1
	s_lshl_b64 s[2:3], s[2:3], 16
	s_delay_alu instid0(VALU_DEP_2)
	v_readfirstlane_b32 s7, v2
	s_load_b32 s16, s[6:7], 0x600
	s_waitcnt lgkmcnt(0)
	s_and_b32 s12, s8, 7
	s_sub_u32 s6, s4, s2
	s_subb_u32 s7, s5, s3
	s_and_b32 s2, s4, 3
	s_mov_b32 s3, 0
	s_or_b32 s2, s12, s2
	s_delay_alu instid0(SALU_CYCLE_1)
	s_cmp_eq_u64 s[2:3], 0
	s_cbranch_scc1 .LBB106_21
; %bb.1:
	v_cmp_lt_i64_e64 s2, s[6:7], 1
	s_delay_alu instid0(VALU_DEP_1)
	s_and_b32 vcc_lo, exec_lo, s2
	s_cbranch_vccnz .LBB106_20
; %bb.2:
	s_load_b32 s2, s[0:1], 0xdd4
	v_cmp_gt_u64_e64 s3, 0x10000, s[6:7]
	v_lshlrev_b32_e32 v1, 1, v0
	s_waitcnt lgkmcnt(0)
	s_and_b32 s2, s2, 0xffff
	s_delay_alu instid0(VALU_DEP_2)
	s_and_b32 s3, s3, exec_lo
	v_add_co_u32 v5, s5, v0, s2
	s_cselect_b32 s13, s7, 0
	s_cselect_b32 s12, s6, 0x10000
	s_lshl_b32 s3, s2, 1
	s_lshl_b32 s17, s2, 2
	v_lshlrev_b32_e32 v3, 1, v5
	v_add_co_ci_u32_e64 v6, null, 0, 0, s5
	s_add_u32 s5, s8, s10
	v_add_co_u32 v9, s3, s3, v0
	s_mul_i32 s4, s2, 3
	s_addc_u32 s14, s9, s11
	v_add_co_ci_u32_e64 v10, null, 0, 0, s3
	v_add_co_u32 v1, s3, s5, v1
	v_add_co_u32 v7, s4, s4, v0
	v_add_co_ci_u32_e64 v2, null, s14, 0, s3
	v_add_co_u32 v3, s3, s5, v3
	v_add_co_ci_u32_e64 v8, null, 0, 0, s4
	v_add_co_ci_u32_e64 v4, null, s14, 0, s3
	s_lshl_b32 s18, s2, 3
	s_mul_i32 s19, s2, 6
	s_mov_b64 s[14:15], 0
	s_branch .LBB106_4
.LBB106_3:                              ;   in Loop: Header=BB106_4 Depth=1
	s_or_b32 exec_lo, exec_lo, s2
	s_add_u32 s14, s14, s17
	s_addc_u32 s15, s15, 0
	v_add_co_u32 v1, vcc_lo, v1, s18
	v_cmp_lt_i64_e64 s2, s[14:15], s[6:7]
	v_cmp_gt_u64_e64 s3, 0x10000, s[14:15]
	v_add_co_ci_u32_e32 v2, vcc_lo, 0, v2, vcc_lo
	v_add_co_u32 v3, vcc_lo, v3, s18
	v_add_co_ci_u32_e32 v4, vcc_lo, 0, v4, vcc_lo
	s_delay_alu instid0(VALU_DEP_4) | instskip(NEXT) | instid1(SALU_CYCLE_1)
	s_and_b32 s2, s2, s3
	s_and_b32 vcc_lo, exec_lo, s2
	s_cbranch_vccz .LBB106_20
.LBB106_4:                              ; =>This Inner Loop Header: Depth=1
	s_waitcnt vmcnt(0)
	v_add_co_u32 v11, s2, v0, s14
	s_delay_alu instid0(VALU_DEP_1) | instskip(NEXT) | instid1(VALU_DEP_1)
	v_add_co_ci_u32_e64 v12, null, 0, s15, s2
	v_cmp_gt_u64_e32 vcc_lo, s[12:13], v[11:12]
	v_mov_b32_e32 v12, 0
	s_and_saveexec_b32 s2, vcc_lo
	s_cbranch_execz .LBB106_6
; %bb.5:                                ;   in Loop: Header=BB106_4 Depth=1
	global_load_u16 v12, v[1:2], off
.LBB106_6:                              ;   in Loop: Header=BB106_4 Depth=1
	s_or_b32 exec_lo, exec_lo, s2
	v_add_co_u32 v13, s2, v5, s14
	s_delay_alu instid0(VALU_DEP_1) | instskip(NEXT) | instid1(VALU_DEP_1)
	v_add_co_ci_u32_e64 v14, s2, s15, v6, s2
	v_cmp_gt_u64_e64 s2, s[12:13], v[13:14]
	v_mov_b32_e32 v13, 0
	s_delay_alu instid0(VALU_DEP_2)
	s_and_saveexec_b32 s3, s2
	s_cbranch_execz .LBB106_8
; %bb.7:                                ;   in Loop: Header=BB106_4 Depth=1
	global_load_u16 v13, v[3:4], off
.LBB106_8:                              ;   in Loop: Header=BB106_4 Depth=1
	s_or_b32 exec_lo, exec_lo, s3
	v_add_co_u32 v14, s3, v9, s14
	s_delay_alu instid0(VALU_DEP_1) | instskip(SKIP_1) | instid1(VALU_DEP_2)
	v_add_co_ci_u32_e64 v15, s3, s15, v10, s3
	v_mov_b32_e32 v11, 0
	v_cmp_gt_u64_e64 s3, s[12:13], v[14:15]
	v_mov_b32_e32 v14, 0
	s_delay_alu instid0(VALU_DEP_2)
	s_and_saveexec_b32 s5, s3
	s_cbranch_execz .LBB106_10
; %bb.9:                                ;   in Loop: Header=BB106_4 Depth=1
	v_add_co_u32 v14, s4, v1, s17
	s_delay_alu instid0(VALU_DEP_1)
	v_add_co_ci_u32_e64 v15, s4, 0, v2, s4
	global_load_u16 v14, v[14:15], off
.LBB106_10:                             ;   in Loop: Header=BB106_4 Depth=1
	s_or_b32 exec_lo, exec_lo, s5
	v_add_co_u32 v15, s4, v7, s14
	s_delay_alu instid0(VALU_DEP_1) | instskip(NEXT) | instid1(VALU_DEP_1)
	v_add_co_ci_u32_e64 v16, s4, s15, v8, s4
	v_cmp_gt_u64_e64 s4, s[12:13], v[15:16]
	s_delay_alu instid0(VALU_DEP_1)
	s_and_saveexec_b32 s20, s4
	s_cbranch_execnz .LBB106_15
; %bb.11:                               ;   in Loop: Header=BB106_4 Depth=1
	s_or_b32 exec_lo, exec_lo, s20
	s_and_saveexec_b32 s5, vcc_lo
	s_cbranch_execnz .LBB106_16
.LBB106_12:                             ;   in Loop: Header=BB106_4 Depth=1
	s_or_b32 exec_lo, exec_lo, s5
	s_and_saveexec_b32 s5, s2
	s_cbranch_execnz .LBB106_17
.LBB106_13:                             ;   in Loop: Header=BB106_4 Depth=1
	s_or_b32 exec_lo, exec_lo, s5
	s_and_saveexec_b32 s2, s3
	s_cbranch_execnz .LBB106_18
.LBB106_14:                             ;   in Loop: Header=BB106_4 Depth=1
	s_or_b32 exec_lo, exec_lo, s2
	s_and_saveexec_b32 s2, s4
	s_cbranch_execz .LBB106_3
	s_branch .LBB106_19
.LBB106_15:                             ;   in Loop: Header=BB106_4 Depth=1
	v_add_co_u32 v15, s5, v1, s19
	s_delay_alu instid0(VALU_DEP_1)
	v_add_co_ci_u32_e64 v16, s5, 0, v2, s5
	global_load_u16 v11, v[15:16], off
	s_or_b32 exec_lo, exec_lo, s20
	s_and_saveexec_b32 s5, vcc_lo
	s_cbranch_execz .LBB106_12
.LBB106_16:                             ;   in Loop: Header=BB106_4 Depth=1
	s_waitcnt vmcnt(0)
	v_cvt_f32_f16_e32 v12, v12
	s_delay_alu instid0(VALU_DEP_1) | instskip(NEXT) | instid1(VALU_DEP_1)
	v_subrev_f32_e32 v12, s16, v12
	v_cvt_f16_f32_e32 v12, v12
	global_store_b16 v[1:2], v12, off
	s_or_b32 exec_lo, exec_lo, s5
	s_and_saveexec_b32 s5, s2
	s_cbranch_execz .LBB106_13
.LBB106_17:                             ;   in Loop: Header=BB106_4 Depth=1
	s_waitcnt vmcnt(0)
	v_cvt_f32_f16_e32 v12, v13
	s_delay_alu instid0(VALU_DEP_1) | instskip(NEXT) | instid1(VALU_DEP_1)
	v_subrev_f32_e32 v12, s16, v12
	v_cvt_f16_f32_e32 v12, v12
	global_store_b16 v[3:4], v12, off
	s_or_b32 exec_lo, exec_lo, s5
	s_and_saveexec_b32 s2, s3
	s_cbranch_execz .LBB106_14
.LBB106_18:                             ;   in Loop: Header=BB106_4 Depth=1
	s_waitcnt vmcnt(0)
	v_cvt_f32_f16_e32 v12, v14
	s_delay_alu instid0(VALU_DEP_1) | instskip(NEXT) | instid1(VALU_DEP_1)
	v_subrev_f32_e32 v12, s16, v12
	v_cvt_f16_f32_e32 v14, v12
	v_add_co_u32 v12, vcc_lo, v1, s17
	v_add_co_ci_u32_e32 v13, vcc_lo, 0, v2, vcc_lo
	global_store_b16 v[12:13], v14, off
	s_or_b32 exec_lo, exec_lo, s2
	s_and_saveexec_b32 s2, s4
	s_cbranch_execz .LBB106_3
.LBB106_19:                             ;   in Loop: Header=BB106_4 Depth=1
	s_waitcnt vmcnt(0)
	v_cvt_f32_f16_e32 v11, v11
	s_delay_alu instid0(VALU_DEP_1) | instskip(NEXT) | instid1(VALU_DEP_1)
	v_subrev_f32_e32 v11, s16, v11
	v_cvt_f16_f32_e32 v13, v11
	v_add_co_u32 v11, vcc_lo, v1, s19
	v_add_co_ci_u32_e32 v12, vcc_lo, 0, v2, vcc_lo
	global_store_b16 v[11:12], v13, off
	s_branch .LBB106_3
.LBB106_20:
	s_cbranch_execz .LBB106_22
	s_branch .LBB106_25
.LBB106_21:
.LBB106_22:
	v_dual_mov_b32 v2, 0 :: v_dual_lshlrev_b32 v1, 2, v0
	s_mov_b32 s2, 0
	s_mov_b32 s3, exec_lo
	s_delay_alu instid0(VALU_DEP_1)
	v_cmpx_gt_i64_e64 s[6:7], v[1:2]
	s_cbranch_execz .LBB106_25
; %bb.23:
	s_load_b32 s0, s[0:1], 0xdd4
	v_lshlrev_b32_e32 v1, 3, v0
	s_waitcnt lgkmcnt(0)
	s_and_b32 s0, s0, 0xffff
	s_add_u32 s1, s8, s10
	s_addc_u32 s3, s9, s11
	v_add_co_u32 v1, s1, s1, v1
	s_delay_alu instid0(VALU_DEP_1) | instskip(SKIP_1) | instid1(VALU_DEP_2)
	v_add_co_ci_u32_e64 v4, null, s3, 0, s1
	s_mov_b32 s3, s16
	v_add_co_u32 v3, vcc_lo, v1, 4
	s_delay_alu instid0(VALU_DEP_2)
	v_add_co_ci_u32_e32 v4, vcc_lo, 0, v4, vcc_lo
	v_add_lshl_u32 v1, v0, s0, 2
	s_lshl_b32 s4, s0, 3
	s_lshl_b32 s5, s0, 2
	s_set_inst_prefetch_distance 0x1
	.p2align	6
.LBB106_24:                             ; =>This Inner Loop Header: Depth=1
	global_load_b64 v[5:6], v[3:4], off offset:-4
	v_cmp_le_i64_e32 vcc_lo, s[6:7], v[1:2]
	v_cmp_lt_u64_e64 s0, 0xffff, v[1:2]
	v_add_co_u32 v1, s1, v1, s5
	s_delay_alu instid0(VALU_DEP_1) | instskip(NEXT) | instid1(VALU_DEP_3)
	v_add_co_ci_u32_e64 v2, s1, 0, v2, s1
	s_or_b32 s0, vcc_lo, s0
	s_delay_alu instid0(SALU_CYCLE_1) | instskip(NEXT) | instid1(SALU_CYCLE_1)
	s_and_b32 s0, exec_lo, s0
	s_or_b32 s2, s0, s2
	s_waitcnt vmcnt(0)
	v_lshrrev_b32_e32 v0, 16, v6
	v_lshrrev_b32_e32 v7, 16, v5
	v_cvt_f32_f16_e32 v5, v5
	v_cvt_f32_f16_e32 v6, v6
	s_delay_alu instid0(VALU_DEP_4) | instskip(NEXT) | instid1(VALU_DEP_4)
	v_cvt_f32_f16_e32 v0, v0
	v_cvt_f32_f16_e32 v7, v7
	s_delay_alu instid0(VALU_DEP_3) | instskip(NEXT) | instid1(VALU_DEP_2)
	v_dual_subrev_f32 v5, s16, v5 :: v_dual_subrev_f32 v6, s16, v6
	v_dual_subrev_f32 v0, s3, v0 :: v_dual_subrev_f32 v7, s3, v7
	s_delay_alu instid0(VALU_DEP_2) | instskip(NEXT) | instid1(VALU_DEP_3)
	v_cvt_f16_f32_e32 v5, v5
	v_cvt_f16_f32_e32 v6, v6
	s_delay_alu instid0(VALU_DEP_3) | instskip(NEXT) | instid1(VALU_DEP_4)
	v_cvt_f16_f32_e32 v0, v0
	v_cvt_f16_f32_e32 v7, v7
	s_delay_alu instid0(VALU_DEP_2) | instskip(NEXT) | instid1(VALU_DEP_2)
	v_pack_b32_f16 v6, v6, v0
	v_pack_b32_f16 v5, v5, v7
	global_store_b64 v[3:4], v[5:6], off offset:-4
	v_add_co_u32 v3, vcc_lo, v3, s4
	v_add_co_ci_u32_e32 v4, vcc_lo, 0, v4, vcc_lo
	s_and_not1_b32 exec_lo, exec_lo, s2
	s_cbranch_execnz .LBB106_24
.LBB106_25:
	s_set_inst_prefetch_distance 0x2
	s_nop 0
	s_sendmsg sendmsg(MSG_DEALLOC_VGPRS)
	s_endpgm
	.section	.rodata,"a",@progbits
	.p2align	6, 0x0
	.amdhsa_kernel _ZN2at6native12_GLOBAL__N_125multi_tensor_apply_kernelINS1_28TensorListScalarListMetadataIfLi1EEENS1_25BinaryOpScalarListFunctorIN3c104HalfELi1ELi1ELi0EEEJSt5minusIfEEEEvT_T0_DpT1_
		.amdhsa_group_segment_fixed_size 0
		.amdhsa_private_segment_fixed_size 0
		.amdhsa_kernarg_size 3784
		.amdhsa_user_sgpr_count 15
		.amdhsa_user_sgpr_dispatch_ptr 0
		.amdhsa_user_sgpr_queue_ptr 0
		.amdhsa_user_sgpr_kernarg_segment_ptr 1
		.amdhsa_user_sgpr_dispatch_id 0
		.amdhsa_user_sgpr_private_segment_size 0
		.amdhsa_wavefront_size32 1
		.amdhsa_uses_dynamic_stack 0
		.amdhsa_enable_private_segment 0
		.amdhsa_system_sgpr_workgroup_id_x 1
		.amdhsa_system_sgpr_workgroup_id_y 0
		.amdhsa_system_sgpr_workgroup_id_z 0
		.amdhsa_system_sgpr_workgroup_info 0
		.amdhsa_system_vgpr_workitem_id 0
		.amdhsa_next_free_vgpr 17
		.amdhsa_next_free_sgpr 21
		.amdhsa_reserve_vcc 1
		.amdhsa_float_round_mode_32 0
		.amdhsa_float_round_mode_16_64 0
		.amdhsa_float_denorm_mode_32 3
		.amdhsa_float_denorm_mode_16_64 3
		.amdhsa_dx10_clamp 1
		.amdhsa_ieee_mode 1
		.amdhsa_fp16_overflow 0
		.amdhsa_workgroup_processor_mode 1
		.amdhsa_memory_ordered 1
		.amdhsa_forward_progress 0
		.amdhsa_shared_vgpr_count 0
		.amdhsa_exception_fp_ieee_invalid_op 0
		.amdhsa_exception_fp_denorm_src 0
		.amdhsa_exception_fp_ieee_div_zero 0
		.amdhsa_exception_fp_ieee_overflow 0
		.amdhsa_exception_fp_ieee_underflow 0
		.amdhsa_exception_fp_ieee_inexact 0
		.amdhsa_exception_int_div_zero 0
	.end_amdhsa_kernel
	.section	.text._ZN2at6native12_GLOBAL__N_125multi_tensor_apply_kernelINS1_28TensorListScalarListMetadataIfLi1EEENS1_25BinaryOpScalarListFunctorIN3c104HalfELi1ELi1ELi0EEEJSt5minusIfEEEEvT_T0_DpT1_,"axG",@progbits,_ZN2at6native12_GLOBAL__N_125multi_tensor_apply_kernelINS1_28TensorListScalarListMetadataIfLi1EEENS1_25BinaryOpScalarListFunctorIN3c104HalfELi1ELi1ELi0EEEJSt5minusIfEEEEvT_T0_DpT1_,comdat
.Lfunc_end106:
	.size	_ZN2at6native12_GLOBAL__N_125multi_tensor_apply_kernelINS1_28TensorListScalarListMetadataIfLi1EEENS1_25BinaryOpScalarListFunctorIN3c104HalfELi1ELi1ELi0EEEJSt5minusIfEEEEvT_T0_DpT1_, .Lfunc_end106-_ZN2at6native12_GLOBAL__N_125multi_tensor_apply_kernelINS1_28TensorListScalarListMetadataIfLi1EEENS1_25BinaryOpScalarListFunctorIN3c104HalfELi1ELi1ELi0EEEJSt5minusIfEEEEvT_T0_DpT1_
                                        ; -- End function
	.section	.AMDGPU.csdata,"",@progbits
; Kernel info:
; codeLenInByte = 1284
; NumSgprs: 23
; NumVgprs: 17
; ScratchSize: 0
; MemoryBound: 0
; FloatMode: 240
; IeeeMode: 1
; LDSByteSize: 0 bytes/workgroup (compile time only)
; SGPRBlocks: 2
; VGPRBlocks: 2
; NumSGPRsForWavesPerEU: 23
; NumVGPRsForWavesPerEU: 17
; Occupancy: 16
; WaveLimiterHint : 0
; COMPUTE_PGM_RSRC2:SCRATCH_EN: 0
; COMPUTE_PGM_RSRC2:USER_SGPR: 15
; COMPUTE_PGM_RSRC2:TRAP_HANDLER: 0
; COMPUTE_PGM_RSRC2:TGID_X_EN: 1
; COMPUTE_PGM_RSRC2:TGID_Y_EN: 0
; COMPUTE_PGM_RSRC2:TGID_Z_EN: 0
; COMPUTE_PGM_RSRC2:TIDIG_COMP_CNT: 0
	.section	.text._ZN2at6native12_GLOBAL__N_125multi_tensor_apply_kernelINS1_28TensorListScalarListMetadataIfLi1EEENS1_25BinaryOpScalarListFunctorIN3c108BFloat16ELi1ELi1ELi0EEEJSt5minusIfEEEEvT_T0_DpT1_,"axG",@progbits,_ZN2at6native12_GLOBAL__N_125multi_tensor_apply_kernelINS1_28TensorListScalarListMetadataIfLi1EEENS1_25BinaryOpScalarListFunctorIN3c108BFloat16ELi1ELi1ELi0EEEJSt5minusIfEEEEvT_T0_DpT1_,comdat
	.globl	_ZN2at6native12_GLOBAL__N_125multi_tensor_apply_kernelINS1_28TensorListScalarListMetadataIfLi1EEENS1_25BinaryOpScalarListFunctorIN3c108BFloat16ELi1ELi1ELi0EEEJSt5minusIfEEEEvT_T0_DpT1_ ; -- Begin function _ZN2at6native12_GLOBAL__N_125multi_tensor_apply_kernelINS1_28TensorListScalarListMetadataIfLi1EEENS1_25BinaryOpScalarListFunctorIN3c108BFloat16ELi1ELi1ELi0EEEJSt5minusIfEEEEvT_T0_DpT1_
	.p2align	8
	.type	_ZN2at6native12_GLOBAL__N_125multi_tensor_apply_kernelINS1_28TensorListScalarListMetadataIfLi1EEENS1_25BinaryOpScalarListFunctorIN3c108BFloat16ELi1ELi1ELi0EEEJSt5minusIfEEEEvT_T0_DpT1_,@function
_ZN2at6native12_GLOBAL__N_125multi_tensor_apply_kernelINS1_28TensorListScalarListMetadataIfLi1EEENS1_25BinaryOpScalarListFunctorIN3c108BFloat16ELi1ELi1ELi0EEEJSt5minusIfEEEEvT_T0_DpT1_: ; @_ZN2at6native12_GLOBAL__N_125multi_tensor_apply_kernelINS1_28TensorListScalarListMetadataIfLi1EEENS1_25BinaryOpScalarListFunctorIN3c108BFloat16ELi1ELi1ELi0EEEJSt5minusIfEEEEvT_T0_DpT1_
; %bb.0:
	v_mov_b32_e32 v1, s15
	s_add_u32 s2, s0, s15
	s_mul_i32 s3, s15, 3
	s_mul_hi_u32 s4, s15, 3
	s_addc_u32 s5, s1, 0
	global_load_u8 v1, v1, s[0:1] offset:1920
	s_add_u32 s2, s2, s3
	s_addc_u32 s3, s5, s4
	s_load_b32 s2, s[2:3], 0x8c0
	s_waitcnt vmcnt(0)
	v_readfirstlane_b32 s3, v1
	v_lshlrev_b32_e32 v1, 2, v1
	s_delay_alu instid0(VALU_DEP_2)
	s_lshl_b32 s6, s3, 3
	s_waitcnt lgkmcnt(0)
	s_ashr_i32 s3, s2, 31
	s_clause 0x1
	s_load_b64 s[4:5], s[0:1], s6 offset:0x300
	s_load_b64 s[8:9], s[0:1], s6 offset:0x0
	s_add_u32 s6, s0, s6
	s_addc_u32 s7, s1, 0
	v_sub_co_u32 v1, s6, s6, v1
	s_delay_alu instid0(VALU_DEP_1) | instskip(SKIP_1) | instid1(VALU_DEP_2)
	v_sub_co_ci_u32_e64 v2, null, s7, 0, s6
	s_lshl_b64 s[10:11], s[2:3], 17
	v_readfirstlane_b32 s6, v1
	s_lshl_b64 s[2:3], s[2:3], 16
	s_delay_alu instid0(VALU_DEP_2)
	v_readfirstlane_b32 s7, v2
	s_load_b32 s16, s[6:7], 0x600
	s_waitcnt lgkmcnt(0)
	s_and_b32 s12, s8, 7
	s_sub_u32 s6, s4, s2
	s_subb_u32 s7, s5, s3
	s_and_b32 s2, s4, 3
	s_mov_b32 s3, 0
	s_or_b32 s2, s12, s2
	s_delay_alu instid0(SALU_CYCLE_1)
	s_cmp_eq_u64 s[2:3], 0
	s_cbranch_scc1 .LBB107_21
; %bb.1:
	v_cmp_lt_i64_e64 s2, s[6:7], 1
	s_delay_alu instid0(VALU_DEP_1)
	s_and_b32 vcc_lo, exec_lo, s2
	s_cbranch_vccnz .LBB107_20
; %bb.2:
	s_load_b32 s2, s[0:1], 0xdd4
	v_cmp_gt_u64_e64 s3, 0x10000, s[6:7]
	v_lshlrev_b32_e32 v1, 1, v0
	s_waitcnt lgkmcnt(0)
	s_and_b32 s2, s2, 0xffff
	s_delay_alu instid0(VALU_DEP_2)
	s_and_b32 s3, s3, exec_lo
	v_add_co_u32 v5, s5, v0, s2
	s_cselect_b32 s13, s7, 0
	s_cselect_b32 s12, s6, 0x10000
	s_lshl_b32 s3, s2, 1
	s_lshl_b32 s17, s2, 2
	v_lshlrev_b32_e32 v3, 1, v5
	v_add_co_ci_u32_e64 v6, null, 0, 0, s5
	s_add_u32 s5, s8, s10
	v_add_co_u32 v9, s3, s3, v0
	s_mul_i32 s4, s2, 3
	s_addc_u32 s14, s9, s11
	v_add_co_ci_u32_e64 v10, null, 0, 0, s3
	v_add_co_u32 v1, s3, s5, v1
	v_add_co_u32 v7, s4, s4, v0
	v_add_co_ci_u32_e64 v2, null, s14, 0, s3
	v_add_co_u32 v3, s3, s5, v3
	v_add_co_ci_u32_e64 v8, null, 0, 0, s4
	v_add_co_ci_u32_e64 v4, null, s14, 0, s3
	s_lshl_b32 s18, s2, 3
	s_mul_i32 s19, s2, 6
	s_mov_b64 s[14:15], 0
	s_branch .LBB107_4
.LBB107_3:                              ;   in Loop: Header=BB107_4 Depth=1
	s_or_b32 exec_lo, exec_lo, s2
	s_add_u32 s14, s14, s17
	s_addc_u32 s15, s15, 0
	v_add_co_u32 v1, vcc_lo, v1, s18
	v_cmp_lt_i64_e64 s2, s[14:15], s[6:7]
	v_cmp_gt_u64_e64 s3, 0x10000, s[14:15]
	v_add_co_ci_u32_e32 v2, vcc_lo, 0, v2, vcc_lo
	v_add_co_u32 v3, vcc_lo, v3, s18
	v_add_co_ci_u32_e32 v4, vcc_lo, 0, v4, vcc_lo
	s_delay_alu instid0(VALU_DEP_4) | instskip(NEXT) | instid1(SALU_CYCLE_1)
	s_and_b32 s2, s2, s3
	s_and_b32 vcc_lo, exec_lo, s2
	s_cbranch_vccz .LBB107_20
.LBB107_4:                              ; =>This Inner Loop Header: Depth=1
	s_waitcnt vmcnt(0)
	v_add_co_u32 v11, s2, v0, s14
	s_delay_alu instid0(VALU_DEP_1) | instskip(NEXT) | instid1(VALU_DEP_1)
	v_add_co_ci_u32_e64 v12, null, 0, s15, s2
	v_cmp_gt_u64_e32 vcc_lo, s[12:13], v[11:12]
	v_mov_b32_e32 v12, 0
	s_and_saveexec_b32 s2, vcc_lo
	s_cbranch_execz .LBB107_6
; %bb.5:                                ;   in Loop: Header=BB107_4 Depth=1
	global_load_u16 v12, v[1:2], off
.LBB107_6:                              ;   in Loop: Header=BB107_4 Depth=1
	s_or_b32 exec_lo, exec_lo, s2
	v_add_co_u32 v13, s2, v5, s14
	s_delay_alu instid0(VALU_DEP_1) | instskip(NEXT) | instid1(VALU_DEP_1)
	v_add_co_ci_u32_e64 v14, s2, s15, v6, s2
	v_cmp_gt_u64_e64 s2, s[12:13], v[13:14]
	v_mov_b32_e32 v13, 0
	s_delay_alu instid0(VALU_DEP_2)
	s_and_saveexec_b32 s3, s2
	s_cbranch_execz .LBB107_8
; %bb.7:                                ;   in Loop: Header=BB107_4 Depth=1
	global_load_u16 v13, v[3:4], off
.LBB107_8:                              ;   in Loop: Header=BB107_4 Depth=1
	s_or_b32 exec_lo, exec_lo, s3
	v_add_co_u32 v14, s3, v9, s14
	s_delay_alu instid0(VALU_DEP_1) | instskip(SKIP_1) | instid1(VALU_DEP_2)
	v_add_co_ci_u32_e64 v15, s3, s15, v10, s3
	v_mov_b32_e32 v11, 0
	v_cmp_gt_u64_e64 s3, s[12:13], v[14:15]
	v_mov_b32_e32 v14, 0
	s_delay_alu instid0(VALU_DEP_2)
	s_and_saveexec_b32 s5, s3
	s_cbranch_execz .LBB107_10
; %bb.9:                                ;   in Loop: Header=BB107_4 Depth=1
	v_add_co_u32 v14, s4, v1, s17
	s_delay_alu instid0(VALU_DEP_1)
	v_add_co_ci_u32_e64 v15, s4, 0, v2, s4
	global_load_u16 v14, v[14:15], off
.LBB107_10:                             ;   in Loop: Header=BB107_4 Depth=1
	s_or_b32 exec_lo, exec_lo, s5
	v_add_co_u32 v15, s4, v7, s14
	s_delay_alu instid0(VALU_DEP_1) | instskip(NEXT) | instid1(VALU_DEP_1)
	v_add_co_ci_u32_e64 v16, s4, s15, v8, s4
	v_cmp_gt_u64_e64 s4, s[12:13], v[15:16]
	s_delay_alu instid0(VALU_DEP_1)
	s_and_saveexec_b32 s20, s4
	s_cbranch_execnz .LBB107_15
; %bb.11:                               ;   in Loop: Header=BB107_4 Depth=1
	s_or_b32 exec_lo, exec_lo, s20
	s_and_saveexec_b32 s5, vcc_lo
	s_cbranch_execnz .LBB107_16
.LBB107_12:                             ;   in Loop: Header=BB107_4 Depth=1
	s_or_b32 exec_lo, exec_lo, s5
	s_and_saveexec_b32 s5, s2
	s_cbranch_execnz .LBB107_17
.LBB107_13:                             ;   in Loop: Header=BB107_4 Depth=1
	s_or_b32 exec_lo, exec_lo, s5
	s_and_saveexec_b32 s2, s3
	s_cbranch_execnz .LBB107_18
.LBB107_14:                             ;   in Loop: Header=BB107_4 Depth=1
	s_or_b32 exec_lo, exec_lo, s2
	s_and_saveexec_b32 s2, s4
	s_cbranch_execz .LBB107_3
	s_branch .LBB107_19
.LBB107_15:                             ;   in Loop: Header=BB107_4 Depth=1
	v_add_co_u32 v15, s5, v1, s19
	s_delay_alu instid0(VALU_DEP_1)
	v_add_co_ci_u32_e64 v16, s5, 0, v2, s5
	global_load_u16 v11, v[15:16], off
	s_or_b32 exec_lo, exec_lo, s20
	s_and_saveexec_b32 s5, vcc_lo
	s_cbranch_execz .LBB107_12
.LBB107_16:                             ;   in Loop: Header=BB107_4 Depth=1
	s_waitcnt vmcnt(0)
	v_lshlrev_b32_e32 v12, 16, v12
	s_delay_alu instid0(VALU_DEP_1) | instskip(NEXT) | instid1(VALU_DEP_1)
	v_subrev_f32_e32 v12, s16, v12
	v_bfe_u32 v15, v12, 16, 1
	v_cmp_o_f32_e32 vcc_lo, v12, v12
	s_delay_alu instid0(VALU_DEP_2) | instskip(NEXT) | instid1(VALU_DEP_1)
	v_add3_u32 v15, v12, v15, 0x7fff
	v_lshrrev_b32_e32 v15, 16, v15
	s_delay_alu instid0(VALU_DEP_1)
	v_cndmask_b32_e32 v12, 0x7fc0, v15, vcc_lo
	global_store_b16 v[1:2], v12, off
	s_or_b32 exec_lo, exec_lo, s5
	s_and_saveexec_b32 s5, s2
	s_cbranch_execz .LBB107_13
.LBB107_17:                             ;   in Loop: Header=BB107_4 Depth=1
	s_waitcnt vmcnt(0)
	v_lshlrev_b32_e32 v12, 16, v13
	s_delay_alu instid0(VALU_DEP_1) | instskip(NEXT) | instid1(VALU_DEP_1)
	v_subrev_f32_e32 v12, s16, v12
	v_bfe_u32 v13, v12, 16, 1
	v_cmp_o_f32_e32 vcc_lo, v12, v12
	s_delay_alu instid0(VALU_DEP_2) | instskip(NEXT) | instid1(VALU_DEP_1)
	v_add3_u32 v13, v12, v13, 0x7fff
	v_lshrrev_b32_e32 v13, 16, v13
	s_delay_alu instid0(VALU_DEP_1)
	v_cndmask_b32_e32 v12, 0x7fc0, v13, vcc_lo
	global_store_b16 v[3:4], v12, off
	s_or_b32 exec_lo, exec_lo, s5
	s_and_saveexec_b32 s2, s3
	s_cbranch_execz .LBB107_14
.LBB107_18:                             ;   in Loop: Header=BB107_4 Depth=1
	s_waitcnt vmcnt(0)
	v_lshlrev_b32_e32 v12, 16, v14
	s_delay_alu instid0(VALU_DEP_1) | instskip(NEXT) | instid1(VALU_DEP_1)
	v_subrev_f32_e32 v12, s16, v12
	v_bfe_u32 v13, v12, 16, 1
	v_cmp_o_f32_e32 vcc_lo, v12, v12
	s_delay_alu instid0(VALU_DEP_2) | instskip(NEXT) | instid1(VALU_DEP_1)
	v_add3_u32 v13, v12, v13, 0x7fff
	v_lshrrev_b32_e32 v13, 16, v13
	s_delay_alu instid0(VALU_DEP_1)
	v_cndmask_b32_e32 v14, 0x7fc0, v13, vcc_lo
	v_add_co_u32 v12, vcc_lo, v1, s17
	v_add_co_ci_u32_e32 v13, vcc_lo, 0, v2, vcc_lo
	global_store_b16 v[12:13], v14, off
	s_or_b32 exec_lo, exec_lo, s2
	s_and_saveexec_b32 s2, s4
	s_cbranch_execz .LBB107_3
.LBB107_19:                             ;   in Loop: Header=BB107_4 Depth=1
	s_waitcnt vmcnt(0)
	v_lshlrev_b32_e32 v11, 16, v11
	s_delay_alu instid0(VALU_DEP_1) | instskip(NEXT) | instid1(VALU_DEP_1)
	v_subrev_f32_e32 v11, s16, v11
	v_bfe_u32 v12, v11, 16, 1
	v_cmp_o_f32_e32 vcc_lo, v11, v11
	s_delay_alu instid0(VALU_DEP_2) | instskip(NEXT) | instid1(VALU_DEP_1)
	v_add3_u32 v12, v11, v12, 0x7fff
	v_lshrrev_b32_e32 v12, 16, v12
	s_delay_alu instid0(VALU_DEP_1)
	v_cndmask_b32_e32 v13, 0x7fc0, v12, vcc_lo
	v_add_co_u32 v11, vcc_lo, v1, s19
	v_add_co_ci_u32_e32 v12, vcc_lo, 0, v2, vcc_lo
	global_store_b16 v[11:12], v13, off
	s_branch .LBB107_3
.LBB107_20:
	s_cbranch_execz .LBB107_22
	s_branch .LBB107_25
.LBB107_21:
.LBB107_22:
	v_dual_mov_b32 v2, 0 :: v_dual_lshlrev_b32 v1, 2, v0
	s_mov_b32 s2, 0
	s_mov_b32 s3, exec_lo
	s_delay_alu instid0(VALU_DEP_1)
	v_cmpx_gt_i64_e64 s[6:7], v[1:2]
	s_cbranch_execz .LBB107_25
; %bb.23:
	s_load_b32 s0, s[0:1], 0xdd4
	v_lshlrev_b32_e32 v1, 3, v0
	s_waitcnt lgkmcnt(0)
	s_and_b32 s0, s0, 0xffff
	s_add_u32 s1, s8, s10
	s_addc_u32 s3, s9, s11
	v_add_co_u32 v3, s1, s1, v1
	s_delay_alu instid0(VALU_DEP_1)
	v_add_co_ci_u32_e64 v4, null, s3, 0, s1
	v_add_lshl_u32 v1, v0, s0, 2
	s_lshl_b32 s3, s0, 3
	s_lshl_b32 s4, s0, 2
.LBB107_24:                             ; =>This Inner Loop Header: Depth=1
	global_load_b64 v[5:6], v[3:4], off
	v_cmp_lt_u64_e64 s0, 0xffff, v[1:2]
	s_waitcnt vmcnt(0)
	v_alignbit_b32 v0, v6, v5, 16
	v_and_b32_e32 v6, 0xffff0000, v6
	v_and_b32_e32 v7, 0xffff0000, v5
	s_delay_alu instid0(VALU_DEP_3) | instskip(NEXT) | instid1(VALU_DEP_3)
	v_and_b32_e32 v0, 0xffff0000, v0
	v_dual_subrev_f32 v6, s16, v6 :: v_dual_lshlrev_b32 v5, 16, v5
	s_delay_alu instid0(VALU_DEP_2) | instskip(NEXT) | instid1(VALU_DEP_2)
	v_dual_subrev_f32 v7, s16, v7 :: v_dual_subrev_f32 v0, s16, v0
	v_subrev_f32_e32 v5, s16, v5
	s_delay_alu instid0(VALU_DEP_3) | instskip(NEXT) | instid1(VALU_DEP_3)
	v_bfe_u32 v10, v6, 16, 1
	v_bfe_u32 v8, v7, 16, 1
	v_cmp_o_f32_e32 vcc_lo, v7, v7
	v_bfe_u32 v11, v0, 16, 1
	v_bfe_u32 v9, v5, 16, 1
	v_add3_u32 v10, v6, v10, 0x7fff
	v_add3_u32 v8, v7, v8, 0x7fff
	s_delay_alu instid0(VALU_DEP_4) | instskip(NEXT) | instid1(VALU_DEP_4)
	v_add3_u32 v11, v0, v11, 0x7fff
	v_add3_u32 v9, v5, v9, 0x7fff
	s_delay_alu instid0(VALU_DEP_4) | instskip(NEXT) | instid1(VALU_DEP_4)
	v_and_b32_e32 v10, 0xffff0000, v10
	v_and_b32_e32 v8, 0xffff0000, v8
	s_delay_alu instid0(VALU_DEP_4) | instskip(NEXT) | instid1(VALU_DEP_4)
	v_lshrrev_b32_e32 v11, 16, v11
	v_lshrrev_b32_e32 v9, 16, v9
	s_delay_alu instid0(VALU_DEP_3) | instskip(SKIP_1) | instid1(VALU_DEP_3)
	v_cndmask_b32_e32 v7, 0x7fc00000, v8, vcc_lo
	v_cmp_o_f32_e32 vcc_lo, v5, v5
	v_cndmask_b32_e32 v5, 0x7fc0, v9, vcc_lo
	v_cmp_o_f32_e32 vcc_lo, v6, v6
	s_delay_alu instid0(VALU_DEP_2) | instskip(SKIP_2) | instid1(VALU_DEP_3)
	v_or_b32_e32 v5, v5, v7
	v_cndmask_b32_e32 v6, 0x7fc00000, v10, vcc_lo
	v_cmp_o_f32_e32 vcc_lo, v0, v0
	v_or3_b32 v5, v5, 0, 0
	v_cndmask_b32_e32 v0, 0x7fc0, v11, vcc_lo
	v_cmp_le_i64_e32 vcc_lo, s[6:7], v[1:2]
	v_add_co_u32 v1, s1, v1, s4
	s_delay_alu instid0(VALU_DEP_1) | instskip(NEXT) | instid1(VALU_DEP_4)
	v_add_co_ci_u32_e64 v2, s1, 0, v2, s1
	v_or3_b32 v6, 0, v0, v6
	s_or_b32 s0, vcc_lo, s0
	s_delay_alu instid0(SALU_CYCLE_1) | instskip(SKIP_4) | instid1(SALU_CYCLE_1)
	s_and_b32 s0, exec_lo, s0
	global_store_b64 v[3:4], v[5:6], off
	v_add_co_u32 v3, vcc_lo, v3, s3
	v_add_co_ci_u32_e32 v4, vcc_lo, 0, v4, vcc_lo
	s_or_b32 s2, s0, s2
	s_and_not1_b32 exec_lo, exec_lo, s2
	s_cbranch_execnz .LBB107_24
.LBB107_25:
	s_nop 0
	s_sendmsg sendmsg(MSG_DEALLOC_VGPRS)
	s_endpgm
	.section	.rodata,"a",@progbits
	.p2align	6, 0x0
	.amdhsa_kernel _ZN2at6native12_GLOBAL__N_125multi_tensor_apply_kernelINS1_28TensorListScalarListMetadataIfLi1EEENS1_25BinaryOpScalarListFunctorIN3c108BFloat16ELi1ELi1ELi0EEEJSt5minusIfEEEEvT_T0_DpT1_
		.amdhsa_group_segment_fixed_size 0
		.amdhsa_private_segment_fixed_size 0
		.amdhsa_kernarg_size 3784
		.amdhsa_user_sgpr_count 15
		.amdhsa_user_sgpr_dispatch_ptr 0
		.amdhsa_user_sgpr_queue_ptr 0
		.amdhsa_user_sgpr_kernarg_segment_ptr 1
		.amdhsa_user_sgpr_dispatch_id 0
		.amdhsa_user_sgpr_private_segment_size 0
		.amdhsa_wavefront_size32 1
		.amdhsa_uses_dynamic_stack 0
		.amdhsa_enable_private_segment 0
		.amdhsa_system_sgpr_workgroup_id_x 1
		.amdhsa_system_sgpr_workgroup_id_y 0
		.amdhsa_system_sgpr_workgroup_id_z 0
		.amdhsa_system_sgpr_workgroup_info 0
		.amdhsa_system_vgpr_workitem_id 0
		.amdhsa_next_free_vgpr 17
		.amdhsa_next_free_sgpr 21
		.amdhsa_reserve_vcc 1
		.amdhsa_float_round_mode_32 0
		.amdhsa_float_round_mode_16_64 0
		.amdhsa_float_denorm_mode_32 3
		.amdhsa_float_denorm_mode_16_64 3
		.amdhsa_dx10_clamp 1
		.amdhsa_ieee_mode 1
		.amdhsa_fp16_overflow 0
		.amdhsa_workgroup_processor_mode 1
		.amdhsa_memory_ordered 1
		.amdhsa_forward_progress 0
		.amdhsa_shared_vgpr_count 0
		.amdhsa_exception_fp_ieee_invalid_op 0
		.amdhsa_exception_fp_denorm_src 0
		.amdhsa_exception_fp_ieee_div_zero 0
		.amdhsa_exception_fp_ieee_overflow 0
		.amdhsa_exception_fp_ieee_underflow 0
		.amdhsa_exception_fp_ieee_inexact 0
		.amdhsa_exception_int_div_zero 0
	.end_amdhsa_kernel
	.section	.text._ZN2at6native12_GLOBAL__N_125multi_tensor_apply_kernelINS1_28TensorListScalarListMetadataIfLi1EEENS1_25BinaryOpScalarListFunctorIN3c108BFloat16ELi1ELi1ELi0EEEJSt5minusIfEEEEvT_T0_DpT1_,"axG",@progbits,_ZN2at6native12_GLOBAL__N_125multi_tensor_apply_kernelINS1_28TensorListScalarListMetadataIfLi1EEENS1_25BinaryOpScalarListFunctorIN3c108BFloat16ELi1ELi1ELi0EEEJSt5minusIfEEEEvT_T0_DpT1_,comdat
.Lfunc_end107:
	.size	_ZN2at6native12_GLOBAL__N_125multi_tensor_apply_kernelINS1_28TensorListScalarListMetadataIfLi1EEENS1_25BinaryOpScalarListFunctorIN3c108BFloat16ELi1ELi1ELi0EEEJSt5minusIfEEEEvT_T0_DpT1_, .Lfunc_end107-_ZN2at6native12_GLOBAL__N_125multi_tensor_apply_kernelINS1_28TensorListScalarListMetadataIfLi1EEENS1_25BinaryOpScalarListFunctorIN3c108BFloat16ELi1ELi1ELi0EEEJSt5minusIfEEEEvT_T0_DpT1_
                                        ; -- End function
	.section	.AMDGPU.csdata,"",@progbits
; Kernel info:
; codeLenInByte = 1580
; NumSgprs: 23
; NumVgprs: 17
; ScratchSize: 0
; MemoryBound: 0
; FloatMode: 240
; IeeeMode: 1
; LDSByteSize: 0 bytes/workgroup (compile time only)
; SGPRBlocks: 2
; VGPRBlocks: 2
; NumSGPRsForWavesPerEU: 23
; NumVGPRsForWavesPerEU: 17
; Occupancy: 16
; WaveLimiterHint : 0
; COMPUTE_PGM_RSRC2:SCRATCH_EN: 0
; COMPUTE_PGM_RSRC2:USER_SGPR: 15
; COMPUTE_PGM_RSRC2:TRAP_HANDLER: 0
; COMPUTE_PGM_RSRC2:TGID_X_EN: 1
; COMPUTE_PGM_RSRC2:TGID_Y_EN: 0
; COMPUTE_PGM_RSRC2:TGID_Z_EN: 0
; COMPUTE_PGM_RSRC2:TIDIG_COMP_CNT: 0
	.section	.text._ZN2at6native12_GLOBAL__N_125multi_tensor_apply_kernelINS1_28TensorListScalarListMetadataIhLi2EEENS1_25BinaryOpScalarListFunctorIhLi2ELi1ELi1EEEJSt5minusIhEEEEvT_T0_DpT1_,"axG",@progbits,_ZN2at6native12_GLOBAL__N_125multi_tensor_apply_kernelINS1_28TensorListScalarListMetadataIhLi2EEENS1_25BinaryOpScalarListFunctorIhLi2ELi1ELi1EEEJSt5minusIhEEEEvT_T0_DpT1_,comdat
	.globl	_ZN2at6native12_GLOBAL__N_125multi_tensor_apply_kernelINS1_28TensorListScalarListMetadataIhLi2EEENS1_25BinaryOpScalarListFunctorIhLi2ELi1ELi1EEEJSt5minusIhEEEEvT_T0_DpT1_ ; -- Begin function _ZN2at6native12_GLOBAL__N_125multi_tensor_apply_kernelINS1_28TensorListScalarListMetadataIhLi2EEENS1_25BinaryOpScalarListFunctorIhLi2ELi1ELi1EEEJSt5minusIhEEEEvT_T0_DpT1_
	.p2align	8
	.type	_ZN2at6native12_GLOBAL__N_125multi_tensor_apply_kernelINS1_28TensorListScalarListMetadataIhLi2EEENS1_25BinaryOpScalarListFunctorIhLi2ELi1ELi1EEEJSt5minusIhEEEEvT_T0_DpT1_,@function
_ZN2at6native12_GLOBAL__N_125multi_tensor_apply_kernelINS1_28TensorListScalarListMetadataIhLi2EEENS1_25BinaryOpScalarListFunctorIhLi2ELi1ELi1EEEJSt5minusIhEEEEvT_T0_DpT1_: ; @_ZN2at6native12_GLOBAL__N_125multi_tensor_apply_kernelINS1_28TensorListScalarListMetadataIhLi2EEENS1_25BinaryOpScalarListFunctorIhLi2ELi1ELi1EEEJSt5minusIhEEEEvT_T0_DpT1_
; %bb.0:
	v_mov_b32_e32 v1, s15
	s_mul_i32 s4, s15, 3
	s_mul_hi_u32 s5, s15, 3
	global_load_u8 v3, v1, s[0:1] offset:1600
	s_waitcnt vmcnt(0)
	v_add_co_u32 v1, s2, s0, v3
	s_delay_alu instid0(VALU_DEP_1)
	v_add_co_ci_u32_e64 v2, null, s1, 0, s2
	s_add_u32 s2, s0, s15
	s_addc_u32 s3, s1, 0
	s_add_u32 s2, s2, s4
	global_load_u8 v2, v[1:2], off offset:1536
	s_addc_u32 s3, s3, s5
	v_readfirstlane_b32 s4, v3
	s_load_b32 s6, s[2:3], 0x780
	s_delay_alu instid0(VALU_DEP_1)
	s_lshl_b32 s7, s4, 3
	s_clause 0x2
	s_load_b64 s[4:5], s[0:1], s7 offset:0x0
	s_load_b64 s[2:3], s[0:1], s7 offset:0x200
	;; [unrolled: 1-line block ×3, first 2 shown]
	s_waitcnt lgkmcnt(0)
	s_ashr_i32 s7, s6, 31
	s_delay_alu instid0(SALU_CYCLE_1) | instskip(NEXT) | instid1(SALU_CYCLE_1)
	s_lshl_b64 s[12:13], s[6:7], 16
	s_add_u32 s6, s4, s12
	s_addc_u32 s7, s5, s13
	s_add_u32 s14, s2, s12
	s_addc_u32 s15, s3, s13
	s_or_b64 s[10:11], s[8:9], s[6:7]
	s_delay_alu instid0(SALU_CYCLE_1) | instskip(NEXT) | instid1(SALU_CYCLE_1)
	s_or_b32 s10, s14, s10
	s_and_b32 s10, s10, 3
	s_sub_u32 s8, s8, s12
	s_subb_u32 s9, s9, s13
	s_cmp_eq_u32 s10, 0
	s_mov_b32 s10, -1
	s_cbranch_scc1 .LBB108_21
; %bb.1:
	v_cmp_lt_i64_e64 s10, s[8:9], 1
	s_delay_alu instid0(VALU_DEP_1)
	s_and_b32 vcc_lo, exec_lo, s10
	s_cbranch_vccnz .LBB108_20
; %bb.2:
	s_load_b32 s10, s[0:1], 0xc94
	v_add_co_u32 v16, s11, s12, v0
	s_delay_alu instid0(VALU_DEP_1) | instskip(SKIP_1) | instid1(VALU_DEP_3)
	v_add_co_ci_u32_e64 v17, null, s13, 0, s11
	v_cmp_gt_u64_e64 s11, 0x10000, s[8:9]
	v_add_co_u32 v1, vcc_lo, s4, v16
	s_delay_alu instid0(VALU_DEP_3)
	v_add_co_ci_u32_e32 v3, vcc_lo, s5, v17, vcc_lo
	v_add_co_u32 v4, vcc_lo, s2, v16
	v_add_co_ci_u32_e32 v5, vcc_lo, s3, v17, vcc_lo
	s_waitcnt lgkmcnt(0)
	s_and_b32 s17, s10, 0xffff
	s_and_b32 s10, s11, exec_lo
	s_mul_i32 s19, s17, 3
	s_cselect_b32 s11, s9, 0
	s_cselect_b32 s10, s8, 0x10000
	s_lshl_b32 s18, s17, 1
	s_lshl_b32 s16, s17, 2
	s_add_u32 s20, s12, s19
	s_addc_u32 s21, s13, 0
	v_add_co_u32 v8, s20, s20, v0
	s_delay_alu instid0(VALU_DEP_1) | instskip(SKIP_1) | instid1(VALU_DEP_2)
	v_add_co_ci_u32_e64 v9, null, s21, 0, s20
	s_add_u32 s12, s12, s18
	v_add_co_u32 v6, vcc_lo, s4, v8
	s_addc_u32 s13, s13, 0
	v_add_co_u32 v14, s12, s12, v0
	v_add_co_ci_u32_e32 v7, vcc_lo, s5, v9, vcc_lo
	v_add_co_u32 v8, vcc_lo, s2, v8
	v_add_co_ci_u32_e64 v15, null, s13, 0, s12
	v_add_co_ci_u32_e32 v9, vcc_lo, s3, v9, vcc_lo
	v_add_co_u32 v12, vcc_lo, s4, v14
	s_delay_alu instid0(VALU_DEP_3)
	v_add_co_ci_u32_e32 v13, vcc_lo, s5, v15, vcc_lo
	v_add_co_u32 v14, vcc_lo, s2, v14
	v_add_co_ci_u32_e32 v15, vcc_lo, s3, v15, vcc_lo
	v_add_co_u32 v20, vcc_lo, v16, s17
	v_add_co_ci_u32_e32 v21, vcc_lo, 0, v17, vcc_lo
	v_add_co_u32 v10, s12, s19, v0
	s_delay_alu instid0(VALU_DEP_3) | instskip(NEXT) | instid1(VALU_DEP_3)
	v_add_co_u32 v18, vcc_lo, s4, v20
	v_add_co_ci_u32_e32 v19, vcc_lo, s5, v21, vcc_lo
	v_add_co_ci_u32_e64 v11, null, 0, 0, s12
	v_add_co_u32 v16, s12, s18, v0
	v_add_co_u32 v20, vcc_lo, s2, v20
	v_add_co_u32 v22, s2, v0, s17
	v_add_co_ci_u32_e64 v17, null, 0, 0, s12
	v_add_co_ci_u32_e32 v21, vcc_lo, s3, v21, vcc_lo
	v_add_co_ci_u32_e64 v23, null, 0, 0, s2
	s_mov_b64 s[12:13], 0
	s_branch .LBB108_4
.LBB108_3:                              ;   in Loop: Header=BB108_4 Depth=1
	s_or_b32 exec_lo, exec_lo, s2
	s_add_u32 s12, s12, s16
	s_addc_u32 s13, s13, 0
	s_delay_alu instid0(SALU_CYCLE_1) | instskip(SKIP_1) | instid1(VALU_DEP_1)
	v_cmp_lt_i64_e64 s2, s[12:13], s[8:9]
	v_cmp_gt_u64_e64 s3, 0x10000, s[12:13]
	s_and_b32 s2, s2, s3
	s_delay_alu instid0(SALU_CYCLE_1)
	s_and_b32 vcc_lo, exec_lo, s2
	s_cbranch_vccz .LBB108_20
.LBB108_4:                              ; =>This Inner Loop Header: Depth=1
	s_waitcnt vmcnt(0)
	v_add_co_u32 v24, s2, v0, s12
	s_delay_alu instid0(VALU_DEP_1) | instskip(NEXT) | instid1(VALU_DEP_1)
	v_add_co_ci_u32_e64 v25, null, 0, s13, s2
	v_cmp_gt_u64_e32 vcc_lo, s[10:11], v[24:25]
	v_mov_b32_e32 v24, 0
	s_and_saveexec_b32 s3, vcc_lo
	s_cbranch_execz .LBB108_6
; %bb.5:                                ;   in Loop: Header=BB108_4 Depth=1
	v_add_co_u32 v24, s2, v1, s12
	s_delay_alu instid0(VALU_DEP_1)
	v_add_co_ci_u32_e64 v25, s2, s13, v3, s2
	global_load_u8 v24, v[24:25], off
.LBB108_6:                              ;   in Loop: Header=BB108_4 Depth=1
	s_or_b32 exec_lo, exec_lo, s3
	v_add_co_u32 v25, s2, v22, s12
	s_delay_alu instid0(VALU_DEP_1) | instskip(NEXT) | instid1(VALU_DEP_1)
	v_add_co_ci_u32_e64 v26, s2, s13, v23, s2
	v_cmp_gt_u64_e64 s2, s[10:11], v[25:26]
	v_mov_b32_e32 v26, 0
	s_delay_alu instid0(VALU_DEP_2)
	s_and_saveexec_b32 s4, s2
	s_cbranch_execz .LBB108_8
; %bb.7:                                ;   in Loop: Header=BB108_4 Depth=1
	v_add_co_u32 v25, s3, v18, s12
	s_delay_alu instid0(VALU_DEP_1)
	v_add_co_ci_u32_e64 v26, s3, s13, v19, s3
	global_load_u8 v26, v[25:26], off
.LBB108_8:                              ;   in Loop: Header=BB108_4 Depth=1
	s_or_b32 exec_lo, exec_lo, s4
	v_add_co_u32 v27, s3, v16, s12
	s_delay_alu instid0(VALU_DEP_1) | instskip(SKIP_1) | instid1(VALU_DEP_2)
	v_add_co_ci_u32_e64 v28, s3, s13, v17, s3
	v_mov_b32_e32 v25, 0
	v_cmp_gt_u64_e64 s3, s[10:11], v[27:28]
	v_mov_b32_e32 v27, 0
	s_delay_alu instid0(VALU_DEP_2)
	s_and_saveexec_b32 s5, s3
	s_cbranch_execz .LBB108_10
; %bb.9:                                ;   in Loop: Header=BB108_4 Depth=1
	v_add_co_u32 v27, s4, v12, s12
	s_delay_alu instid0(VALU_DEP_1)
	v_add_co_ci_u32_e64 v28, s4, s13, v13, s4
	global_load_u8 v27, v[27:28], off
.LBB108_10:                             ;   in Loop: Header=BB108_4 Depth=1
	s_or_b32 exec_lo, exec_lo, s5
	v_add_co_u32 v28, s4, v10, s12
	s_delay_alu instid0(VALU_DEP_1) | instskip(NEXT) | instid1(VALU_DEP_1)
	v_add_co_ci_u32_e64 v29, s4, s13, v11, s4
	v_cmp_gt_u64_e64 s4, s[10:11], v[28:29]
	s_delay_alu instid0(VALU_DEP_1)
	s_and_saveexec_b32 s17, s4
	s_cbranch_execnz .LBB108_15
; %bb.11:                               ;   in Loop: Header=BB108_4 Depth=1
	s_or_b32 exec_lo, exec_lo, s17
	s_and_saveexec_b32 s5, vcc_lo
	s_cbranch_execnz .LBB108_16
.LBB108_12:                             ;   in Loop: Header=BB108_4 Depth=1
	s_or_b32 exec_lo, exec_lo, s5
	s_and_saveexec_b32 s5, s2
	s_cbranch_execnz .LBB108_17
.LBB108_13:                             ;   in Loop: Header=BB108_4 Depth=1
	s_or_b32 exec_lo, exec_lo, s5
	s_and_saveexec_b32 s2, s3
	s_cbranch_execnz .LBB108_18
.LBB108_14:                             ;   in Loop: Header=BB108_4 Depth=1
	s_or_b32 exec_lo, exec_lo, s2
	s_and_saveexec_b32 s2, s4
	s_cbranch_execz .LBB108_3
	s_branch .LBB108_19
.LBB108_15:                             ;   in Loop: Header=BB108_4 Depth=1
	v_add_co_u32 v28, s5, v6, s12
	s_delay_alu instid0(VALU_DEP_1)
	v_add_co_ci_u32_e64 v29, s5, s13, v7, s5
	global_load_u8 v25, v[28:29], off
	s_or_b32 exec_lo, exec_lo, s17
	s_and_saveexec_b32 s5, vcc_lo
	s_cbranch_execz .LBB108_12
.LBB108_16:                             ;   in Loop: Header=BB108_4 Depth=1
	v_add_co_u32 v28, vcc_lo, v4, s12
	s_waitcnt vmcnt(0)
	v_sub_nc_u16 v24, v24, v2
	v_add_co_ci_u32_e32 v29, vcc_lo, s13, v5, vcc_lo
	global_store_b8 v[28:29], v24, off
	s_or_b32 exec_lo, exec_lo, s5
	s_and_saveexec_b32 s5, s2
	s_cbranch_execz .LBB108_13
.LBB108_17:                             ;   in Loop: Header=BB108_4 Depth=1
	v_add_co_u32 v28, vcc_lo, v20, s12
	s_waitcnt vmcnt(0)
	v_sub_nc_u16 v24, v26, v2
	v_add_co_ci_u32_e32 v29, vcc_lo, s13, v21, vcc_lo
	global_store_b8 v[28:29], v24, off
	s_or_b32 exec_lo, exec_lo, s5
	s_and_saveexec_b32 s2, s3
	s_cbranch_execz .LBB108_14
.LBB108_18:                             ;   in Loop: Header=BB108_4 Depth=1
	s_waitcnt vmcnt(0)
	v_add_co_u32 v26, vcc_lo, v14, s12
	v_sub_nc_u16 v24, v27, v2
	v_add_co_ci_u32_e32 v27, vcc_lo, s13, v15, vcc_lo
	global_store_b8 v[26:27], v24, off
	s_or_b32 exec_lo, exec_lo, s2
	s_and_saveexec_b32 s2, s4
	s_cbranch_execz .LBB108_3
.LBB108_19:                             ;   in Loop: Header=BB108_4 Depth=1
	s_waitcnt vmcnt(0)
	v_add_co_u32 v24, vcc_lo, v8, s12
	v_sub_nc_u16 v26, v25, v2
	v_add_co_ci_u32_e32 v25, vcc_lo, s13, v9, vcc_lo
	global_store_b8 v[24:25], v26, off
	s_branch .LBB108_3
.LBB108_20:
	s_mov_b32 s10, 0
.LBB108_21:
	s_delay_alu instid0(SALU_CYCLE_1)
	s_and_not1_b32 vcc_lo, exec_lo, s10
	s_cbranch_vccnz .LBB108_25
; %bb.22:
	v_dual_mov_b32 v1, 0 :: v_dual_lshlrev_b32 v0, 2, v0
	s_mov_b32 s2, exec_lo
	s_delay_alu instid0(VALU_DEP_1)
	v_cmpx_gt_i64_e64 s[8:9], v[0:1]
	s_cbranch_execz .LBB108_25
; %bb.23:
	s_load_b32 s0, s[0:1], 0xc94
	s_mov_b32 s2, 0
	s_waitcnt lgkmcnt(0)
	s_and_b32 s0, s0, 0xffff
	s_delay_alu instid0(SALU_CYCLE_1)
	s_lshl_b32 s1, s0, 2
	s_set_inst_prefetch_distance 0x1
	.p2align	6
.LBB108_24:                             ; =>This Inner Loop Header: Depth=1
	v_add_co_u32 v3, vcc_lo, s6, v0
	v_add_co_ci_u32_e32 v4, vcc_lo, s7, v1, vcc_lo
	global_load_b32 v5, v[3:4], off
	v_add_co_u32 v3, vcc_lo, s14, v0
	v_add_co_ci_u32_e32 v4, vcc_lo, s15, v1, vcc_lo
	v_add_co_u32 v0, vcc_lo, s1, v0
	v_add_co_ci_u32_e32 v1, vcc_lo, 0, v1, vcc_lo
	s_delay_alu instid0(VALU_DEP_1) | instskip(SKIP_1) | instid1(VALU_DEP_1)
	v_cmp_le_i64_e32 vcc_lo, s[8:9], v[0:1]
	v_cmp_lt_u64_e64 s0, 0xffff, v[0:1]
	s_or_b32 s0, vcc_lo, s0
	s_delay_alu instid0(SALU_CYCLE_1) | instskip(NEXT) | instid1(SALU_CYCLE_1)
	s_and_b32 s0, exec_lo, s0
	s_or_b32 s2, s0, s2
	s_waitcnt vmcnt(0)
	v_lshrrev_b32_e32 v6, 16, v5
	v_lshrrev_b32_e32 v7, 8, v5
	;; [unrolled: 1-line block ×3, first 2 shown]
	v_sub_nc_u16 v5, v5, v2
	s_delay_alu instid0(VALU_DEP_4) | instskip(NEXT) | instid1(VALU_DEP_4)
	v_sub_nc_u16 v6, v6, v2
	v_sub_nc_u16 v7, v7, v2
	s_delay_alu instid0(VALU_DEP_4) | instskip(NEXT) | instid1(VALU_DEP_4)
	v_sub_nc_u16 v8, v8, v2
	v_and_b32_e32 v5, 0xff, v5
	s_delay_alu instid0(VALU_DEP_4) | instskip(NEXT) | instid1(VALU_DEP_4)
	v_and_b32_e32 v6, 0xff, v6
	v_and_b32_e32 v7, 0xff, v7
	s_delay_alu instid0(VALU_DEP_2) | instskip(NEXT) | instid1(VALU_DEP_2)
	v_lshlrev_b32_e32 v6, 16, v6
	v_lshlrev_b32_e32 v7, 8, v7
	s_delay_alu instid0(VALU_DEP_2) | instskip(NEXT) | instid1(VALU_DEP_1)
	v_lshl_or_b32 v6, v8, 24, v6
	v_or3_b32 v5, v6, v7, v5
	global_store_b32 v[3:4], v5, off
	s_and_not1_b32 exec_lo, exec_lo, s2
	s_cbranch_execnz .LBB108_24
.LBB108_25:
	s_set_inst_prefetch_distance 0x2
	s_nop 0
	s_sendmsg sendmsg(MSG_DEALLOC_VGPRS)
	s_endpgm
	.section	.rodata,"a",@progbits
	.p2align	6, 0x0
	.amdhsa_kernel _ZN2at6native12_GLOBAL__N_125multi_tensor_apply_kernelINS1_28TensorListScalarListMetadataIhLi2EEENS1_25BinaryOpScalarListFunctorIhLi2ELi1ELi1EEEJSt5minusIhEEEEvT_T0_DpT1_
		.amdhsa_group_segment_fixed_size 0
		.amdhsa_private_segment_fixed_size 0
		.amdhsa_kernarg_size 3464
		.amdhsa_user_sgpr_count 15
		.amdhsa_user_sgpr_dispatch_ptr 0
		.amdhsa_user_sgpr_queue_ptr 0
		.amdhsa_user_sgpr_kernarg_segment_ptr 1
		.amdhsa_user_sgpr_dispatch_id 0
		.amdhsa_user_sgpr_private_segment_size 0
		.amdhsa_wavefront_size32 1
		.amdhsa_uses_dynamic_stack 0
		.amdhsa_enable_private_segment 0
		.amdhsa_system_sgpr_workgroup_id_x 1
		.amdhsa_system_sgpr_workgroup_id_y 0
		.amdhsa_system_sgpr_workgroup_id_z 0
		.amdhsa_system_sgpr_workgroup_info 0
		.amdhsa_system_vgpr_workitem_id 0
		.amdhsa_next_free_vgpr 30
		.amdhsa_next_free_sgpr 22
		.amdhsa_reserve_vcc 1
		.amdhsa_float_round_mode_32 0
		.amdhsa_float_round_mode_16_64 0
		.amdhsa_float_denorm_mode_32 3
		.amdhsa_float_denorm_mode_16_64 3
		.amdhsa_dx10_clamp 1
		.amdhsa_ieee_mode 1
		.amdhsa_fp16_overflow 0
		.amdhsa_workgroup_processor_mode 1
		.amdhsa_memory_ordered 1
		.amdhsa_forward_progress 0
		.amdhsa_shared_vgpr_count 0
		.amdhsa_exception_fp_ieee_invalid_op 0
		.amdhsa_exception_fp_denorm_src 0
		.amdhsa_exception_fp_ieee_div_zero 0
		.amdhsa_exception_fp_ieee_overflow 0
		.amdhsa_exception_fp_ieee_underflow 0
		.amdhsa_exception_fp_ieee_inexact 0
		.amdhsa_exception_int_div_zero 0
	.end_amdhsa_kernel
	.section	.text._ZN2at6native12_GLOBAL__N_125multi_tensor_apply_kernelINS1_28TensorListScalarListMetadataIhLi2EEENS1_25BinaryOpScalarListFunctorIhLi2ELi1ELi1EEEJSt5minusIhEEEEvT_T0_DpT1_,"axG",@progbits,_ZN2at6native12_GLOBAL__N_125multi_tensor_apply_kernelINS1_28TensorListScalarListMetadataIhLi2EEENS1_25BinaryOpScalarListFunctorIhLi2ELi1ELi1EEEJSt5minusIhEEEEvT_T0_DpT1_,comdat
.Lfunc_end108:
	.size	_ZN2at6native12_GLOBAL__N_125multi_tensor_apply_kernelINS1_28TensorListScalarListMetadataIhLi2EEENS1_25BinaryOpScalarListFunctorIhLi2ELi1ELi1EEEJSt5minusIhEEEEvT_T0_DpT1_, .Lfunc_end108-_ZN2at6native12_GLOBAL__N_125multi_tensor_apply_kernelINS1_28TensorListScalarListMetadataIhLi2EEENS1_25BinaryOpScalarListFunctorIhLi2ELi1ELi1EEEJSt5minusIhEEEEvT_T0_DpT1_
                                        ; -- End function
	.section	.AMDGPU.csdata,"",@progbits
; Kernel info:
; codeLenInByte = 1400
; NumSgprs: 24
; NumVgprs: 30
; ScratchSize: 0
; MemoryBound: 0
; FloatMode: 240
; IeeeMode: 1
; LDSByteSize: 0 bytes/workgroup (compile time only)
; SGPRBlocks: 2
; VGPRBlocks: 3
; NumSGPRsForWavesPerEU: 24
; NumVGPRsForWavesPerEU: 30
; Occupancy: 16
; WaveLimiterHint : 0
; COMPUTE_PGM_RSRC2:SCRATCH_EN: 0
; COMPUTE_PGM_RSRC2:USER_SGPR: 15
; COMPUTE_PGM_RSRC2:TRAP_HANDLER: 0
; COMPUTE_PGM_RSRC2:TGID_X_EN: 1
; COMPUTE_PGM_RSRC2:TGID_Y_EN: 0
; COMPUTE_PGM_RSRC2:TGID_Z_EN: 0
; COMPUTE_PGM_RSRC2:TIDIG_COMP_CNT: 0
	.section	.text._ZN2at6native12_GLOBAL__N_125multi_tensor_apply_kernelINS1_28TensorListScalarListMetadataIaLi2EEENS1_25BinaryOpScalarListFunctorIaLi2ELi1ELi1EEEJSt5minusIaEEEEvT_T0_DpT1_,"axG",@progbits,_ZN2at6native12_GLOBAL__N_125multi_tensor_apply_kernelINS1_28TensorListScalarListMetadataIaLi2EEENS1_25BinaryOpScalarListFunctorIaLi2ELi1ELi1EEEJSt5minusIaEEEEvT_T0_DpT1_,comdat
	.globl	_ZN2at6native12_GLOBAL__N_125multi_tensor_apply_kernelINS1_28TensorListScalarListMetadataIaLi2EEENS1_25BinaryOpScalarListFunctorIaLi2ELi1ELi1EEEJSt5minusIaEEEEvT_T0_DpT1_ ; -- Begin function _ZN2at6native12_GLOBAL__N_125multi_tensor_apply_kernelINS1_28TensorListScalarListMetadataIaLi2EEENS1_25BinaryOpScalarListFunctorIaLi2ELi1ELi1EEEJSt5minusIaEEEEvT_T0_DpT1_
	.p2align	8
	.type	_ZN2at6native12_GLOBAL__N_125multi_tensor_apply_kernelINS1_28TensorListScalarListMetadataIaLi2EEENS1_25BinaryOpScalarListFunctorIaLi2ELi1ELi1EEEJSt5minusIaEEEEvT_T0_DpT1_,@function
_ZN2at6native12_GLOBAL__N_125multi_tensor_apply_kernelINS1_28TensorListScalarListMetadataIaLi2EEENS1_25BinaryOpScalarListFunctorIaLi2ELi1ELi1EEEJSt5minusIaEEEEvT_T0_DpT1_: ; @_ZN2at6native12_GLOBAL__N_125multi_tensor_apply_kernelINS1_28TensorListScalarListMetadataIaLi2EEENS1_25BinaryOpScalarListFunctorIaLi2ELi1ELi1EEEJSt5minusIaEEEEvT_T0_DpT1_
; %bb.0:
	v_mov_b32_e32 v1, s15
	s_mul_i32 s4, s15, 3
	s_mul_hi_u32 s5, s15, 3
	global_load_u8 v3, v1, s[0:1] offset:1600
	s_waitcnt vmcnt(0)
	v_add_co_u32 v1, s2, s0, v3
	s_delay_alu instid0(VALU_DEP_1)
	v_add_co_ci_u32_e64 v2, null, s1, 0, s2
	s_add_u32 s2, s0, s15
	s_addc_u32 s3, s1, 0
	s_add_u32 s2, s2, s4
	global_load_u8 v2, v[1:2], off offset:1536
	s_addc_u32 s3, s3, s5
	v_readfirstlane_b32 s4, v3
	s_load_b32 s6, s[2:3], 0x780
	s_delay_alu instid0(VALU_DEP_1)
	s_lshl_b32 s7, s4, 3
	s_clause 0x2
	s_load_b64 s[4:5], s[0:1], s7 offset:0x0
	s_load_b64 s[2:3], s[0:1], s7 offset:0x200
	;; [unrolled: 1-line block ×3, first 2 shown]
	s_waitcnt lgkmcnt(0)
	s_ashr_i32 s7, s6, 31
	s_delay_alu instid0(SALU_CYCLE_1) | instskip(NEXT) | instid1(SALU_CYCLE_1)
	s_lshl_b64 s[12:13], s[6:7], 16
	s_add_u32 s6, s4, s12
	s_addc_u32 s7, s5, s13
	s_add_u32 s14, s2, s12
	s_addc_u32 s15, s3, s13
	s_or_b64 s[10:11], s[8:9], s[6:7]
	s_delay_alu instid0(SALU_CYCLE_1) | instskip(NEXT) | instid1(SALU_CYCLE_1)
	s_or_b32 s10, s14, s10
	s_and_b32 s10, s10, 3
	s_sub_u32 s8, s8, s12
	s_subb_u32 s9, s9, s13
	s_cmp_eq_u32 s10, 0
	s_mov_b32 s10, -1
	s_cbranch_scc1 .LBB109_21
; %bb.1:
	v_cmp_lt_i64_e64 s10, s[8:9], 1
	s_delay_alu instid0(VALU_DEP_1)
	s_and_b32 vcc_lo, exec_lo, s10
	s_cbranch_vccnz .LBB109_20
; %bb.2:
	s_load_b32 s10, s[0:1], 0xc94
	v_add_co_u32 v16, s11, s12, v0
	s_delay_alu instid0(VALU_DEP_1) | instskip(SKIP_1) | instid1(VALU_DEP_3)
	v_add_co_ci_u32_e64 v17, null, s13, 0, s11
	v_cmp_gt_u64_e64 s11, 0x10000, s[8:9]
	v_add_co_u32 v1, vcc_lo, s4, v16
	s_delay_alu instid0(VALU_DEP_3)
	v_add_co_ci_u32_e32 v3, vcc_lo, s5, v17, vcc_lo
	v_add_co_u32 v4, vcc_lo, s2, v16
	v_add_co_ci_u32_e32 v5, vcc_lo, s3, v17, vcc_lo
	s_waitcnt lgkmcnt(0)
	s_and_b32 s17, s10, 0xffff
	s_and_b32 s10, s11, exec_lo
	s_mul_i32 s19, s17, 3
	s_cselect_b32 s11, s9, 0
	s_cselect_b32 s10, s8, 0x10000
	s_lshl_b32 s18, s17, 1
	s_lshl_b32 s16, s17, 2
	s_add_u32 s20, s12, s19
	s_addc_u32 s21, s13, 0
	v_add_co_u32 v8, s20, s20, v0
	s_delay_alu instid0(VALU_DEP_1) | instskip(SKIP_1) | instid1(VALU_DEP_2)
	v_add_co_ci_u32_e64 v9, null, s21, 0, s20
	s_add_u32 s12, s12, s18
	v_add_co_u32 v6, vcc_lo, s4, v8
	s_addc_u32 s13, s13, 0
	v_add_co_u32 v14, s12, s12, v0
	v_add_co_ci_u32_e32 v7, vcc_lo, s5, v9, vcc_lo
	v_add_co_u32 v8, vcc_lo, s2, v8
	v_add_co_ci_u32_e64 v15, null, s13, 0, s12
	v_add_co_ci_u32_e32 v9, vcc_lo, s3, v9, vcc_lo
	v_add_co_u32 v12, vcc_lo, s4, v14
	s_delay_alu instid0(VALU_DEP_3)
	v_add_co_ci_u32_e32 v13, vcc_lo, s5, v15, vcc_lo
	v_add_co_u32 v14, vcc_lo, s2, v14
	v_add_co_ci_u32_e32 v15, vcc_lo, s3, v15, vcc_lo
	v_add_co_u32 v20, vcc_lo, v16, s17
	v_add_co_ci_u32_e32 v21, vcc_lo, 0, v17, vcc_lo
	v_add_co_u32 v10, s12, s19, v0
	s_delay_alu instid0(VALU_DEP_3) | instskip(NEXT) | instid1(VALU_DEP_3)
	v_add_co_u32 v18, vcc_lo, s4, v20
	v_add_co_ci_u32_e32 v19, vcc_lo, s5, v21, vcc_lo
	v_add_co_ci_u32_e64 v11, null, 0, 0, s12
	v_add_co_u32 v16, s12, s18, v0
	v_add_co_u32 v20, vcc_lo, s2, v20
	v_add_co_u32 v22, s2, v0, s17
	v_add_co_ci_u32_e64 v17, null, 0, 0, s12
	v_add_co_ci_u32_e32 v21, vcc_lo, s3, v21, vcc_lo
	v_add_co_ci_u32_e64 v23, null, 0, 0, s2
	s_mov_b64 s[12:13], 0
	s_branch .LBB109_4
.LBB109_3:                              ;   in Loop: Header=BB109_4 Depth=1
	s_or_b32 exec_lo, exec_lo, s2
	s_add_u32 s12, s12, s16
	s_addc_u32 s13, s13, 0
	s_delay_alu instid0(SALU_CYCLE_1) | instskip(SKIP_1) | instid1(VALU_DEP_1)
	v_cmp_lt_i64_e64 s2, s[12:13], s[8:9]
	v_cmp_gt_u64_e64 s3, 0x10000, s[12:13]
	s_and_b32 s2, s2, s3
	s_delay_alu instid0(SALU_CYCLE_1)
	s_and_b32 vcc_lo, exec_lo, s2
	s_cbranch_vccz .LBB109_20
.LBB109_4:                              ; =>This Inner Loop Header: Depth=1
	s_waitcnt vmcnt(0)
	v_add_co_u32 v24, s2, v0, s12
	s_delay_alu instid0(VALU_DEP_1) | instskip(NEXT) | instid1(VALU_DEP_1)
	v_add_co_ci_u32_e64 v25, null, 0, s13, s2
	v_cmp_gt_u64_e32 vcc_lo, s[10:11], v[24:25]
	v_mov_b32_e32 v24, 0
	s_and_saveexec_b32 s3, vcc_lo
	s_cbranch_execz .LBB109_6
; %bb.5:                                ;   in Loop: Header=BB109_4 Depth=1
	v_add_co_u32 v24, s2, v1, s12
	s_delay_alu instid0(VALU_DEP_1)
	v_add_co_ci_u32_e64 v25, s2, s13, v3, s2
	global_load_u8 v24, v[24:25], off
.LBB109_6:                              ;   in Loop: Header=BB109_4 Depth=1
	s_or_b32 exec_lo, exec_lo, s3
	v_add_co_u32 v25, s2, v22, s12
	s_delay_alu instid0(VALU_DEP_1) | instskip(NEXT) | instid1(VALU_DEP_1)
	v_add_co_ci_u32_e64 v26, s2, s13, v23, s2
	v_cmp_gt_u64_e64 s2, s[10:11], v[25:26]
	v_mov_b32_e32 v26, 0
	s_delay_alu instid0(VALU_DEP_2)
	s_and_saveexec_b32 s4, s2
	s_cbranch_execz .LBB109_8
; %bb.7:                                ;   in Loop: Header=BB109_4 Depth=1
	v_add_co_u32 v25, s3, v18, s12
	s_delay_alu instid0(VALU_DEP_1)
	v_add_co_ci_u32_e64 v26, s3, s13, v19, s3
	global_load_u8 v26, v[25:26], off
.LBB109_8:                              ;   in Loop: Header=BB109_4 Depth=1
	s_or_b32 exec_lo, exec_lo, s4
	v_add_co_u32 v27, s3, v16, s12
	s_delay_alu instid0(VALU_DEP_1) | instskip(SKIP_1) | instid1(VALU_DEP_2)
	v_add_co_ci_u32_e64 v28, s3, s13, v17, s3
	v_mov_b32_e32 v25, 0
	v_cmp_gt_u64_e64 s3, s[10:11], v[27:28]
	v_mov_b32_e32 v27, 0
	s_delay_alu instid0(VALU_DEP_2)
	s_and_saveexec_b32 s5, s3
	s_cbranch_execz .LBB109_10
; %bb.9:                                ;   in Loop: Header=BB109_4 Depth=1
	v_add_co_u32 v27, s4, v12, s12
	s_delay_alu instid0(VALU_DEP_1)
	v_add_co_ci_u32_e64 v28, s4, s13, v13, s4
	global_load_u8 v27, v[27:28], off
.LBB109_10:                             ;   in Loop: Header=BB109_4 Depth=1
	s_or_b32 exec_lo, exec_lo, s5
	v_add_co_u32 v28, s4, v10, s12
	s_delay_alu instid0(VALU_DEP_1) | instskip(NEXT) | instid1(VALU_DEP_1)
	v_add_co_ci_u32_e64 v29, s4, s13, v11, s4
	v_cmp_gt_u64_e64 s4, s[10:11], v[28:29]
	s_delay_alu instid0(VALU_DEP_1)
	s_and_saveexec_b32 s17, s4
	s_cbranch_execnz .LBB109_15
; %bb.11:                               ;   in Loop: Header=BB109_4 Depth=1
	s_or_b32 exec_lo, exec_lo, s17
	s_and_saveexec_b32 s5, vcc_lo
	s_cbranch_execnz .LBB109_16
.LBB109_12:                             ;   in Loop: Header=BB109_4 Depth=1
	s_or_b32 exec_lo, exec_lo, s5
	s_and_saveexec_b32 s5, s2
	s_cbranch_execnz .LBB109_17
.LBB109_13:                             ;   in Loop: Header=BB109_4 Depth=1
	s_or_b32 exec_lo, exec_lo, s5
	s_and_saveexec_b32 s2, s3
	s_cbranch_execnz .LBB109_18
.LBB109_14:                             ;   in Loop: Header=BB109_4 Depth=1
	s_or_b32 exec_lo, exec_lo, s2
	s_and_saveexec_b32 s2, s4
	s_cbranch_execz .LBB109_3
	s_branch .LBB109_19
.LBB109_15:                             ;   in Loop: Header=BB109_4 Depth=1
	v_add_co_u32 v28, s5, v6, s12
	s_delay_alu instid0(VALU_DEP_1)
	v_add_co_ci_u32_e64 v29, s5, s13, v7, s5
	global_load_u8 v25, v[28:29], off
	s_or_b32 exec_lo, exec_lo, s17
	s_and_saveexec_b32 s5, vcc_lo
	s_cbranch_execz .LBB109_12
.LBB109_16:                             ;   in Loop: Header=BB109_4 Depth=1
	v_add_co_u32 v28, vcc_lo, v4, s12
	s_waitcnt vmcnt(0)
	v_sub_nc_u16 v24, v24, v2
	v_add_co_ci_u32_e32 v29, vcc_lo, s13, v5, vcc_lo
	global_store_b8 v[28:29], v24, off
	s_or_b32 exec_lo, exec_lo, s5
	s_and_saveexec_b32 s5, s2
	s_cbranch_execz .LBB109_13
.LBB109_17:                             ;   in Loop: Header=BB109_4 Depth=1
	v_add_co_u32 v28, vcc_lo, v20, s12
	s_waitcnt vmcnt(0)
	v_sub_nc_u16 v24, v26, v2
	v_add_co_ci_u32_e32 v29, vcc_lo, s13, v21, vcc_lo
	global_store_b8 v[28:29], v24, off
	s_or_b32 exec_lo, exec_lo, s5
	s_and_saveexec_b32 s2, s3
	s_cbranch_execz .LBB109_14
.LBB109_18:                             ;   in Loop: Header=BB109_4 Depth=1
	s_waitcnt vmcnt(0)
	v_add_co_u32 v26, vcc_lo, v14, s12
	v_sub_nc_u16 v24, v27, v2
	v_add_co_ci_u32_e32 v27, vcc_lo, s13, v15, vcc_lo
	global_store_b8 v[26:27], v24, off
	s_or_b32 exec_lo, exec_lo, s2
	s_and_saveexec_b32 s2, s4
	s_cbranch_execz .LBB109_3
.LBB109_19:                             ;   in Loop: Header=BB109_4 Depth=1
	s_waitcnt vmcnt(0)
	v_add_co_u32 v24, vcc_lo, v8, s12
	v_sub_nc_u16 v26, v25, v2
	v_add_co_ci_u32_e32 v25, vcc_lo, s13, v9, vcc_lo
	global_store_b8 v[24:25], v26, off
	s_branch .LBB109_3
.LBB109_20:
	s_mov_b32 s10, 0
.LBB109_21:
	s_delay_alu instid0(SALU_CYCLE_1)
	s_and_not1_b32 vcc_lo, exec_lo, s10
	s_cbranch_vccnz .LBB109_25
; %bb.22:
	v_dual_mov_b32 v1, 0 :: v_dual_lshlrev_b32 v0, 2, v0
	s_mov_b32 s2, exec_lo
	s_delay_alu instid0(VALU_DEP_1)
	v_cmpx_gt_i64_e64 s[8:9], v[0:1]
	s_cbranch_execz .LBB109_25
; %bb.23:
	s_load_b32 s0, s[0:1], 0xc94
	s_mov_b32 s2, 0
	s_waitcnt lgkmcnt(0)
	s_and_b32 s0, s0, 0xffff
	s_delay_alu instid0(SALU_CYCLE_1)
	s_lshl_b32 s1, s0, 2
	s_set_inst_prefetch_distance 0x1
	.p2align	6
.LBB109_24:                             ; =>This Inner Loop Header: Depth=1
	v_add_co_u32 v3, vcc_lo, s6, v0
	v_add_co_ci_u32_e32 v4, vcc_lo, s7, v1, vcc_lo
	global_load_b32 v5, v[3:4], off
	v_add_co_u32 v3, vcc_lo, s14, v0
	v_add_co_ci_u32_e32 v4, vcc_lo, s15, v1, vcc_lo
	v_add_co_u32 v0, vcc_lo, s1, v0
	v_add_co_ci_u32_e32 v1, vcc_lo, 0, v1, vcc_lo
	s_delay_alu instid0(VALU_DEP_1) | instskip(SKIP_1) | instid1(VALU_DEP_1)
	v_cmp_le_i64_e32 vcc_lo, s[8:9], v[0:1]
	v_cmp_lt_u64_e64 s0, 0xffff, v[0:1]
	s_or_b32 s0, vcc_lo, s0
	s_delay_alu instid0(SALU_CYCLE_1) | instskip(NEXT) | instid1(SALU_CYCLE_1)
	s_and_b32 s0, exec_lo, s0
	s_or_b32 s2, s0, s2
	s_waitcnt vmcnt(0)
	v_lshrrev_b32_e32 v6, 16, v5
	v_lshrrev_b32_e32 v7, 8, v5
	;; [unrolled: 1-line block ×3, first 2 shown]
	v_sub_nc_u16 v5, v5, v2
	s_delay_alu instid0(VALU_DEP_4) | instskip(NEXT) | instid1(VALU_DEP_4)
	v_sub_nc_u16 v6, v6, v2
	v_sub_nc_u16 v7, v7, v2
	s_delay_alu instid0(VALU_DEP_4) | instskip(NEXT) | instid1(VALU_DEP_4)
	v_sub_nc_u16 v8, v8, v2
	v_and_b32_e32 v5, 0xff, v5
	s_delay_alu instid0(VALU_DEP_4) | instskip(NEXT) | instid1(VALU_DEP_4)
	v_and_b32_e32 v6, 0xff, v6
	v_and_b32_e32 v7, 0xff, v7
	s_delay_alu instid0(VALU_DEP_2) | instskip(NEXT) | instid1(VALU_DEP_2)
	v_lshlrev_b32_e32 v6, 16, v6
	v_lshlrev_b32_e32 v7, 8, v7
	s_delay_alu instid0(VALU_DEP_2) | instskip(NEXT) | instid1(VALU_DEP_1)
	v_lshl_or_b32 v6, v8, 24, v6
	v_or3_b32 v5, v6, v7, v5
	global_store_b32 v[3:4], v5, off
	s_and_not1_b32 exec_lo, exec_lo, s2
	s_cbranch_execnz .LBB109_24
.LBB109_25:
	s_set_inst_prefetch_distance 0x2
	s_nop 0
	s_sendmsg sendmsg(MSG_DEALLOC_VGPRS)
	s_endpgm
	.section	.rodata,"a",@progbits
	.p2align	6, 0x0
	.amdhsa_kernel _ZN2at6native12_GLOBAL__N_125multi_tensor_apply_kernelINS1_28TensorListScalarListMetadataIaLi2EEENS1_25BinaryOpScalarListFunctorIaLi2ELi1ELi1EEEJSt5minusIaEEEEvT_T0_DpT1_
		.amdhsa_group_segment_fixed_size 0
		.amdhsa_private_segment_fixed_size 0
		.amdhsa_kernarg_size 3464
		.amdhsa_user_sgpr_count 15
		.amdhsa_user_sgpr_dispatch_ptr 0
		.amdhsa_user_sgpr_queue_ptr 0
		.amdhsa_user_sgpr_kernarg_segment_ptr 1
		.amdhsa_user_sgpr_dispatch_id 0
		.amdhsa_user_sgpr_private_segment_size 0
		.amdhsa_wavefront_size32 1
		.amdhsa_uses_dynamic_stack 0
		.amdhsa_enable_private_segment 0
		.amdhsa_system_sgpr_workgroup_id_x 1
		.amdhsa_system_sgpr_workgroup_id_y 0
		.amdhsa_system_sgpr_workgroup_id_z 0
		.amdhsa_system_sgpr_workgroup_info 0
		.amdhsa_system_vgpr_workitem_id 0
		.amdhsa_next_free_vgpr 30
		.amdhsa_next_free_sgpr 22
		.amdhsa_reserve_vcc 1
		.amdhsa_float_round_mode_32 0
		.amdhsa_float_round_mode_16_64 0
		.amdhsa_float_denorm_mode_32 3
		.amdhsa_float_denorm_mode_16_64 3
		.amdhsa_dx10_clamp 1
		.amdhsa_ieee_mode 1
		.amdhsa_fp16_overflow 0
		.amdhsa_workgroup_processor_mode 1
		.amdhsa_memory_ordered 1
		.amdhsa_forward_progress 0
		.amdhsa_shared_vgpr_count 0
		.amdhsa_exception_fp_ieee_invalid_op 0
		.amdhsa_exception_fp_denorm_src 0
		.amdhsa_exception_fp_ieee_div_zero 0
		.amdhsa_exception_fp_ieee_overflow 0
		.amdhsa_exception_fp_ieee_underflow 0
		.amdhsa_exception_fp_ieee_inexact 0
		.amdhsa_exception_int_div_zero 0
	.end_amdhsa_kernel
	.section	.text._ZN2at6native12_GLOBAL__N_125multi_tensor_apply_kernelINS1_28TensorListScalarListMetadataIaLi2EEENS1_25BinaryOpScalarListFunctorIaLi2ELi1ELi1EEEJSt5minusIaEEEEvT_T0_DpT1_,"axG",@progbits,_ZN2at6native12_GLOBAL__N_125multi_tensor_apply_kernelINS1_28TensorListScalarListMetadataIaLi2EEENS1_25BinaryOpScalarListFunctorIaLi2ELi1ELi1EEEJSt5minusIaEEEEvT_T0_DpT1_,comdat
.Lfunc_end109:
	.size	_ZN2at6native12_GLOBAL__N_125multi_tensor_apply_kernelINS1_28TensorListScalarListMetadataIaLi2EEENS1_25BinaryOpScalarListFunctorIaLi2ELi1ELi1EEEJSt5minusIaEEEEvT_T0_DpT1_, .Lfunc_end109-_ZN2at6native12_GLOBAL__N_125multi_tensor_apply_kernelINS1_28TensorListScalarListMetadataIaLi2EEENS1_25BinaryOpScalarListFunctorIaLi2ELi1ELi1EEEJSt5minusIaEEEEvT_T0_DpT1_
                                        ; -- End function
	.section	.AMDGPU.csdata,"",@progbits
; Kernel info:
; codeLenInByte = 1400
; NumSgprs: 24
; NumVgprs: 30
; ScratchSize: 0
; MemoryBound: 0
; FloatMode: 240
; IeeeMode: 1
; LDSByteSize: 0 bytes/workgroup (compile time only)
; SGPRBlocks: 2
; VGPRBlocks: 3
; NumSGPRsForWavesPerEU: 24
; NumVGPRsForWavesPerEU: 30
; Occupancy: 16
; WaveLimiterHint : 0
; COMPUTE_PGM_RSRC2:SCRATCH_EN: 0
; COMPUTE_PGM_RSRC2:USER_SGPR: 15
; COMPUTE_PGM_RSRC2:TRAP_HANDLER: 0
; COMPUTE_PGM_RSRC2:TGID_X_EN: 1
; COMPUTE_PGM_RSRC2:TGID_Y_EN: 0
; COMPUTE_PGM_RSRC2:TGID_Z_EN: 0
; COMPUTE_PGM_RSRC2:TIDIG_COMP_CNT: 0
	.section	.text._ZN2at6native12_GLOBAL__N_125multi_tensor_apply_kernelINS1_28TensorListScalarListMetadataIiLi2EEENS1_25BinaryOpScalarListFunctorIiLi2ELi1ELi1EEEJSt5minusIiEEEEvT_T0_DpT1_,"axG",@progbits,_ZN2at6native12_GLOBAL__N_125multi_tensor_apply_kernelINS1_28TensorListScalarListMetadataIiLi2EEENS1_25BinaryOpScalarListFunctorIiLi2ELi1ELi1EEEJSt5minusIiEEEEvT_T0_DpT1_,comdat
	.globl	_ZN2at6native12_GLOBAL__N_125multi_tensor_apply_kernelINS1_28TensorListScalarListMetadataIiLi2EEENS1_25BinaryOpScalarListFunctorIiLi2ELi1ELi1EEEJSt5minusIiEEEEvT_T0_DpT1_ ; -- Begin function _ZN2at6native12_GLOBAL__N_125multi_tensor_apply_kernelINS1_28TensorListScalarListMetadataIiLi2EEENS1_25BinaryOpScalarListFunctorIiLi2ELi1ELi1EEEJSt5minusIiEEEEvT_T0_DpT1_
	.p2align	8
	.type	_ZN2at6native12_GLOBAL__N_125multi_tensor_apply_kernelINS1_28TensorListScalarListMetadataIiLi2EEENS1_25BinaryOpScalarListFunctorIiLi2ELi1ELi1EEEJSt5minusIiEEEEvT_T0_DpT1_,@function
_ZN2at6native12_GLOBAL__N_125multi_tensor_apply_kernelINS1_28TensorListScalarListMetadataIiLi2EEENS1_25BinaryOpScalarListFunctorIiLi2ELi1ELi1EEEJSt5minusIiEEEEvT_T0_DpT1_: ; @_ZN2at6native12_GLOBAL__N_125multi_tensor_apply_kernelINS1_28TensorListScalarListMetadataIiLi2EEENS1_25BinaryOpScalarListFunctorIiLi2ELi1ELi1EEEJSt5minusIiEEEEvT_T0_DpT1_
; %bb.0:
	v_mov_b32_e32 v1, s15
	s_add_u32 s2, s0, s15
	s_mul_hi_u32 s3, s15, 3
	s_mul_i32 s15, s15, 3
	s_addc_u32 s4, s1, 0
	global_load_u8 v1, v1, s[0:1] offset:1792
	s_add_u32 s2, s2, s15
	s_addc_u32 s3, s4, s3
	s_mov_b32 s13, 0
	s_load_b32 s6, s[2:3], 0x840
	s_waitcnt lgkmcnt(0)
	s_ashr_i32 s7, s6, 31
	s_waitcnt vmcnt(0)
	v_readfirstlane_b32 s2, v1
	v_lshlrev_b32_e32 v1, 2, v1
	s_delay_alu instid0(VALU_DEP_2)
	s_lshl_b32 s8, s2, 3
	s_clause 0x2
	s_load_b64 s[10:11], s[0:1], s8 offset:0x400
	s_load_b64 s[4:5], s[0:1], s8 offset:0x0
	;; [unrolled: 1-line block ×3, first 2 shown]
	s_add_u32 s8, s0, s8
	s_addc_u32 s9, s1, 0
	v_sub_co_u32 v1, s8, s8, v1
	s_delay_alu instid0(VALU_DEP_1) | instskip(NEXT) | instid1(VALU_DEP_2)
	v_sub_co_ci_u32_e64 v2, null, s9, 0, s8
	v_readfirstlane_b32 s8, v1
	s_delay_alu instid0(VALU_DEP_2)
	v_readfirstlane_b32 s9, v2
	s_load_b32 s14, s[8:9], 0x600
	s_lshl_b64 s[8:9], s[6:7], 18
	s_waitcnt lgkmcnt(0)
	s_add_u32 s15, s4, s8
	s_addc_u32 s16, s5, s9
	s_and_b32 s12, s15, 15
	s_add_u32 s17, s2, s8
	s_addc_u32 s18, s3, s9
	s_and_b32 s19, s10, 3
	s_and_b32 s20, s17, 15
	s_or_b32 s12, s12, s19
	s_lshl_b64 s[6:7], s[6:7], 16
	s_or_b32 s12, s20, s12
	s_sub_u32 s6, s10, s6
	s_subb_u32 s7, s11, s7
	s_cmp_eq_u64 s[12:13], 0
	s_mov_b32 s10, -1
	s_cbranch_scc1 .LBB110_21
; %bb.1:
	v_cmp_lt_i64_e64 s10, s[6:7], 1
	s_delay_alu instid0(VALU_DEP_1)
	s_and_b32 vcc_lo, exec_lo, s10
	s_cbranch_vccnz .LBB110_20
; %bb.2:
	s_load_b32 s10, s[0:1], 0xd54
	v_dual_mov_b32 v10, 0 :: v_dual_lshlrev_b32 v9, 2, v0
	v_cmp_gt_u64_e64 s11, 0x10000, s[6:7]
	s_delay_alu instid0(VALU_DEP_2) | instskip(NEXT) | instid1(VALU_DEP_1)
	v_add_co_u32 v1, s12, s4, v9
	v_add_co_ci_u32_e64 v2, null, s5, 0, s12
	v_add_co_u32 v3, s12, s2, v9
	s_delay_alu instid0(VALU_DEP_1)
	v_add_co_ci_u32_e64 v4, null, s3, 0, s12
	s_waitcnt lgkmcnt(0)
	s_and_b32 s12, s10, 0xffff
	s_and_b32 s10, s11, exec_lo
	v_mad_u64_u32 v[7:8], null, s12, 12, v[9:10]
	s_cselect_b32 s11, s7, 0
	s_cselect_b32 s10, s6, 0x10000
	s_mul_i32 s19, s12, 3
	s_lshl_b32 s20, s12, 3
	s_lshl_b32 s13, s12, 1
	v_add_co_u32 v14, s20, s20, v9
	v_add_co_u32 v9, s19, s19, v0
	s_delay_alu instid0(VALU_DEP_1)
	v_add_co_ci_u32_e64 v10, null, 0, 0, s19
	v_add_co_u32 v13, s19, v0, s12
	v_add_co_u32 v5, vcc_lo, s4, v7
	v_add_co_ci_u32_e32 v6, vcc_lo, s5, v8, vcc_lo
	v_add_co_u32 v7, vcc_lo, s2, v7
	v_add_co_ci_u32_e64 v15, null, 0, 0, s20
	v_lshlrev_b32_e32 v21, 2, v13
	v_add_co_ci_u32_e32 v8, vcc_lo, s3, v8, vcc_lo
	v_add_co_u32 v11, vcc_lo, s4, v14
	s_delay_alu instid0(VALU_DEP_4)
	v_add_co_ci_u32_e32 v12, vcc_lo, s5, v15, vcc_lo
	v_add_co_u32 v14, vcc_lo, s2, v14
	v_add_co_u32 v17, s13, s13, v0
	v_add_co_u32 v19, s4, s4, v21
	;; [unrolled: 1-line block ×3, first 2 shown]
	v_add_co_ci_u32_e32 v15, vcc_lo, s3, v15, vcc_lo
	v_add_co_ci_u32_e64 v16, null, 0, 0, s19
	v_add_co_ci_u32_e64 v18, null, 0, 0, s13
	v_add_co_ci_u32_e64 v20, null, s5, 0, s4
	v_add_co_ci_u32_e64 v22, null, s3, 0, s2
	s_lshl_b32 s19, s12, 2
	s_lshl_b32 s20, s12, 4
	s_mov_b64 s[12:13], 0
	s_branch .LBB110_4
.LBB110_3:                              ;   in Loop: Header=BB110_4 Depth=1
	s_or_b32 exec_lo, exec_lo, s2
	v_add_co_u32 v1, vcc_lo, v1, s20
	v_add_co_ci_u32_e32 v2, vcc_lo, 0, v2, vcc_lo
	v_add_co_u32 v3, vcc_lo, v3, s20
	v_add_co_ci_u32_e32 v4, vcc_lo, 0, v4, vcc_lo
	;; [unrolled: 2-line block ×5, first 2 shown]
	s_add_u32 s12, s12, s19
	v_add_co_u32 v14, vcc_lo, v14, s20
	s_addc_u32 s13, s13, 0
	v_add_co_ci_u32_e32 v15, vcc_lo, 0, v15, vcc_lo
	v_cmp_lt_i64_e64 s2, s[12:13], s[6:7]
	v_cmp_gt_u64_e64 s3, 0x10000, s[12:13]
	v_add_co_u32 v19, vcc_lo, v19, s20
	v_add_co_ci_u32_e32 v20, vcc_lo, 0, v20, vcc_lo
	v_add_co_u32 v21, vcc_lo, v21, s20
	v_add_co_ci_u32_e32 v22, vcc_lo, 0, v22, vcc_lo
	s_and_b32 s2, s2, s3
	s_delay_alu instid0(SALU_CYCLE_1)
	s_and_b32 vcc_lo, exec_lo, s2
	s_cbranch_vccz .LBB110_20
.LBB110_4:                              ; =>This Inner Loop Header: Depth=1
	s_waitcnt vmcnt(0)
	v_add_co_u32 v23, s2, v0, s12
	s_delay_alu instid0(VALU_DEP_1) | instskip(NEXT) | instid1(VALU_DEP_1)
	v_add_co_ci_u32_e64 v24, null, 0, s13, s2
	v_cmp_gt_u64_e32 vcc_lo, s[10:11], v[23:24]
	v_mov_b32_e32 v23, 0
	s_and_saveexec_b32 s3, vcc_lo
	s_cbranch_execz .LBB110_6
; %bb.5:                                ;   in Loop: Header=BB110_4 Depth=1
	v_add_co_u32 v23, s2, v1, s8
	s_delay_alu instid0(VALU_DEP_1)
	v_add_co_ci_u32_e64 v24, s2, s9, v2, s2
	global_load_b32 v23, v[23:24], off
.LBB110_6:                              ;   in Loop: Header=BB110_4 Depth=1
	s_or_b32 exec_lo, exec_lo, s3
	v_add_co_u32 v24, s2, v13, s12
	s_delay_alu instid0(VALU_DEP_1) | instskip(NEXT) | instid1(VALU_DEP_1)
	v_add_co_ci_u32_e64 v25, s2, s13, v16, s2
	v_cmp_gt_u64_e64 s2, s[10:11], v[24:25]
	v_mov_b32_e32 v25, 0
	s_delay_alu instid0(VALU_DEP_2)
	s_and_saveexec_b32 s4, s2
	s_cbranch_execz .LBB110_8
; %bb.7:                                ;   in Loop: Header=BB110_4 Depth=1
	v_add_co_u32 v24, s3, v19, s8
	s_delay_alu instid0(VALU_DEP_1)
	v_add_co_ci_u32_e64 v25, s3, s9, v20, s3
	global_load_b32 v25, v[24:25], off
.LBB110_8:                              ;   in Loop: Header=BB110_4 Depth=1
	s_or_b32 exec_lo, exec_lo, s4
	v_add_co_u32 v26, s3, v17, s12
	s_delay_alu instid0(VALU_DEP_1) | instskip(SKIP_1) | instid1(VALU_DEP_2)
	v_add_co_ci_u32_e64 v27, s3, s13, v18, s3
	v_mov_b32_e32 v24, 0
	v_cmp_gt_u64_e64 s3, s[10:11], v[26:27]
	v_mov_b32_e32 v26, 0
	s_delay_alu instid0(VALU_DEP_2)
	s_and_saveexec_b32 s5, s3
	s_cbranch_execz .LBB110_10
; %bb.9:                                ;   in Loop: Header=BB110_4 Depth=1
	v_add_co_u32 v26, s4, v11, s8
	s_delay_alu instid0(VALU_DEP_1)
	v_add_co_ci_u32_e64 v27, s4, s9, v12, s4
	global_load_b32 v26, v[26:27], off
.LBB110_10:                             ;   in Loop: Header=BB110_4 Depth=1
	s_or_b32 exec_lo, exec_lo, s5
	v_add_co_u32 v27, s4, v9, s12
	s_delay_alu instid0(VALU_DEP_1) | instskip(NEXT) | instid1(VALU_DEP_1)
	v_add_co_ci_u32_e64 v28, s4, s13, v10, s4
	v_cmp_gt_u64_e64 s4, s[10:11], v[27:28]
	s_delay_alu instid0(VALU_DEP_1)
	s_and_saveexec_b32 s21, s4
	s_cbranch_execnz .LBB110_15
; %bb.11:                               ;   in Loop: Header=BB110_4 Depth=1
	s_or_b32 exec_lo, exec_lo, s21
	s_and_saveexec_b32 s5, vcc_lo
	s_cbranch_execnz .LBB110_16
.LBB110_12:                             ;   in Loop: Header=BB110_4 Depth=1
	s_or_b32 exec_lo, exec_lo, s5
	s_and_saveexec_b32 s5, s2
	s_cbranch_execnz .LBB110_17
.LBB110_13:                             ;   in Loop: Header=BB110_4 Depth=1
	s_or_b32 exec_lo, exec_lo, s5
	s_and_saveexec_b32 s2, s3
	s_cbranch_execnz .LBB110_18
.LBB110_14:                             ;   in Loop: Header=BB110_4 Depth=1
	s_or_b32 exec_lo, exec_lo, s2
	s_and_saveexec_b32 s2, s4
	s_cbranch_execz .LBB110_3
	s_branch .LBB110_19
.LBB110_15:                             ;   in Loop: Header=BB110_4 Depth=1
	v_add_co_u32 v27, s5, v5, s8
	s_delay_alu instid0(VALU_DEP_1)
	v_add_co_ci_u32_e64 v28, s5, s9, v6, s5
	global_load_b32 v24, v[27:28], off
	s_or_b32 exec_lo, exec_lo, s21
	s_and_saveexec_b32 s5, vcc_lo
	s_cbranch_execz .LBB110_12
.LBB110_16:                             ;   in Loop: Header=BB110_4 Depth=1
	v_add_co_u32 v27, vcc_lo, v3, s8
	s_waitcnt vmcnt(0)
	v_subrev_nc_u32_e32 v23, s14, v23
	v_add_co_ci_u32_e32 v28, vcc_lo, s9, v4, vcc_lo
	global_store_b32 v[27:28], v23, off
	s_or_b32 exec_lo, exec_lo, s5
	s_and_saveexec_b32 s5, s2
	s_cbranch_execz .LBB110_13
.LBB110_17:                             ;   in Loop: Header=BB110_4 Depth=1
	v_add_co_u32 v27, vcc_lo, v21, s8
	s_waitcnt vmcnt(0)
	v_subrev_nc_u32_e32 v23, s14, v25
	v_add_co_ci_u32_e32 v28, vcc_lo, s9, v22, vcc_lo
	global_store_b32 v[27:28], v23, off
	s_or_b32 exec_lo, exec_lo, s5
	s_and_saveexec_b32 s2, s3
	s_cbranch_execz .LBB110_14
.LBB110_18:                             ;   in Loop: Header=BB110_4 Depth=1
	s_waitcnt vmcnt(0)
	v_add_co_u32 v25, vcc_lo, v14, s8
	v_subrev_nc_u32_e32 v23, s14, v26
	v_add_co_ci_u32_e32 v26, vcc_lo, s9, v15, vcc_lo
	global_store_b32 v[25:26], v23, off
	s_or_b32 exec_lo, exec_lo, s2
	s_and_saveexec_b32 s2, s4
	s_cbranch_execz .LBB110_3
.LBB110_19:                             ;   in Loop: Header=BB110_4 Depth=1
	s_waitcnt vmcnt(0)
	v_add_co_u32 v23, vcc_lo, v7, s8
	v_subrev_nc_u32_e32 v25, s14, v24
	v_add_co_ci_u32_e32 v24, vcc_lo, s9, v8, vcc_lo
	global_store_b32 v[23:24], v25, off
	s_branch .LBB110_3
.LBB110_20:
	s_mov_b32 s10, 0
.LBB110_21:
	s_delay_alu instid0(SALU_CYCLE_1)
	s_and_not1_b32 vcc_lo, exec_lo, s10
	s_cbranch_vccnz .LBB110_25
; %bb.22:
	v_dual_mov_b32 v2, 0 :: v_dual_lshlrev_b32 v1, 2, v0
	s_mov_b32 s2, 0
	s_mov_b32 s3, exec_lo
	s_delay_alu instid0(VALU_DEP_1)
	v_cmpx_gt_i64_e64 s[6:7], v[1:2]
	s_cbranch_execz .LBB110_25
; %bb.23:
	s_load_b32 s0, s[0:1], 0xd54
	s_waitcnt lgkmcnt(0)
	s_and_b32 s0, s0, 0xffff
	s_delay_alu instid0(SALU_CYCLE_1)
	v_add_lshl_u32 v1, v0, s0, 2
	v_lshlrev_b32_e32 v0, 4, v0
	s_lshl_b32 s3, s0, 2
	s_lshl_b32 s4, s0, 4
	s_set_inst_prefetch_distance 0x1
	.p2align	6
.LBB110_24:                             ; =>This Inner Loop Header: Depth=1
	s_delay_alu instid0(VALU_DEP_1) | instskip(NEXT) | instid1(VALU_DEP_1)
	v_add_co_u32 v3, s0, s15, v0
	v_add_co_ci_u32_e64 v4, null, s16, 0, s0
	v_cmp_le_i64_e32 vcc_lo, s[6:7], v[1:2]
	v_cmp_lt_u64_e64 s0, 0xffff, v[1:2]
	v_add_co_u32 v7, s1, s17, v0
	global_load_b128 v[3:6], v[3:4], off
	v_add_co_ci_u32_e64 v8, null, s18, 0, s1
	s_or_b32 s0, vcc_lo, s0
	s_add_u32 s15, s15, s4
	v_add_co_u32 v1, s1, v1, s3
	s_addc_u32 s16, s16, 0
	s_add_u32 s17, s17, s4
	v_add_co_ci_u32_e64 v2, s1, 0, v2, s1
	s_addc_u32 s18, s18, 0
	s_and_b32 s0, exec_lo, s0
	s_delay_alu instid0(SALU_CYCLE_1)
	s_or_b32 s2, s0, s2
	s_waitcnt vmcnt(0)
	v_subrev_nc_u32_e32 v3, s14, v3
	v_subrev_nc_u32_e32 v4, s14, v4
	;; [unrolled: 1-line block ×4, first 2 shown]
	global_store_b128 v[7:8], v[3:6], off
	s_and_not1_b32 exec_lo, exec_lo, s2
	s_cbranch_execnz .LBB110_24
.LBB110_25:
	s_set_inst_prefetch_distance 0x2
	s_nop 0
	s_sendmsg sendmsg(MSG_DEALLOC_VGPRS)
	s_endpgm
	.section	.rodata,"a",@progbits
	.p2align	6, 0x0
	.amdhsa_kernel _ZN2at6native12_GLOBAL__N_125multi_tensor_apply_kernelINS1_28TensorListScalarListMetadataIiLi2EEENS1_25BinaryOpScalarListFunctorIiLi2ELi1ELi1EEEJSt5minusIiEEEEvT_T0_DpT1_
		.amdhsa_group_segment_fixed_size 0
		.amdhsa_private_segment_fixed_size 0
		.amdhsa_kernarg_size 3656
		.amdhsa_user_sgpr_count 15
		.amdhsa_user_sgpr_dispatch_ptr 0
		.amdhsa_user_sgpr_queue_ptr 0
		.amdhsa_user_sgpr_kernarg_segment_ptr 1
		.amdhsa_user_sgpr_dispatch_id 0
		.amdhsa_user_sgpr_private_segment_size 0
		.amdhsa_wavefront_size32 1
		.amdhsa_uses_dynamic_stack 0
		.amdhsa_enable_private_segment 0
		.amdhsa_system_sgpr_workgroup_id_x 1
		.amdhsa_system_sgpr_workgroup_id_y 0
		.amdhsa_system_sgpr_workgroup_id_z 0
		.amdhsa_system_sgpr_workgroup_info 0
		.amdhsa_system_vgpr_workitem_id 0
		.amdhsa_next_free_vgpr 29
		.amdhsa_next_free_sgpr 22
		.amdhsa_reserve_vcc 1
		.amdhsa_float_round_mode_32 0
		.amdhsa_float_round_mode_16_64 0
		.amdhsa_float_denorm_mode_32 3
		.amdhsa_float_denorm_mode_16_64 3
		.amdhsa_dx10_clamp 1
		.amdhsa_ieee_mode 1
		.amdhsa_fp16_overflow 0
		.amdhsa_workgroup_processor_mode 1
		.amdhsa_memory_ordered 1
		.amdhsa_forward_progress 0
		.amdhsa_shared_vgpr_count 0
		.amdhsa_exception_fp_ieee_invalid_op 0
		.amdhsa_exception_fp_denorm_src 0
		.amdhsa_exception_fp_ieee_div_zero 0
		.amdhsa_exception_fp_ieee_overflow 0
		.amdhsa_exception_fp_ieee_underflow 0
		.amdhsa_exception_fp_ieee_inexact 0
		.amdhsa_exception_int_div_zero 0
	.end_amdhsa_kernel
	.section	.text._ZN2at6native12_GLOBAL__N_125multi_tensor_apply_kernelINS1_28TensorListScalarListMetadataIiLi2EEENS1_25BinaryOpScalarListFunctorIiLi2ELi1ELi1EEEJSt5minusIiEEEEvT_T0_DpT1_,"axG",@progbits,_ZN2at6native12_GLOBAL__N_125multi_tensor_apply_kernelINS1_28TensorListScalarListMetadataIiLi2EEENS1_25BinaryOpScalarListFunctorIiLi2ELi1ELi1EEEJSt5minusIiEEEEvT_T0_DpT1_,comdat
.Lfunc_end110:
	.size	_ZN2at6native12_GLOBAL__N_125multi_tensor_apply_kernelINS1_28TensorListScalarListMetadataIiLi2EEENS1_25BinaryOpScalarListFunctorIiLi2ELi1ELi1EEEJSt5minusIiEEEEvT_T0_DpT1_, .Lfunc_end110-_ZN2at6native12_GLOBAL__N_125multi_tensor_apply_kernelINS1_28TensorListScalarListMetadataIiLi2EEENS1_25BinaryOpScalarListFunctorIiLi2ELi1ELi1EEEJSt5minusIiEEEEvT_T0_DpT1_
                                        ; -- End function
	.section	.AMDGPU.csdata,"",@progbits
; Kernel info:
; codeLenInByte = 1440
; NumSgprs: 24
; NumVgprs: 29
; ScratchSize: 0
; MemoryBound: 0
; FloatMode: 240
; IeeeMode: 1
; LDSByteSize: 0 bytes/workgroup (compile time only)
; SGPRBlocks: 2
; VGPRBlocks: 3
; NumSGPRsForWavesPerEU: 24
; NumVGPRsForWavesPerEU: 29
; Occupancy: 16
; WaveLimiterHint : 0
; COMPUTE_PGM_RSRC2:SCRATCH_EN: 0
; COMPUTE_PGM_RSRC2:USER_SGPR: 15
; COMPUTE_PGM_RSRC2:TRAP_HANDLER: 0
; COMPUTE_PGM_RSRC2:TGID_X_EN: 1
; COMPUTE_PGM_RSRC2:TGID_Y_EN: 0
; COMPUTE_PGM_RSRC2:TGID_Z_EN: 0
; COMPUTE_PGM_RSRC2:TIDIG_COMP_CNT: 0
	.section	.text._ZN2at6native12_GLOBAL__N_125multi_tensor_apply_kernelINS1_28TensorListScalarListMetadataIlLi2EEENS1_25BinaryOpScalarListFunctorIlLi2ELi1ELi1EEEJSt5minusIlEEEEvT_T0_DpT1_,"axG",@progbits,_ZN2at6native12_GLOBAL__N_125multi_tensor_apply_kernelINS1_28TensorListScalarListMetadataIlLi2EEENS1_25BinaryOpScalarListFunctorIlLi2ELi1ELi1EEEJSt5minusIlEEEEvT_T0_DpT1_,comdat
	.globl	_ZN2at6native12_GLOBAL__N_125multi_tensor_apply_kernelINS1_28TensorListScalarListMetadataIlLi2EEENS1_25BinaryOpScalarListFunctorIlLi2ELi1ELi1EEEJSt5minusIlEEEEvT_T0_DpT1_ ; -- Begin function _ZN2at6native12_GLOBAL__N_125multi_tensor_apply_kernelINS1_28TensorListScalarListMetadataIlLi2EEENS1_25BinaryOpScalarListFunctorIlLi2ELi1ELi1EEEJSt5minusIlEEEEvT_T0_DpT1_
	.p2align	8
	.type	_ZN2at6native12_GLOBAL__N_125multi_tensor_apply_kernelINS1_28TensorListScalarListMetadataIlLi2EEENS1_25BinaryOpScalarListFunctorIlLi2ELi1ELi1EEEJSt5minusIlEEEEvT_T0_DpT1_,@function
_ZN2at6native12_GLOBAL__N_125multi_tensor_apply_kernelINS1_28TensorListScalarListMetadataIlLi2EEENS1_25BinaryOpScalarListFunctorIlLi2ELi1ELi1EEEJSt5minusIlEEEEvT_T0_DpT1_: ; @_ZN2at6native12_GLOBAL__N_125multi_tensor_apply_kernelINS1_28TensorListScalarListMetadataIlLi2EEENS1_25BinaryOpScalarListFunctorIlLi2ELi1ELi1EEEJSt5minusIlEEEEvT_T0_DpT1_
; %bb.0:
	v_mov_b32_e32 v1, s15
	s_add_u32 s2, s0, s15
	s_mul_hi_u32 s3, s15, 3
	s_mul_i32 s15, s15, 3
	s_addc_u32 s4, s1, 0
	global_load_u8 v1, v1, s[0:1] offset:2048
	s_add_u32 s2, s2, s15
	s_addc_u32 s3, s4, s3
	s_mov_b32 s15, 0
	s_load_b32 s8, s[2:3], 0x940
	s_mov_b32 s21, s15
	s_mov_b32 s23, s15
	s_waitcnt vmcnt(0)
	v_readfirstlane_b32 s2, v1
	s_delay_alu instid0(VALU_DEP_1)
	s_lshl_b32 s9, s2, 3
	s_clause 0x3
	s_load_b64 s[2:3], s[0:1], s9 offset:0x0
	s_load_b64 s[6:7], s[0:1], s9 offset:0x600
	;; [unrolled: 1-line block ×4, first 2 shown]
	s_waitcnt lgkmcnt(0)
	s_ashr_i32 s9, s8, 31
	s_delay_alu instid0(SALU_CYCLE_1) | instskip(NEXT) | instid1(SALU_CYCLE_1)
	s_lshl_b64 s[10:11], s[8:9], 19
	s_add_u32 s16, s2, s10
	s_addc_u32 s17, s3, s11
	s_and_b32 s14, s16, 31
	s_add_u32 s18, s4, s10
	s_addc_u32 s19, s5, s11
	s_and_b32 s20, s12, 3
	s_and_b32 s22, s18, 31
	s_or_b64 s[14:15], s[14:15], s[20:21]
	s_lshl_b64 s[8:9], s[8:9], 16
	s_or_b64 s[14:15], s[22:23], s[14:15]
	s_sub_u32 s8, s12, s8
	s_subb_u32 s9, s13, s9
	s_cmp_eq_u64 s[14:15], 0
	s_mov_b32 s12, -1
	s_cbranch_scc1 .LBB111_21
; %bb.1:
	v_cmp_lt_i64_e64 s12, s[8:9], 1
	s_delay_alu instid0(VALU_DEP_1)
	s_and_b32 vcc_lo, exec_lo, s12
	s_cbranch_vccnz .LBB111_20
; %bb.2:
	s_load_b32 s12, s[0:1], 0xe54
	v_dual_mov_b32 v2, 0 :: v_dual_lshlrev_b32 v1, 3, v0
	v_cmp_gt_u64_e64 s13, 0x10000, s[8:9]
	s_delay_alu instid0(VALU_DEP_2) | instskip(NEXT) | instid1(VALU_DEP_1)
	v_add_co_u32 v9, s14, s2, v1
	v_add_co_ci_u32_e64 v10, null, s3, 0, s14
	v_add_co_u32 v11, s14, s4, v1
	s_delay_alu instid0(VALU_DEP_1)
	v_add_co_ci_u32_e64 v12, null, s5, 0, s14
	s_waitcnt lgkmcnt(0)
	s_and_b32 s14, s12, 0xffff
	s_and_b32 s12, s13, exec_lo
	v_mad_u64_u32 v[3:4], null, s14, 24, v[1:2]
	s_cselect_b32 s13, s9, 0
	s_cselect_b32 s12, s8, 0x10000
	s_lshl_b32 s21, s14, 4
	s_mul_i32 s20, s14, 3
	v_add_co_u32 v1, s21, s21, v1
	s_delay_alu instid0(VALU_DEP_2) | instskip(NEXT) | instid1(VALU_DEP_3)
	v_add_co_u32 v13, vcc_lo, s2, v3
	v_add_co_ci_u32_e32 v14, vcc_lo, s3, v4, vcc_lo
	v_add_co_u32 v17, s20, s20, v0
	v_add_co_u32 v15, vcc_lo, s4, v3
	v_add_co_ci_u32_e64 v2, null, 0, 0, s21
	v_add_co_ci_u32_e64 v18, null, 0, 0, s20
	v_add_co_u32 v21, s20, v0, s14
	v_add_co_ci_u32_e32 v16, vcc_lo, s5, v4, vcc_lo
	v_add_co_u32 v19, vcc_lo, s2, v1
	v_add_co_ci_u32_e32 v20, vcc_lo, s3, v2, vcc_lo
	v_add_co_u32 v22, vcc_lo, s4, v1
	v_lshlrev_b32_e32 v1, 3, v21
	s_lshl_b32 s15, s14, 1
	v_add_co_ci_u32_e32 v23, vcc_lo, s5, v2, vcc_lo
	v_add_co_u32 v25, s15, s15, v0
	s_delay_alu instid0(VALU_DEP_3) | instskip(NEXT) | instid1(VALU_DEP_1)
	v_add_co_u32 v27, s2, s2, v1
	v_add_co_ci_u32_e64 v28, null, s3, 0, s2
	v_add_co_u32 v29, s2, s4, v1
	v_add_co_ci_u32_e64 v24, null, 0, 0, s20
	v_add_co_ci_u32_e64 v26, null, 0, 0, s15
	;; [unrolled: 1-line block ×3, first 2 shown]
	s_lshl_b32 s20, s14, 2
	s_lshl_b32 s21, s14, 5
	s_mov_b64 s[14:15], 0
	s_branch .LBB111_4
.LBB111_3:                              ;   in Loop: Header=BB111_4 Depth=1
	s_or_b32 exec_lo, exec_lo, s2
	v_add_co_u32 v9, vcc_lo, v9, s21
	v_add_co_ci_u32_e32 v10, vcc_lo, 0, v10, vcc_lo
	v_add_co_u32 v11, vcc_lo, v11, s21
	v_add_co_ci_u32_e32 v12, vcc_lo, 0, v12, vcc_lo
	v_add_co_u32 v13, vcc_lo, v13, s21
	v_add_co_ci_u32_e32 v14, vcc_lo, 0, v14, vcc_lo
	v_add_co_u32 v15, vcc_lo, v15, s21
	v_add_co_ci_u32_e32 v16, vcc_lo, 0, v16, vcc_lo
	v_add_co_u32 v19, vcc_lo, v19, s21
	v_add_co_ci_u32_e32 v20, vcc_lo, 0, v20, vcc_lo
	s_add_u32 s14, s14, s20
	v_add_co_u32 v22, vcc_lo, v22, s21
	s_addc_u32 s15, s15, 0
	v_add_co_ci_u32_e32 v23, vcc_lo, 0, v23, vcc_lo
	v_cmp_lt_i64_e64 s2, s[14:15], s[8:9]
	v_cmp_gt_u64_e64 s3, 0x10000, s[14:15]
	v_add_co_u32 v27, vcc_lo, v27, s21
	v_add_co_ci_u32_e32 v28, vcc_lo, 0, v28, vcc_lo
	v_add_co_u32 v29, vcc_lo, v29, s21
	v_add_co_ci_u32_e32 v30, vcc_lo, 0, v30, vcc_lo
	s_and_b32 s2, s2, s3
	s_delay_alu instid0(SALU_CYCLE_1)
	s_and_b32 vcc_lo, exec_lo, s2
	s_cbranch_vccz .LBB111_20
.LBB111_4:                              ; =>This Inner Loop Header: Depth=1
	s_waitcnt vmcnt(0)
	v_add_co_u32 v3, s2, v0, s14
	s_delay_alu instid0(VALU_DEP_1) | instskip(SKIP_2) | instid1(VALU_DEP_3)
	v_add_co_ci_u32_e64 v4, null, 0, s15, s2
	v_mov_b32_e32 v1, 0
	v_mov_b32_e32 v2, 0
	v_cmp_gt_u64_e32 vcc_lo, s[12:13], v[3:4]
	s_delay_alu instid0(VALU_DEP_2)
	v_dual_mov_b32 v6, v2 :: v_dual_mov_b32 v5, v1
	s_and_saveexec_b32 s3, vcc_lo
	s_cbranch_execz .LBB111_6
; %bb.5:                                ;   in Loop: Header=BB111_4 Depth=1
	v_add_co_u32 v3, s2, v9, s10
	s_delay_alu instid0(VALU_DEP_1)
	v_add_co_ci_u32_e64 v4, s2, s11, v10, s2
	global_load_b64 v[5:6], v[3:4], off
.LBB111_6:                              ;   in Loop: Header=BB111_4 Depth=1
	s_or_b32 exec_lo, exec_lo, s3
	v_add_co_u32 v3, s2, v21, s14
	s_delay_alu instid0(VALU_DEP_1) | instskip(NEXT) | instid1(VALU_DEP_1)
	v_add_co_ci_u32_e64 v4, s2, s15, v24, s2
	v_cmp_gt_u64_e64 s2, s[12:13], v[3:4]
	s_delay_alu instid0(VALU_DEP_1)
	s_and_saveexec_b32 s4, s2
	s_cbranch_execz .LBB111_8
; %bb.7:                                ;   in Loop: Header=BB111_4 Depth=1
	v_add_co_u32 v1, s3, v27, s10
	s_delay_alu instid0(VALU_DEP_1)
	v_add_co_ci_u32_e64 v2, s3, s11, v28, s3
	global_load_b64 v[1:2], v[1:2], off
.LBB111_8:                              ;   in Loop: Header=BB111_4 Depth=1
	s_or_b32 exec_lo, exec_lo, s4
	v_add_co_u32 v7, s3, v25, s14
	s_delay_alu instid0(VALU_DEP_1) | instskip(SKIP_2) | instid1(VALU_DEP_3)
	v_add_co_ci_u32_e64 v8, s3, s15, v26, s3
	v_mov_b32_e32 v3, 0
	v_mov_b32_e32 v4, 0
	v_cmp_gt_u64_e64 s3, s[12:13], v[7:8]
	s_delay_alu instid0(VALU_DEP_2) | instskip(NEXT) | instid1(VALU_DEP_2)
	v_dual_mov_b32 v8, v4 :: v_dual_mov_b32 v7, v3
	s_and_saveexec_b32 s5, s3
	s_cbranch_execz .LBB111_10
; %bb.9:                                ;   in Loop: Header=BB111_4 Depth=1
	v_add_co_u32 v7, s4, v19, s10
	s_delay_alu instid0(VALU_DEP_1)
	v_add_co_ci_u32_e64 v8, s4, s11, v20, s4
	global_load_b64 v[7:8], v[7:8], off
.LBB111_10:                             ;   in Loop: Header=BB111_4 Depth=1
	s_or_b32 exec_lo, exec_lo, s5
	v_add_co_u32 v31, s4, v17, s14
	s_delay_alu instid0(VALU_DEP_1) | instskip(NEXT) | instid1(VALU_DEP_1)
	v_add_co_ci_u32_e64 v32, s4, s15, v18, s4
	v_cmp_gt_u64_e64 s4, s[12:13], v[31:32]
	s_delay_alu instid0(VALU_DEP_1)
	s_and_saveexec_b32 s22, s4
	s_cbranch_execnz .LBB111_15
; %bb.11:                               ;   in Loop: Header=BB111_4 Depth=1
	s_or_b32 exec_lo, exec_lo, s22
	s_and_saveexec_b32 s5, vcc_lo
	s_cbranch_execnz .LBB111_16
.LBB111_12:                             ;   in Loop: Header=BB111_4 Depth=1
	s_or_b32 exec_lo, exec_lo, s5
	s_and_saveexec_b32 s5, s2
	s_cbranch_execnz .LBB111_17
.LBB111_13:                             ;   in Loop: Header=BB111_4 Depth=1
	s_or_b32 exec_lo, exec_lo, s5
	s_and_saveexec_b32 s2, s3
	s_cbranch_execnz .LBB111_18
.LBB111_14:                             ;   in Loop: Header=BB111_4 Depth=1
	s_or_b32 exec_lo, exec_lo, s2
	s_and_saveexec_b32 s2, s4
	s_cbranch_execz .LBB111_3
	s_branch .LBB111_19
.LBB111_15:                             ;   in Loop: Header=BB111_4 Depth=1
	v_add_co_u32 v3, s5, v13, s10
	s_delay_alu instid0(VALU_DEP_1)
	v_add_co_ci_u32_e64 v4, s5, s11, v14, s5
	global_load_b64 v[3:4], v[3:4], off
	s_or_b32 exec_lo, exec_lo, s22
	s_and_saveexec_b32 s5, vcc_lo
	s_cbranch_execz .LBB111_12
.LBB111_16:                             ;   in Loop: Header=BB111_4 Depth=1
	s_waitcnt vmcnt(0)
	v_sub_co_u32 v5, vcc_lo, v5, s6
	v_subrev_co_ci_u32_e32 v6, vcc_lo, s7, v6, vcc_lo
	v_add_co_u32 v31, vcc_lo, v11, s10
	v_add_co_ci_u32_e32 v32, vcc_lo, s11, v12, vcc_lo
	global_store_b64 v[31:32], v[5:6], off
	s_or_b32 exec_lo, exec_lo, s5
	s_and_saveexec_b32 s5, s2
	s_cbranch_execz .LBB111_13
.LBB111_17:                             ;   in Loop: Header=BB111_4 Depth=1
	s_waitcnt vmcnt(0)
	v_sub_co_u32 v1, vcc_lo, v1, s6
	v_subrev_co_ci_u32_e32 v2, vcc_lo, s7, v2, vcc_lo
	v_add_co_u32 v5, vcc_lo, v29, s10
	v_add_co_ci_u32_e32 v6, vcc_lo, s11, v30, vcc_lo
	global_store_b64 v[5:6], v[1:2], off
	s_or_b32 exec_lo, exec_lo, s5
	s_and_saveexec_b32 s2, s3
	s_cbranch_execz .LBB111_14
.LBB111_18:                             ;   in Loop: Header=BB111_4 Depth=1
	s_waitcnt vmcnt(0)
	v_sub_co_u32 v1, vcc_lo, v7, s6
	v_subrev_co_ci_u32_e32 v2, vcc_lo, s7, v8, vcc_lo
	v_add_co_u32 v5, vcc_lo, v22, s10
	v_add_co_ci_u32_e32 v6, vcc_lo, s11, v23, vcc_lo
	global_store_b64 v[5:6], v[1:2], off
	s_or_b32 exec_lo, exec_lo, s2
	s_and_saveexec_b32 s2, s4
	s_cbranch_execz .LBB111_3
.LBB111_19:                             ;   in Loop: Header=BB111_4 Depth=1
	s_waitcnt vmcnt(0)
	v_sub_co_u32 v1, vcc_lo, v3, s6
	v_subrev_co_ci_u32_e32 v2, vcc_lo, s7, v4, vcc_lo
	v_add_co_u32 v3, vcc_lo, v15, s10
	v_add_co_ci_u32_e32 v4, vcc_lo, s11, v16, vcc_lo
	global_store_b64 v[3:4], v[1:2], off
	s_branch .LBB111_3
.LBB111_20:
	s_mov_b32 s12, 0
.LBB111_21:
	s_delay_alu instid0(SALU_CYCLE_1)
	s_and_not1_b32 vcc_lo, exec_lo, s12
	s_cbranch_vccnz .LBB111_25
; %bb.22:
	s_waitcnt vmcnt(0)
	v_dual_mov_b32 v2, 0 :: v_dual_lshlrev_b32 v1, 2, v0
	s_mov_b32 s2, 0
	s_mov_b32 s3, exec_lo
	s_delay_alu instid0(VALU_DEP_1)
	v_cmpx_gt_i64_e64 s[8:9], v[1:2]
	s_cbranch_execz .LBB111_25
; %bb.23:
	s_load_b32 s0, s[0:1], 0xe54
	s_waitcnt lgkmcnt(0)
	s_and_b32 s0, s0, 0xffff
	s_delay_alu instid0(SALU_CYCLE_1)
	v_add_lshl_u32 v1, v0, s0, 2
	v_lshlrev_b32_e32 v0, 5, v0
	s_lshl_b32 s3, s0, 2
	s_lshl_b32 s4, s0, 5
	s_set_inst_prefetch_distance 0x1
	.p2align	6
.LBB111_24:                             ; =>This Inner Loop Header: Depth=1
	s_delay_alu instid0(VALU_DEP_1) | instskip(NEXT) | instid1(VALU_DEP_1)
	v_add_co_u32 v7, s0, s16, v0
	v_add_co_ci_u32_e64 v8, null, s17, 0, s0
	v_cmp_le_i64_e32 vcc_lo, s[8:9], v[1:2]
	v_cmp_lt_u64_e64 s0, 0xffff, v[1:2]
	v_add_co_u32 v11, s1, s18, v0
	s_clause 0x1
	global_load_b128 v[3:6], v[7:8], off
	global_load_b128 v[7:10], v[7:8], off offset:16
	v_add_co_ci_u32_e64 v12, null, s19, 0, s1
	s_or_b32 s0, vcc_lo, s0
	s_add_u32 s16, s16, s4
	v_add_co_u32 v1, s1, v1, s3
	s_addc_u32 s17, s17, 0
	s_add_u32 s18, s18, s4
	v_add_co_ci_u32_e64 v2, s1, 0, v2, s1
	s_addc_u32 s19, s19, 0
	s_and_b32 s0, exec_lo, s0
	s_delay_alu instid0(SALU_CYCLE_1)
	s_or_b32 s2, s0, s2
	s_waitcnt vmcnt(1)
	v_sub_co_u32 v3, vcc_lo, v3, s6
	v_subrev_co_ci_u32_e32 v4, vcc_lo, s7, v4, vcc_lo
	v_sub_co_u32 v5, vcc_lo, v5, s6
	v_subrev_co_ci_u32_e32 v6, vcc_lo, s7, v6, vcc_lo
	s_waitcnt vmcnt(0)
	v_sub_co_u32 v7, vcc_lo, v7, s6
	v_subrev_co_ci_u32_e32 v8, vcc_lo, s7, v8, vcc_lo
	v_sub_co_u32 v9, vcc_lo, v9, s6
	v_subrev_co_ci_u32_e32 v10, vcc_lo, s7, v10, vcc_lo
	s_clause 0x1
	global_store_b128 v[11:12], v[3:6], off
	global_store_b128 v[11:12], v[7:10], off offset:16
	s_and_not1_b32 exec_lo, exec_lo, s2
	s_cbranch_execnz .LBB111_24
.LBB111_25:
	s_set_inst_prefetch_distance 0x2
	s_nop 0
	s_sendmsg sendmsg(MSG_DEALLOC_VGPRS)
	s_endpgm
	.section	.rodata,"a",@progbits
	.p2align	6, 0x0
	.amdhsa_kernel _ZN2at6native12_GLOBAL__N_125multi_tensor_apply_kernelINS1_28TensorListScalarListMetadataIlLi2EEENS1_25BinaryOpScalarListFunctorIlLi2ELi1ELi1EEEJSt5minusIlEEEEvT_T0_DpT1_
		.amdhsa_group_segment_fixed_size 0
		.amdhsa_private_segment_fixed_size 0
		.amdhsa_kernarg_size 3912
		.amdhsa_user_sgpr_count 15
		.amdhsa_user_sgpr_dispatch_ptr 0
		.amdhsa_user_sgpr_queue_ptr 0
		.amdhsa_user_sgpr_kernarg_segment_ptr 1
		.amdhsa_user_sgpr_dispatch_id 0
		.amdhsa_user_sgpr_private_segment_size 0
		.amdhsa_wavefront_size32 1
		.amdhsa_uses_dynamic_stack 0
		.amdhsa_enable_private_segment 0
		.amdhsa_system_sgpr_workgroup_id_x 1
		.amdhsa_system_sgpr_workgroup_id_y 0
		.amdhsa_system_sgpr_workgroup_id_z 0
		.amdhsa_system_sgpr_workgroup_info 0
		.amdhsa_system_vgpr_workitem_id 0
		.amdhsa_next_free_vgpr 33
		.amdhsa_next_free_sgpr 24
		.amdhsa_reserve_vcc 1
		.amdhsa_float_round_mode_32 0
		.amdhsa_float_round_mode_16_64 0
		.amdhsa_float_denorm_mode_32 3
		.amdhsa_float_denorm_mode_16_64 3
		.amdhsa_dx10_clamp 1
		.amdhsa_ieee_mode 1
		.amdhsa_fp16_overflow 0
		.amdhsa_workgroup_processor_mode 1
		.amdhsa_memory_ordered 1
		.amdhsa_forward_progress 0
		.amdhsa_shared_vgpr_count 0
		.amdhsa_exception_fp_ieee_invalid_op 0
		.amdhsa_exception_fp_denorm_src 0
		.amdhsa_exception_fp_ieee_div_zero 0
		.amdhsa_exception_fp_ieee_overflow 0
		.amdhsa_exception_fp_ieee_underflow 0
		.amdhsa_exception_fp_ieee_inexact 0
		.amdhsa_exception_int_div_zero 0
	.end_amdhsa_kernel
	.section	.text._ZN2at6native12_GLOBAL__N_125multi_tensor_apply_kernelINS1_28TensorListScalarListMetadataIlLi2EEENS1_25BinaryOpScalarListFunctorIlLi2ELi1ELi1EEEJSt5minusIlEEEEvT_T0_DpT1_,"axG",@progbits,_ZN2at6native12_GLOBAL__N_125multi_tensor_apply_kernelINS1_28TensorListScalarListMetadataIlLi2EEENS1_25BinaryOpScalarListFunctorIlLi2ELi1ELi1EEEJSt5minusIlEEEEvT_T0_DpT1_,comdat
.Lfunc_end111:
	.size	_ZN2at6native12_GLOBAL__N_125multi_tensor_apply_kernelINS1_28TensorListScalarListMetadataIlLi2EEENS1_25BinaryOpScalarListFunctorIlLi2ELi1ELi1EEEJSt5minusIlEEEEvT_T0_DpT1_, .Lfunc_end111-_ZN2at6native12_GLOBAL__N_125multi_tensor_apply_kernelINS1_28TensorListScalarListMetadataIlLi2EEENS1_25BinaryOpScalarListFunctorIlLi2ELi1ELi1EEEJSt5minusIlEEEEvT_T0_DpT1_
                                        ; -- End function
	.section	.AMDGPU.csdata,"",@progbits
; Kernel info:
; codeLenInByte = 1520
; NumSgprs: 26
; NumVgprs: 33
; ScratchSize: 0
; MemoryBound: 0
; FloatMode: 240
; IeeeMode: 1
; LDSByteSize: 0 bytes/workgroup (compile time only)
; SGPRBlocks: 3
; VGPRBlocks: 4
; NumSGPRsForWavesPerEU: 26
; NumVGPRsForWavesPerEU: 33
; Occupancy: 16
; WaveLimiterHint : 1
; COMPUTE_PGM_RSRC2:SCRATCH_EN: 0
; COMPUTE_PGM_RSRC2:USER_SGPR: 15
; COMPUTE_PGM_RSRC2:TRAP_HANDLER: 0
; COMPUTE_PGM_RSRC2:TGID_X_EN: 1
; COMPUTE_PGM_RSRC2:TGID_Y_EN: 0
; COMPUTE_PGM_RSRC2:TGID_Z_EN: 0
; COMPUTE_PGM_RSRC2:TIDIG_COMP_CNT: 0
	.section	.text._ZN2at6native12_GLOBAL__N_125multi_tensor_apply_kernelINS1_28TensorListScalarListMetadataIsLi2EEENS1_25BinaryOpScalarListFunctorIsLi2ELi1ELi1EEEJSt5minusIsEEEEvT_T0_DpT1_,"axG",@progbits,_ZN2at6native12_GLOBAL__N_125multi_tensor_apply_kernelINS1_28TensorListScalarListMetadataIsLi2EEENS1_25BinaryOpScalarListFunctorIsLi2ELi1ELi1EEEJSt5minusIsEEEEvT_T0_DpT1_,comdat
	.globl	_ZN2at6native12_GLOBAL__N_125multi_tensor_apply_kernelINS1_28TensorListScalarListMetadataIsLi2EEENS1_25BinaryOpScalarListFunctorIsLi2ELi1ELi1EEEJSt5minusIsEEEEvT_T0_DpT1_ ; -- Begin function _ZN2at6native12_GLOBAL__N_125multi_tensor_apply_kernelINS1_28TensorListScalarListMetadataIsLi2EEENS1_25BinaryOpScalarListFunctorIsLi2ELi1ELi1EEEJSt5minusIsEEEEvT_T0_DpT1_
	.p2align	8
	.type	_ZN2at6native12_GLOBAL__N_125multi_tensor_apply_kernelINS1_28TensorListScalarListMetadataIsLi2EEENS1_25BinaryOpScalarListFunctorIsLi2ELi1ELi1EEEJSt5minusIsEEEEvT_T0_DpT1_,@function
_ZN2at6native12_GLOBAL__N_125multi_tensor_apply_kernelINS1_28TensorListScalarListMetadataIsLi2EEENS1_25BinaryOpScalarListFunctorIsLi2ELi1ELi1EEEJSt5minusIsEEEEvT_T0_DpT1_: ; @_ZN2at6native12_GLOBAL__N_125multi_tensor_apply_kernelINS1_28TensorListScalarListMetadataIsLi2EEENS1_25BinaryOpScalarListFunctorIsLi2ELi1ELi1EEEJSt5minusIsEEEEvT_T0_DpT1_
; %bb.0:
	v_mov_b32_e32 v1, s15
	s_add_u32 s2, s0, s15
	s_mul_hi_u32 s3, s15, 3
	s_mul_i32 s15, s15, 3
	s_addc_u32 s4, s1, 0
	global_load_u8 v1, v1, s[0:1] offset:1664
	s_add_u32 s2, s2, s15
	s_addc_u32 s3, s4, s3
	s_mov_b32 s15, 0
	s_load_b32 s2, s[2:3], 0x7c0
	s_waitcnt vmcnt(0)
	v_readfirstlane_b32 s3, v1
	v_mul_lo_u32 v2, v1, -6
	v_mul_hi_i32 v3, v1, -6
	s_delay_alu instid0(VALU_DEP_3) | instskip(SKIP_4) | instid1(VALU_DEP_2)
	s_lshl_b32 s8, s3, 3
	s_waitcnt lgkmcnt(0)
	s_ashr_i32 s3, s2, 31
	s_add_u32 s6, s0, s8
	s_addc_u32 s7, s1, 0
	v_add_co_u32 v1, vcc_lo, s6, v2
	s_delay_alu instid0(VALU_DEP_2)
	v_add_co_ci_u32_e32 v2, vcc_lo, s7, v3, vcc_lo
	s_load_b64 s[4:5], s[0:1], s8 offset:0x400
	s_lshl_b64 s[12:13], s[2:3], 17
	s_lshl_b64 s[2:3], s[2:3], 16
	global_load_u16 v3, v[1:2], off offset:1536
	s_clause 0x1
	s_load_b64 s[6:7], s[0:1], s8 offset:0x0
	s_load_b64 s[8:9], s[0:1], s8 offset:0x200
	s_waitcnt lgkmcnt(0)
	s_and_b32 s11, s4, 3
	s_and_b32 s10, s6, 7
	;; [unrolled: 1-line block ×3, first 2 shown]
	s_or_b32 s10, s10, s11
	s_delay_alu instid0(SALU_CYCLE_1)
	s_or_b32 s14, s14, s10
	s_sub_u32 s10, s4, s2
	s_subb_u32 s11, s5, s3
	s_cmp_eq_u64 s[14:15], 0
	s_mov_b32 s2, -1
	s_cbranch_scc1 .LBB112_21
; %bb.1:
	v_cmp_lt_i64_e64 s2, s[10:11], 1
	s_delay_alu instid0(VALU_DEP_1)
	s_and_b32 vcc_lo, exec_lo, s2
	s_cbranch_vccnz .LBB112_20
; %bb.2:
	s_load_b32 s2, s[0:1], 0xcd4
	v_dual_mov_b32 v11, 0 :: v_dual_lshlrev_b32 v10, 1, v0
	v_cmp_gt_u64_e64 s3, 0x10000, s[10:11]
	s_mov_b64 s[16:17], 0
	s_delay_alu instid0(VALU_DEP_2) | instskip(NEXT) | instid1(VALU_DEP_1)
	v_add_co_u32 v1, s4, s6, v10
	v_add_co_ci_u32_e64 v2, null, s7, 0, s4
	v_add_co_u32 v4, s4, s8, v10
	s_delay_alu instid0(VALU_DEP_1)
	v_add_co_ci_u32_e64 v5, null, s9, 0, s4
	s_waitcnt lgkmcnt(0)
	s_and_b32 s2, s2, 0xffff
	s_and_b32 s3, s3, exec_lo
	v_mad_u64_u32 v[8:9], null, s2, 6, v[10:11]
	s_cselect_b32 s15, s11, 0
	s_cselect_b32 s14, s10, 0x10000
	s_mul_i32 s4, s2, 3
	s_lshl_b32 s18, s2, 2
	s_lshl_b32 s3, s2, 1
	v_add_co_u32 v15, s5, s18, v10
	v_add_co_u32 v10, s4, s4, v0
	s_delay_alu instid0(VALU_DEP_1) | instskip(SKIP_3) | instid1(VALU_DEP_3)
	v_add_co_ci_u32_e64 v11, null, 0, 0, s4
	v_add_co_u32 v14, s4, v0, s2
	v_add_co_u32 v6, vcc_lo, s6, v8
	v_add_co_ci_u32_e32 v7, vcc_lo, s7, v9, vcc_lo
	v_lshlrev_b32_e32 v22, 1, v14
	v_add_co_u32 v8, vcc_lo, s8, v8
	v_add_co_ci_u32_e64 v16, null, 0, 0, s5
	v_add_co_ci_u32_e32 v9, vcc_lo, s9, v9, vcc_lo
	v_add_co_u32 v18, s3, s3, v0
	v_add_co_u32 v12, vcc_lo, s6, v15
	v_add_co_ci_u32_e64 v19, null, 0, 0, s3
	v_add_co_u32 v20, s3, s6, v22
	v_add_co_ci_u32_e32 v13, vcc_lo, s7, v16, vcc_lo
	v_add_co_u32 v15, vcc_lo, s8, v15
	v_add_co_ci_u32_e64 v21, null, s7, 0, s3
	v_add_co_u32 v22, s3, s8, v22
	v_add_co_ci_u32_e32 v16, vcc_lo, s9, v16, vcc_lo
	v_add_co_ci_u32_e64 v17, null, 0, 0, s4
	v_add_co_ci_u32_e64 v23, null, s9, 0, s3
	s_lshl_b32 s19, s2, 3
	s_branch .LBB112_4
.LBB112_3:                              ;   in Loop: Header=BB112_4 Depth=1
	s_or_b32 exec_lo, exec_lo, s2
	v_add_co_u32 v1, vcc_lo, v1, s19
	v_add_co_ci_u32_e32 v2, vcc_lo, 0, v2, vcc_lo
	v_add_co_u32 v4, vcc_lo, v4, s19
	v_add_co_ci_u32_e32 v5, vcc_lo, 0, v5, vcc_lo
	;; [unrolled: 2-line block ×5, first 2 shown]
	s_add_u32 s16, s16, s18
	v_add_co_u32 v15, vcc_lo, v15, s19
	s_addc_u32 s17, s17, 0
	v_add_co_ci_u32_e32 v16, vcc_lo, 0, v16, vcc_lo
	v_cmp_lt_i64_e64 s2, s[16:17], s[10:11]
	v_cmp_gt_u64_e64 s3, 0x10000, s[16:17]
	v_add_co_u32 v20, vcc_lo, v20, s19
	v_add_co_ci_u32_e32 v21, vcc_lo, 0, v21, vcc_lo
	v_add_co_u32 v22, vcc_lo, v22, s19
	v_add_co_ci_u32_e32 v23, vcc_lo, 0, v23, vcc_lo
	s_and_b32 s2, s2, s3
	s_delay_alu instid0(SALU_CYCLE_1)
	s_and_b32 vcc_lo, exec_lo, s2
	s_cbranch_vccz .LBB112_20
.LBB112_4:                              ; =>This Inner Loop Header: Depth=1
	s_waitcnt vmcnt(0)
	v_add_co_u32 v24, s2, v0, s16
	s_delay_alu instid0(VALU_DEP_1) | instskip(NEXT) | instid1(VALU_DEP_1)
	v_add_co_ci_u32_e64 v25, null, 0, s17, s2
	v_cmp_gt_u64_e32 vcc_lo, s[14:15], v[24:25]
	v_mov_b32_e32 v24, 0
	s_and_saveexec_b32 s3, vcc_lo
	s_cbranch_execz .LBB112_6
; %bb.5:                                ;   in Loop: Header=BB112_4 Depth=1
	v_add_co_u32 v24, s2, v1, s12
	s_delay_alu instid0(VALU_DEP_1)
	v_add_co_ci_u32_e64 v25, s2, s13, v2, s2
	global_load_u16 v24, v[24:25], off
.LBB112_6:                              ;   in Loop: Header=BB112_4 Depth=1
	s_or_b32 exec_lo, exec_lo, s3
	v_add_co_u32 v25, s2, v14, s16
	s_delay_alu instid0(VALU_DEP_1) | instskip(NEXT) | instid1(VALU_DEP_1)
	v_add_co_ci_u32_e64 v26, s2, s17, v17, s2
	v_cmp_gt_u64_e64 s2, s[14:15], v[25:26]
	v_mov_b32_e32 v26, 0
	s_delay_alu instid0(VALU_DEP_2)
	s_and_saveexec_b32 s4, s2
	s_cbranch_execz .LBB112_8
; %bb.7:                                ;   in Loop: Header=BB112_4 Depth=1
	v_add_co_u32 v25, s3, v20, s12
	s_delay_alu instid0(VALU_DEP_1)
	v_add_co_ci_u32_e64 v26, s3, s13, v21, s3
	global_load_u16 v26, v[25:26], off
.LBB112_8:                              ;   in Loop: Header=BB112_4 Depth=1
	s_or_b32 exec_lo, exec_lo, s4
	v_add_co_u32 v27, s3, v18, s16
	s_delay_alu instid0(VALU_DEP_1) | instskip(SKIP_1) | instid1(VALU_DEP_2)
	v_add_co_ci_u32_e64 v28, s3, s17, v19, s3
	v_mov_b32_e32 v25, 0
	v_cmp_gt_u64_e64 s3, s[14:15], v[27:28]
	v_mov_b32_e32 v27, 0
	s_delay_alu instid0(VALU_DEP_2)
	s_and_saveexec_b32 s5, s3
	s_cbranch_execz .LBB112_10
; %bb.9:                                ;   in Loop: Header=BB112_4 Depth=1
	v_add_co_u32 v27, s4, v12, s12
	s_delay_alu instid0(VALU_DEP_1)
	v_add_co_ci_u32_e64 v28, s4, s13, v13, s4
	global_load_u16 v27, v[27:28], off
.LBB112_10:                             ;   in Loop: Header=BB112_4 Depth=1
	s_or_b32 exec_lo, exec_lo, s5
	v_add_co_u32 v28, s4, v10, s16
	s_delay_alu instid0(VALU_DEP_1) | instskip(NEXT) | instid1(VALU_DEP_1)
	v_add_co_ci_u32_e64 v29, s4, s17, v11, s4
	v_cmp_gt_u64_e64 s4, s[14:15], v[28:29]
	s_delay_alu instid0(VALU_DEP_1)
	s_and_saveexec_b32 s20, s4
	s_cbranch_execnz .LBB112_15
; %bb.11:                               ;   in Loop: Header=BB112_4 Depth=1
	s_or_b32 exec_lo, exec_lo, s20
	s_and_saveexec_b32 s5, vcc_lo
	s_cbranch_execnz .LBB112_16
.LBB112_12:                             ;   in Loop: Header=BB112_4 Depth=1
	s_or_b32 exec_lo, exec_lo, s5
	s_and_saveexec_b32 s5, s2
	s_cbranch_execnz .LBB112_17
.LBB112_13:                             ;   in Loop: Header=BB112_4 Depth=1
	s_or_b32 exec_lo, exec_lo, s5
	s_and_saveexec_b32 s2, s3
	s_cbranch_execnz .LBB112_18
.LBB112_14:                             ;   in Loop: Header=BB112_4 Depth=1
	s_or_b32 exec_lo, exec_lo, s2
	s_and_saveexec_b32 s2, s4
	s_cbranch_execz .LBB112_3
	s_branch .LBB112_19
.LBB112_15:                             ;   in Loop: Header=BB112_4 Depth=1
	v_add_co_u32 v28, s5, v6, s12
	s_delay_alu instid0(VALU_DEP_1)
	v_add_co_ci_u32_e64 v29, s5, s13, v7, s5
	global_load_u16 v25, v[28:29], off
	s_or_b32 exec_lo, exec_lo, s20
	s_and_saveexec_b32 s5, vcc_lo
	s_cbranch_execz .LBB112_12
.LBB112_16:                             ;   in Loop: Header=BB112_4 Depth=1
	v_add_co_u32 v28, vcc_lo, v4, s12
	s_waitcnt vmcnt(0)
	v_sub_nc_u16 v24, v24, v3
	v_add_co_ci_u32_e32 v29, vcc_lo, s13, v5, vcc_lo
	global_store_b16 v[28:29], v24, off
	s_or_b32 exec_lo, exec_lo, s5
	s_and_saveexec_b32 s5, s2
	s_cbranch_execz .LBB112_13
.LBB112_17:                             ;   in Loop: Header=BB112_4 Depth=1
	v_add_co_u32 v28, vcc_lo, v22, s12
	s_waitcnt vmcnt(0)
	v_sub_nc_u16 v24, v26, v3
	v_add_co_ci_u32_e32 v29, vcc_lo, s13, v23, vcc_lo
	global_store_b16 v[28:29], v24, off
	s_or_b32 exec_lo, exec_lo, s5
	s_and_saveexec_b32 s2, s3
	s_cbranch_execz .LBB112_14
.LBB112_18:                             ;   in Loop: Header=BB112_4 Depth=1
	s_waitcnt vmcnt(0)
	v_add_co_u32 v26, vcc_lo, v15, s12
	v_sub_nc_u16 v24, v27, v3
	v_add_co_ci_u32_e32 v27, vcc_lo, s13, v16, vcc_lo
	global_store_b16 v[26:27], v24, off
	s_or_b32 exec_lo, exec_lo, s2
	s_and_saveexec_b32 s2, s4
	s_cbranch_execz .LBB112_3
.LBB112_19:                             ;   in Loop: Header=BB112_4 Depth=1
	s_waitcnt vmcnt(0)
	v_add_co_u32 v24, vcc_lo, v8, s12
	v_sub_nc_u16 v26, v25, v3
	v_add_co_ci_u32_e32 v25, vcc_lo, s13, v9, vcc_lo
	global_store_b16 v[24:25], v26, off
	s_branch .LBB112_3
.LBB112_20:
	s_mov_b32 s2, 0
.LBB112_21:
	s_delay_alu instid0(SALU_CYCLE_1)
	s_and_not1_b32 vcc_lo, exec_lo, s2
	s_cbranch_vccnz .LBB112_25
; %bb.22:
	v_dual_mov_b32 v2, 0 :: v_dual_lshlrev_b32 v1, 2, v0
	s_mov_b32 s2, 0
	s_mov_b32 s3, exec_lo
	s_delay_alu instid0(VALU_DEP_1)
	v_cmpx_gt_i64_e64 s[10:11], v[1:2]
	s_cbranch_execz .LBB112_25
; %bb.23:
	s_load_b32 s0, s[0:1], 0xcd4
	v_lshlrev_b32_e32 v1, 3, v0
	s_delay_alu instid0(VALU_DEP_1) | instskip(NEXT) | instid1(VALU_DEP_1)
	v_add_co_u32 v4, s1, s12, v1
	v_add_co_ci_u32_e64 v5, null, s13, 0, s1
	s_waitcnt lgkmcnt(0)
	s_and_b32 s0, s0, 0xffff
	s_delay_alu instid0(SALU_CYCLE_1)
	v_add_lshl_u32 v1, v0, s0, 2
	s_lshl_b32 s3, s0, 3
	s_lshl_b32 s4, s0, 2
	s_set_inst_prefetch_distance 0x1
	.p2align	6
.LBB112_24:                             ; =>This Inner Loop Header: Depth=1
	v_add_co_u32 v6, vcc_lo, s6, v4
	v_add_co_ci_u32_e32 v7, vcc_lo, s7, v5, vcc_lo
	v_add_co_u32 v8, vcc_lo, s8, v4
	v_add_co_ci_u32_e32 v9, vcc_lo, s9, v5, vcc_lo
	global_load_b64 v[6:7], v[6:7], off
	v_cmp_le_i64_e32 vcc_lo, s[10:11], v[1:2]
	v_cmp_lt_u64_e64 s0, 0xffff, v[1:2]
	v_add_co_u32 v4, s1, v4, s3
	s_delay_alu instid0(VALU_DEP_1) | instskip(SKIP_1) | instid1(VALU_DEP_4)
	v_add_co_ci_u32_e64 v5, s1, 0, v5, s1
	v_add_co_u32 v1, s1, v1, s4
	s_or_b32 s0, vcc_lo, s0
	v_add_co_ci_u32_e64 v2, s1, 0, v2, s1
	s_and_b32 s0, exec_lo, s0
	s_delay_alu instid0(SALU_CYCLE_1)
	s_or_b32 s2, s0, s2
	s_waitcnt vmcnt(0)
	v_lshrrev_b32_e32 v0, 16, v6
	v_lshrrev_b32_e32 v10, 16, v7
	v_sub_nc_u16 v6, v6, v3
	v_sub_nc_u16 v7, v7, v3
	s_delay_alu instid0(VALU_DEP_4) | instskip(NEXT) | instid1(VALU_DEP_4)
	v_sub_nc_u16 v0, v0, v3
	v_sub_nc_u16 v10, v10, v3
	s_delay_alu instid0(VALU_DEP_4) | instskip(NEXT) | instid1(VALU_DEP_4)
	v_and_b32_e32 v6, 0xffff, v6
	v_and_b32_e32 v7, 0xffff, v7
	s_delay_alu instid0(VALU_DEP_4) | instskip(NEXT) | instid1(VALU_DEP_4)
	v_lshlrev_b32_e32 v0, 16, v0
	v_lshlrev_b32_e32 v10, 16, v10
	s_delay_alu instid0(VALU_DEP_2) | instskip(NEXT) | instid1(VALU_DEP_2)
	v_or_b32_e32 v6, v0, v6
	v_or_b32_e32 v7, v10, v7
	global_store_b64 v[8:9], v[6:7], off
	s_and_not1_b32 exec_lo, exec_lo, s2
	s_cbranch_execnz .LBB112_24
.LBB112_25:
	s_set_inst_prefetch_distance 0x2
	s_nop 0
	s_sendmsg sendmsg(MSG_DEALLOC_VGPRS)
	s_endpgm
	.section	.rodata,"a",@progbits
	.p2align	6, 0x0
	.amdhsa_kernel _ZN2at6native12_GLOBAL__N_125multi_tensor_apply_kernelINS1_28TensorListScalarListMetadataIsLi2EEENS1_25BinaryOpScalarListFunctorIsLi2ELi1ELi1EEEJSt5minusIsEEEEvT_T0_DpT1_
		.amdhsa_group_segment_fixed_size 0
		.amdhsa_private_segment_fixed_size 0
		.amdhsa_kernarg_size 3528
		.amdhsa_user_sgpr_count 15
		.amdhsa_user_sgpr_dispatch_ptr 0
		.amdhsa_user_sgpr_queue_ptr 0
		.amdhsa_user_sgpr_kernarg_segment_ptr 1
		.amdhsa_user_sgpr_dispatch_id 0
		.amdhsa_user_sgpr_private_segment_size 0
		.amdhsa_wavefront_size32 1
		.amdhsa_uses_dynamic_stack 0
		.amdhsa_enable_private_segment 0
		.amdhsa_system_sgpr_workgroup_id_x 1
		.amdhsa_system_sgpr_workgroup_id_y 0
		.amdhsa_system_sgpr_workgroup_id_z 0
		.amdhsa_system_sgpr_workgroup_info 0
		.amdhsa_system_vgpr_workitem_id 0
		.amdhsa_next_free_vgpr 30
		.amdhsa_next_free_sgpr 21
		.amdhsa_reserve_vcc 1
		.amdhsa_float_round_mode_32 0
		.amdhsa_float_round_mode_16_64 0
		.amdhsa_float_denorm_mode_32 3
		.amdhsa_float_denorm_mode_16_64 3
		.amdhsa_dx10_clamp 1
		.amdhsa_ieee_mode 1
		.amdhsa_fp16_overflow 0
		.amdhsa_workgroup_processor_mode 1
		.amdhsa_memory_ordered 1
		.amdhsa_forward_progress 0
		.amdhsa_shared_vgpr_count 0
		.amdhsa_exception_fp_ieee_invalid_op 0
		.amdhsa_exception_fp_denorm_src 0
		.amdhsa_exception_fp_ieee_div_zero 0
		.amdhsa_exception_fp_ieee_overflow 0
		.amdhsa_exception_fp_ieee_underflow 0
		.amdhsa_exception_fp_ieee_inexact 0
		.amdhsa_exception_int_div_zero 0
	.end_amdhsa_kernel
	.section	.text._ZN2at6native12_GLOBAL__N_125multi_tensor_apply_kernelINS1_28TensorListScalarListMetadataIsLi2EEENS1_25BinaryOpScalarListFunctorIsLi2ELi1ELi1EEEJSt5minusIsEEEEvT_T0_DpT1_,"axG",@progbits,_ZN2at6native12_GLOBAL__N_125multi_tensor_apply_kernelINS1_28TensorListScalarListMetadataIsLi2EEENS1_25BinaryOpScalarListFunctorIsLi2ELi1ELi1EEEJSt5minusIsEEEEvT_T0_DpT1_,comdat
.Lfunc_end112:
	.size	_ZN2at6native12_GLOBAL__N_125multi_tensor_apply_kernelINS1_28TensorListScalarListMetadataIsLi2EEENS1_25BinaryOpScalarListFunctorIsLi2ELi1ELi1EEEJSt5minusIsEEEEvT_T0_DpT1_, .Lfunc_end112-_ZN2at6native12_GLOBAL__N_125multi_tensor_apply_kernelINS1_28TensorListScalarListMetadataIsLi2EEENS1_25BinaryOpScalarListFunctorIsLi2ELi1ELi1EEEJSt5minusIsEEEEvT_T0_DpT1_
                                        ; -- End function
	.section	.AMDGPU.csdata,"",@progbits
; Kernel info:
; codeLenInByte = 1516
; NumSgprs: 23
; NumVgprs: 30
; ScratchSize: 0
; MemoryBound: 0
; FloatMode: 240
; IeeeMode: 1
; LDSByteSize: 0 bytes/workgroup (compile time only)
; SGPRBlocks: 2
; VGPRBlocks: 3
; NumSGPRsForWavesPerEU: 23
; NumVGPRsForWavesPerEU: 30
; Occupancy: 16
; WaveLimiterHint : 0
; COMPUTE_PGM_RSRC2:SCRATCH_EN: 0
; COMPUTE_PGM_RSRC2:USER_SGPR: 15
; COMPUTE_PGM_RSRC2:TRAP_HANDLER: 0
; COMPUTE_PGM_RSRC2:TGID_X_EN: 1
; COMPUTE_PGM_RSRC2:TGID_Y_EN: 0
; COMPUTE_PGM_RSRC2:TGID_Z_EN: 0
; COMPUTE_PGM_RSRC2:TIDIG_COMP_CNT: 0
	.section	.text._ZN2at6native12_GLOBAL__N_125multi_tensor_apply_kernelINS1_28TensorListScalarListMetadataIdLi2EEENS1_25BinaryOpScalarListFunctorIdLi2ELi1ELi1EEEJSt5minusIdEEEEvT_T0_DpT1_,"axG",@progbits,_ZN2at6native12_GLOBAL__N_125multi_tensor_apply_kernelINS1_28TensorListScalarListMetadataIdLi2EEENS1_25BinaryOpScalarListFunctorIdLi2ELi1ELi1EEEJSt5minusIdEEEEvT_T0_DpT1_,comdat
	.globl	_ZN2at6native12_GLOBAL__N_125multi_tensor_apply_kernelINS1_28TensorListScalarListMetadataIdLi2EEENS1_25BinaryOpScalarListFunctorIdLi2ELi1ELi1EEEJSt5minusIdEEEEvT_T0_DpT1_ ; -- Begin function _ZN2at6native12_GLOBAL__N_125multi_tensor_apply_kernelINS1_28TensorListScalarListMetadataIdLi2EEENS1_25BinaryOpScalarListFunctorIdLi2ELi1ELi1EEEJSt5minusIdEEEEvT_T0_DpT1_
	.p2align	8
	.type	_ZN2at6native12_GLOBAL__N_125multi_tensor_apply_kernelINS1_28TensorListScalarListMetadataIdLi2EEENS1_25BinaryOpScalarListFunctorIdLi2ELi1ELi1EEEJSt5minusIdEEEEvT_T0_DpT1_,@function
_ZN2at6native12_GLOBAL__N_125multi_tensor_apply_kernelINS1_28TensorListScalarListMetadataIdLi2EEENS1_25BinaryOpScalarListFunctorIdLi2ELi1ELi1EEEJSt5minusIdEEEEvT_T0_DpT1_: ; @_ZN2at6native12_GLOBAL__N_125multi_tensor_apply_kernelINS1_28TensorListScalarListMetadataIdLi2EEENS1_25BinaryOpScalarListFunctorIdLi2ELi1ELi1EEEJSt5minusIdEEEEvT_T0_DpT1_
; %bb.0:
	v_mov_b32_e32 v1, s15
	s_add_u32 s2, s0, s15
	s_mul_hi_u32 s3, s15, 3
	s_mul_i32 s15, s15, 3
	s_addc_u32 s4, s1, 0
	global_load_u8 v1, v1, s[0:1] offset:2048
	s_add_u32 s2, s2, s15
	s_addc_u32 s3, s4, s3
	s_mov_b32 s15, 0
	s_load_b32 s8, s[2:3], 0x940
	s_mov_b32 s21, s15
	s_mov_b32 s23, s15
	s_waitcnt vmcnt(0)
	v_readfirstlane_b32 s2, v1
	s_delay_alu instid0(VALU_DEP_1)
	s_lshl_b32 s9, s2, 3
	s_clause 0x3
	s_load_b64 s[2:3], s[0:1], s9 offset:0x0
	s_load_b64 s[6:7], s[0:1], s9 offset:0x600
	;; [unrolled: 1-line block ×4, first 2 shown]
	s_waitcnt lgkmcnt(0)
	s_ashr_i32 s9, s8, 31
	s_delay_alu instid0(SALU_CYCLE_1) | instskip(NEXT) | instid1(SALU_CYCLE_1)
	s_lshl_b64 s[10:11], s[8:9], 19
	s_add_u32 s16, s2, s10
	s_addc_u32 s17, s3, s11
	s_and_b32 s14, s16, 31
	s_add_u32 s18, s4, s10
	s_addc_u32 s19, s5, s11
	s_and_b32 s20, s12, 3
	s_and_b32 s22, s18, 31
	s_or_b64 s[14:15], s[14:15], s[20:21]
	s_lshl_b64 s[8:9], s[8:9], 16
	s_or_b64 s[14:15], s[22:23], s[14:15]
	s_sub_u32 s8, s12, s8
	s_subb_u32 s9, s13, s9
	s_cmp_eq_u64 s[14:15], 0
	s_mov_b32 s12, -1
	s_cbranch_scc1 .LBB113_21
; %bb.1:
	v_cmp_lt_i64_e64 s12, s[8:9], 1
	s_delay_alu instid0(VALU_DEP_1)
	s_and_b32 vcc_lo, exec_lo, s12
	s_cbranch_vccnz .LBB113_20
; %bb.2:
	s_load_b32 s12, s[0:1], 0xe54
	v_dual_mov_b32 v2, 0 :: v_dual_lshlrev_b32 v1, 3, v0
	v_cmp_gt_u64_e64 s13, 0x10000, s[8:9]
	s_delay_alu instid0(VALU_DEP_2) | instskip(NEXT) | instid1(VALU_DEP_1)
	v_add_co_u32 v9, s14, s2, v1
	v_add_co_ci_u32_e64 v10, null, s3, 0, s14
	v_add_co_u32 v11, s14, s4, v1
	s_delay_alu instid0(VALU_DEP_1)
	v_add_co_ci_u32_e64 v12, null, s5, 0, s14
	s_waitcnt lgkmcnt(0)
	s_and_b32 s14, s12, 0xffff
	s_and_b32 s12, s13, exec_lo
	v_mad_u64_u32 v[3:4], null, s14, 24, v[1:2]
	s_cselect_b32 s13, s9, 0
	s_cselect_b32 s12, s8, 0x10000
	s_lshl_b32 s21, s14, 4
	s_mul_i32 s20, s14, 3
	v_add_co_u32 v1, s21, s21, v1
	s_delay_alu instid0(VALU_DEP_2) | instskip(NEXT) | instid1(VALU_DEP_3)
	v_add_co_u32 v13, vcc_lo, s2, v3
	v_add_co_ci_u32_e32 v14, vcc_lo, s3, v4, vcc_lo
	v_add_co_u32 v17, s20, s20, v0
	v_add_co_u32 v15, vcc_lo, s4, v3
	v_add_co_ci_u32_e64 v2, null, 0, 0, s21
	v_add_co_ci_u32_e64 v18, null, 0, 0, s20
	v_add_co_u32 v21, s20, v0, s14
	v_add_co_ci_u32_e32 v16, vcc_lo, s5, v4, vcc_lo
	v_add_co_u32 v19, vcc_lo, s2, v1
	v_add_co_ci_u32_e32 v20, vcc_lo, s3, v2, vcc_lo
	v_add_co_u32 v22, vcc_lo, s4, v1
	v_lshlrev_b32_e32 v1, 3, v21
	s_lshl_b32 s15, s14, 1
	v_add_co_ci_u32_e32 v23, vcc_lo, s5, v2, vcc_lo
	v_add_co_u32 v25, s15, s15, v0
	s_delay_alu instid0(VALU_DEP_3) | instskip(NEXT) | instid1(VALU_DEP_1)
	v_add_co_u32 v27, s2, s2, v1
	v_add_co_ci_u32_e64 v28, null, s3, 0, s2
	v_add_co_u32 v29, s2, s4, v1
	v_add_co_ci_u32_e64 v24, null, 0, 0, s20
	v_add_co_ci_u32_e64 v26, null, 0, 0, s15
	;; [unrolled: 1-line block ×3, first 2 shown]
	s_lshl_b32 s20, s14, 2
	s_lshl_b32 s21, s14, 5
	s_mov_b64 s[14:15], 0
	s_branch .LBB113_4
.LBB113_3:                              ;   in Loop: Header=BB113_4 Depth=1
	s_or_b32 exec_lo, exec_lo, s2
	v_add_co_u32 v9, vcc_lo, v9, s21
	v_add_co_ci_u32_e32 v10, vcc_lo, 0, v10, vcc_lo
	v_add_co_u32 v11, vcc_lo, v11, s21
	v_add_co_ci_u32_e32 v12, vcc_lo, 0, v12, vcc_lo
	;; [unrolled: 2-line block ×5, first 2 shown]
	s_add_u32 s14, s14, s20
	v_add_co_u32 v22, vcc_lo, v22, s21
	s_addc_u32 s15, s15, 0
	v_add_co_ci_u32_e32 v23, vcc_lo, 0, v23, vcc_lo
	v_cmp_lt_i64_e64 s2, s[14:15], s[8:9]
	v_cmp_gt_u64_e64 s3, 0x10000, s[14:15]
	v_add_co_u32 v27, vcc_lo, v27, s21
	v_add_co_ci_u32_e32 v28, vcc_lo, 0, v28, vcc_lo
	v_add_co_u32 v29, vcc_lo, v29, s21
	v_add_co_ci_u32_e32 v30, vcc_lo, 0, v30, vcc_lo
	s_and_b32 s2, s2, s3
	s_delay_alu instid0(SALU_CYCLE_1)
	s_and_b32 vcc_lo, exec_lo, s2
	s_cbranch_vccz .LBB113_20
.LBB113_4:                              ; =>This Inner Loop Header: Depth=1
	s_waitcnt vmcnt(0)
	v_add_co_u32 v3, s2, v0, s14
	s_delay_alu instid0(VALU_DEP_1) | instskip(SKIP_2) | instid1(VALU_DEP_3)
	v_add_co_ci_u32_e64 v4, null, 0, s15, s2
	v_mov_b32_e32 v1, 0
	v_mov_b32_e32 v2, 0
	v_cmp_gt_u64_e32 vcc_lo, s[12:13], v[3:4]
	s_delay_alu instid0(VALU_DEP_2)
	v_dual_mov_b32 v4, v2 :: v_dual_mov_b32 v3, v1
	s_and_saveexec_b32 s3, vcc_lo
	s_cbranch_execz .LBB113_6
; %bb.5:                                ;   in Loop: Header=BB113_4 Depth=1
	v_add_co_u32 v3, s2, v9, s10
	s_delay_alu instid0(VALU_DEP_1)
	v_add_co_ci_u32_e64 v4, s2, s11, v10, s2
	global_load_b64 v[3:4], v[3:4], off
.LBB113_6:                              ;   in Loop: Header=BB113_4 Depth=1
	s_or_b32 exec_lo, exec_lo, s3
	v_add_co_u32 v5, s2, v21, s14
	s_delay_alu instid0(VALU_DEP_1) | instskip(NEXT) | instid1(VALU_DEP_1)
	v_add_co_ci_u32_e64 v6, s2, s15, v24, s2
	v_cmp_gt_u64_e64 s2, s[12:13], v[5:6]
	s_delay_alu instid0(VALU_DEP_1)
	s_and_saveexec_b32 s4, s2
	s_cbranch_execz .LBB113_8
; %bb.7:                                ;   in Loop: Header=BB113_4 Depth=1
	v_add_co_u32 v1, s3, v27, s10
	s_delay_alu instid0(VALU_DEP_1)
	v_add_co_ci_u32_e64 v2, s3, s11, v28, s3
	global_load_b64 v[1:2], v[1:2], off
.LBB113_8:                              ;   in Loop: Header=BB113_4 Depth=1
	s_or_b32 exec_lo, exec_lo, s4
	v_add_co_u32 v7, s3, v25, s14
	s_delay_alu instid0(VALU_DEP_1) | instskip(SKIP_2) | instid1(VALU_DEP_3)
	v_add_co_ci_u32_e64 v8, s3, s15, v26, s3
	v_mov_b32_e32 v5, 0
	v_mov_b32_e32 v6, 0
	v_cmp_gt_u64_e64 s3, s[12:13], v[7:8]
	s_delay_alu instid0(VALU_DEP_2) | instskip(NEXT) | instid1(VALU_DEP_2)
	v_dual_mov_b32 v8, v6 :: v_dual_mov_b32 v7, v5
	s_and_saveexec_b32 s5, s3
	s_cbranch_execz .LBB113_10
; %bb.9:                                ;   in Loop: Header=BB113_4 Depth=1
	v_add_co_u32 v7, s4, v19, s10
	s_delay_alu instid0(VALU_DEP_1)
	v_add_co_ci_u32_e64 v8, s4, s11, v20, s4
	global_load_b64 v[7:8], v[7:8], off
.LBB113_10:                             ;   in Loop: Header=BB113_4 Depth=1
	s_or_b32 exec_lo, exec_lo, s5
	v_add_co_u32 v31, s4, v17, s14
	s_delay_alu instid0(VALU_DEP_1) | instskip(NEXT) | instid1(VALU_DEP_1)
	v_add_co_ci_u32_e64 v32, s4, s15, v18, s4
	v_cmp_gt_u64_e64 s4, s[12:13], v[31:32]
	s_delay_alu instid0(VALU_DEP_1)
	s_and_saveexec_b32 s22, s4
	s_cbranch_execnz .LBB113_15
; %bb.11:                               ;   in Loop: Header=BB113_4 Depth=1
	s_or_b32 exec_lo, exec_lo, s22
	s_and_saveexec_b32 s5, vcc_lo
	s_cbranch_execnz .LBB113_16
.LBB113_12:                             ;   in Loop: Header=BB113_4 Depth=1
	s_or_b32 exec_lo, exec_lo, s5
	s_and_saveexec_b32 s5, s2
	s_cbranch_execnz .LBB113_17
.LBB113_13:                             ;   in Loop: Header=BB113_4 Depth=1
	s_or_b32 exec_lo, exec_lo, s5
	s_and_saveexec_b32 s2, s3
	s_cbranch_execnz .LBB113_18
.LBB113_14:                             ;   in Loop: Header=BB113_4 Depth=1
	s_or_b32 exec_lo, exec_lo, s2
	s_and_saveexec_b32 s2, s4
	s_cbranch_execz .LBB113_3
	s_branch .LBB113_19
.LBB113_15:                             ;   in Loop: Header=BB113_4 Depth=1
	v_add_co_u32 v5, s5, v13, s10
	s_delay_alu instid0(VALU_DEP_1)
	v_add_co_ci_u32_e64 v6, s5, s11, v14, s5
	global_load_b64 v[5:6], v[5:6], off
	s_or_b32 exec_lo, exec_lo, s22
	s_and_saveexec_b32 s5, vcc_lo
	s_cbranch_execz .LBB113_12
.LBB113_16:                             ;   in Loop: Header=BB113_4 Depth=1
	s_waitcnt vmcnt(0)
	v_add_f64 v[3:4], v[3:4], -s[6:7]
	v_add_co_u32 v31, vcc_lo, v11, s10
	v_add_co_ci_u32_e32 v32, vcc_lo, s11, v12, vcc_lo
	global_store_b64 v[31:32], v[3:4], off
	s_or_b32 exec_lo, exec_lo, s5
	s_and_saveexec_b32 s5, s2
	s_cbranch_execz .LBB113_13
.LBB113_17:                             ;   in Loop: Header=BB113_4 Depth=1
	s_waitcnt vmcnt(0)
	v_add_f64 v[1:2], v[1:2], -s[6:7]
	v_add_co_u32 v3, vcc_lo, v29, s10
	v_add_co_ci_u32_e32 v4, vcc_lo, s11, v30, vcc_lo
	global_store_b64 v[3:4], v[1:2], off
	s_or_b32 exec_lo, exec_lo, s5
	s_and_saveexec_b32 s2, s3
	s_cbranch_execz .LBB113_14
.LBB113_18:                             ;   in Loop: Header=BB113_4 Depth=1
	s_waitcnt vmcnt(0)
	v_add_f64 v[1:2], v[7:8], -s[6:7]
	v_add_co_u32 v3, vcc_lo, v22, s10
	v_add_co_ci_u32_e32 v4, vcc_lo, s11, v23, vcc_lo
	global_store_b64 v[3:4], v[1:2], off
	s_or_b32 exec_lo, exec_lo, s2
	s_and_saveexec_b32 s2, s4
	s_cbranch_execz .LBB113_3
.LBB113_19:                             ;   in Loop: Header=BB113_4 Depth=1
	s_waitcnt vmcnt(0)
	v_add_f64 v[1:2], v[5:6], -s[6:7]
	v_add_co_u32 v3, vcc_lo, v15, s10
	v_add_co_ci_u32_e32 v4, vcc_lo, s11, v16, vcc_lo
	global_store_b64 v[3:4], v[1:2], off
	s_branch .LBB113_3
.LBB113_20:
	s_mov_b32 s12, 0
.LBB113_21:
	s_delay_alu instid0(SALU_CYCLE_1)
	s_and_not1_b32 vcc_lo, exec_lo, s12
	s_cbranch_vccnz .LBB113_25
; %bb.22:
	s_waitcnt vmcnt(0)
	v_dual_mov_b32 v2, 0 :: v_dual_lshlrev_b32 v1, 2, v0
	s_mov_b32 s2, 0
	s_mov_b32 s3, exec_lo
	s_delay_alu instid0(VALU_DEP_1)
	v_cmpx_gt_i64_e64 s[8:9], v[1:2]
	s_cbranch_execz .LBB113_25
; %bb.23:
	s_load_b32 s0, s[0:1], 0xe54
	s_waitcnt lgkmcnt(0)
	s_and_b32 s0, s0, 0xffff
	s_delay_alu instid0(SALU_CYCLE_1)
	v_add_lshl_u32 v1, v0, s0, 2
	v_lshlrev_b32_e32 v0, 5, v0
	s_lshl_b32 s3, s0, 2
	s_lshl_b32 s4, s0, 5
	s_set_inst_prefetch_distance 0x1
	.p2align	6
.LBB113_24:                             ; =>This Inner Loop Header: Depth=1
	s_delay_alu instid0(VALU_DEP_1) | instskip(NEXT) | instid1(VALU_DEP_1)
	v_add_co_u32 v7, s0, s16, v0
	v_add_co_ci_u32_e64 v8, null, s17, 0, s0
	v_cmp_le_i64_e32 vcc_lo, s[8:9], v[1:2]
	v_cmp_lt_u64_e64 s0, 0xffff, v[1:2]
	v_add_co_u32 v11, s1, s18, v0
	s_clause 0x1
	global_load_b128 v[3:6], v[7:8], off
	global_load_b128 v[7:10], v[7:8], off offset:16
	v_add_co_ci_u32_e64 v12, null, s19, 0, s1
	s_or_b32 s0, vcc_lo, s0
	s_add_u32 s16, s16, s4
	v_add_co_u32 v1, s1, v1, s3
	s_addc_u32 s17, s17, 0
	s_add_u32 s18, s18, s4
	v_add_co_ci_u32_e64 v2, s1, 0, v2, s1
	s_addc_u32 s19, s19, 0
	s_and_b32 s0, exec_lo, s0
	s_delay_alu instid0(SALU_CYCLE_1)
	s_or_b32 s2, s0, s2
	s_waitcnt vmcnt(1)
	v_add_f64 v[3:4], v[3:4], -s[6:7]
	v_add_f64 v[5:6], v[5:6], -s[6:7]
	s_waitcnt vmcnt(0)
	v_add_f64 v[7:8], v[7:8], -s[6:7]
	v_add_f64 v[9:10], v[9:10], -s[6:7]
	s_clause 0x1
	global_store_b128 v[11:12], v[3:6], off
	global_store_b128 v[11:12], v[7:10], off offset:16
	s_and_not1_b32 exec_lo, exec_lo, s2
	s_cbranch_execnz .LBB113_24
.LBB113_25:
	s_set_inst_prefetch_distance 0x2
	s_nop 0
	s_sendmsg sendmsg(MSG_DEALLOC_VGPRS)
	s_endpgm
	.section	.rodata,"a",@progbits
	.p2align	6, 0x0
	.amdhsa_kernel _ZN2at6native12_GLOBAL__N_125multi_tensor_apply_kernelINS1_28TensorListScalarListMetadataIdLi2EEENS1_25BinaryOpScalarListFunctorIdLi2ELi1ELi1EEEJSt5minusIdEEEEvT_T0_DpT1_
		.amdhsa_group_segment_fixed_size 0
		.amdhsa_private_segment_fixed_size 0
		.amdhsa_kernarg_size 3912
		.amdhsa_user_sgpr_count 15
		.amdhsa_user_sgpr_dispatch_ptr 0
		.amdhsa_user_sgpr_queue_ptr 0
		.amdhsa_user_sgpr_kernarg_segment_ptr 1
		.amdhsa_user_sgpr_dispatch_id 0
		.amdhsa_user_sgpr_private_segment_size 0
		.amdhsa_wavefront_size32 1
		.amdhsa_uses_dynamic_stack 0
		.amdhsa_enable_private_segment 0
		.amdhsa_system_sgpr_workgroup_id_x 1
		.amdhsa_system_sgpr_workgroup_id_y 0
		.amdhsa_system_sgpr_workgroup_id_z 0
		.amdhsa_system_sgpr_workgroup_info 0
		.amdhsa_system_vgpr_workitem_id 0
		.amdhsa_next_free_vgpr 33
		.amdhsa_next_free_sgpr 24
		.amdhsa_reserve_vcc 1
		.amdhsa_float_round_mode_32 0
		.amdhsa_float_round_mode_16_64 0
		.amdhsa_float_denorm_mode_32 3
		.amdhsa_float_denorm_mode_16_64 3
		.amdhsa_dx10_clamp 1
		.amdhsa_ieee_mode 1
		.amdhsa_fp16_overflow 0
		.amdhsa_workgroup_processor_mode 1
		.amdhsa_memory_ordered 1
		.amdhsa_forward_progress 0
		.amdhsa_shared_vgpr_count 0
		.amdhsa_exception_fp_ieee_invalid_op 0
		.amdhsa_exception_fp_denorm_src 0
		.amdhsa_exception_fp_ieee_div_zero 0
		.amdhsa_exception_fp_ieee_overflow 0
		.amdhsa_exception_fp_ieee_underflow 0
		.amdhsa_exception_fp_ieee_inexact 0
		.amdhsa_exception_int_div_zero 0
	.end_amdhsa_kernel
	.section	.text._ZN2at6native12_GLOBAL__N_125multi_tensor_apply_kernelINS1_28TensorListScalarListMetadataIdLi2EEENS1_25BinaryOpScalarListFunctorIdLi2ELi1ELi1EEEJSt5minusIdEEEEvT_T0_DpT1_,"axG",@progbits,_ZN2at6native12_GLOBAL__N_125multi_tensor_apply_kernelINS1_28TensorListScalarListMetadataIdLi2EEENS1_25BinaryOpScalarListFunctorIdLi2ELi1ELi1EEEJSt5minusIdEEEEvT_T0_DpT1_,comdat
.Lfunc_end113:
	.size	_ZN2at6native12_GLOBAL__N_125multi_tensor_apply_kernelINS1_28TensorListScalarListMetadataIdLi2EEENS1_25BinaryOpScalarListFunctorIdLi2ELi1ELi1EEEJSt5minusIdEEEEvT_T0_DpT1_, .Lfunc_end113-_ZN2at6native12_GLOBAL__N_125multi_tensor_apply_kernelINS1_28TensorListScalarListMetadataIdLi2EEENS1_25BinaryOpScalarListFunctorIdLi2ELi1ELi1EEEJSt5minusIdEEEEvT_T0_DpT1_
                                        ; -- End function
	.section	.AMDGPU.csdata,"",@progbits
; Kernel info:
; codeLenInByte = 1488
; NumSgprs: 26
; NumVgprs: 33
; ScratchSize: 0
; MemoryBound: 0
; FloatMode: 240
; IeeeMode: 1
; LDSByteSize: 0 bytes/workgroup (compile time only)
; SGPRBlocks: 3
; VGPRBlocks: 4
; NumSGPRsForWavesPerEU: 26
; NumVGPRsForWavesPerEU: 33
; Occupancy: 16
; WaveLimiterHint : 1
; COMPUTE_PGM_RSRC2:SCRATCH_EN: 0
; COMPUTE_PGM_RSRC2:USER_SGPR: 15
; COMPUTE_PGM_RSRC2:TRAP_HANDLER: 0
; COMPUTE_PGM_RSRC2:TGID_X_EN: 1
; COMPUTE_PGM_RSRC2:TGID_Y_EN: 0
; COMPUTE_PGM_RSRC2:TGID_Z_EN: 0
; COMPUTE_PGM_RSRC2:TIDIG_COMP_CNT: 0
	.section	.text._ZN2at6native12_GLOBAL__N_125multi_tensor_apply_kernelINS1_28TensorListScalarListMetadataIfLi2EEENS1_25BinaryOpScalarListFunctorIfLi2ELi1ELi1EEEJSt5minusIfEEEEvT_T0_DpT1_,"axG",@progbits,_ZN2at6native12_GLOBAL__N_125multi_tensor_apply_kernelINS1_28TensorListScalarListMetadataIfLi2EEENS1_25BinaryOpScalarListFunctorIfLi2ELi1ELi1EEEJSt5minusIfEEEEvT_T0_DpT1_,comdat
	.globl	_ZN2at6native12_GLOBAL__N_125multi_tensor_apply_kernelINS1_28TensorListScalarListMetadataIfLi2EEENS1_25BinaryOpScalarListFunctorIfLi2ELi1ELi1EEEJSt5minusIfEEEEvT_T0_DpT1_ ; -- Begin function _ZN2at6native12_GLOBAL__N_125multi_tensor_apply_kernelINS1_28TensorListScalarListMetadataIfLi2EEENS1_25BinaryOpScalarListFunctorIfLi2ELi1ELi1EEEJSt5minusIfEEEEvT_T0_DpT1_
	.p2align	8
	.type	_ZN2at6native12_GLOBAL__N_125multi_tensor_apply_kernelINS1_28TensorListScalarListMetadataIfLi2EEENS1_25BinaryOpScalarListFunctorIfLi2ELi1ELi1EEEJSt5minusIfEEEEvT_T0_DpT1_,@function
_ZN2at6native12_GLOBAL__N_125multi_tensor_apply_kernelINS1_28TensorListScalarListMetadataIfLi2EEENS1_25BinaryOpScalarListFunctorIfLi2ELi1ELi1EEEJSt5minusIfEEEEvT_T0_DpT1_: ; @_ZN2at6native12_GLOBAL__N_125multi_tensor_apply_kernelINS1_28TensorListScalarListMetadataIfLi2EEENS1_25BinaryOpScalarListFunctorIfLi2ELi1ELi1EEEJSt5minusIfEEEEvT_T0_DpT1_
; %bb.0:
	v_mov_b32_e32 v1, s15
	s_add_u32 s2, s0, s15
	s_mul_hi_u32 s3, s15, 3
	s_mul_i32 s15, s15, 3
	s_addc_u32 s4, s1, 0
	global_load_u8 v1, v1, s[0:1] offset:1792
	s_add_u32 s2, s2, s15
	s_addc_u32 s3, s4, s3
	s_mov_b32 s13, 0
	s_load_b32 s6, s[2:3], 0x840
	s_waitcnt lgkmcnt(0)
	s_ashr_i32 s7, s6, 31
	s_waitcnt vmcnt(0)
	v_readfirstlane_b32 s2, v1
	v_lshlrev_b32_e32 v1, 2, v1
	s_delay_alu instid0(VALU_DEP_2)
	s_lshl_b32 s8, s2, 3
	s_clause 0x2
	s_load_b64 s[10:11], s[0:1], s8 offset:0x400
	s_load_b64 s[4:5], s[0:1], s8 offset:0x0
	;; [unrolled: 1-line block ×3, first 2 shown]
	s_add_u32 s8, s0, s8
	s_addc_u32 s9, s1, 0
	v_sub_co_u32 v1, s8, s8, v1
	s_delay_alu instid0(VALU_DEP_1) | instskip(NEXT) | instid1(VALU_DEP_2)
	v_sub_co_ci_u32_e64 v2, null, s9, 0, s8
	v_readfirstlane_b32 s8, v1
	s_delay_alu instid0(VALU_DEP_2)
	v_readfirstlane_b32 s9, v2
	s_load_b32 s14, s[8:9], 0x600
	s_lshl_b64 s[8:9], s[6:7], 18
	s_waitcnt lgkmcnt(0)
	s_add_u32 s15, s4, s8
	s_addc_u32 s16, s5, s9
	s_and_b32 s12, s15, 15
	s_add_u32 s17, s2, s8
	s_addc_u32 s18, s3, s9
	s_and_b32 s19, s10, 3
	s_and_b32 s20, s17, 15
	s_or_b32 s12, s12, s19
	s_lshl_b64 s[6:7], s[6:7], 16
	s_or_b32 s12, s20, s12
	s_sub_u32 s6, s10, s6
	s_subb_u32 s7, s11, s7
	s_cmp_eq_u64 s[12:13], 0
	s_mov_b32 s10, -1
	s_cbranch_scc1 .LBB114_21
; %bb.1:
	v_cmp_lt_i64_e64 s10, s[6:7], 1
	s_delay_alu instid0(VALU_DEP_1)
	s_and_b32 vcc_lo, exec_lo, s10
	s_cbranch_vccnz .LBB114_20
; %bb.2:
	s_load_b32 s10, s[0:1], 0xd54
	v_dual_mov_b32 v10, 0 :: v_dual_lshlrev_b32 v9, 2, v0
	v_cmp_gt_u64_e64 s11, 0x10000, s[6:7]
	s_delay_alu instid0(VALU_DEP_2) | instskip(NEXT) | instid1(VALU_DEP_1)
	v_add_co_u32 v1, s12, s4, v9
	v_add_co_ci_u32_e64 v2, null, s5, 0, s12
	v_add_co_u32 v3, s12, s2, v9
	s_delay_alu instid0(VALU_DEP_1)
	v_add_co_ci_u32_e64 v4, null, s3, 0, s12
	s_waitcnt lgkmcnt(0)
	s_and_b32 s12, s10, 0xffff
	s_and_b32 s10, s11, exec_lo
	v_mad_u64_u32 v[7:8], null, s12, 12, v[9:10]
	s_cselect_b32 s11, s7, 0
	s_cselect_b32 s10, s6, 0x10000
	s_mul_i32 s19, s12, 3
	s_lshl_b32 s20, s12, 3
	s_lshl_b32 s13, s12, 1
	v_add_co_u32 v14, s20, s20, v9
	v_add_co_u32 v9, s19, s19, v0
	s_delay_alu instid0(VALU_DEP_1)
	v_add_co_ci_u32_e64 v10, null, 0, 0, s19
	v_add_co_u32 v13, s19, v0, s12
	v_add_co_u32 v5, vcc_lo, s4, v7
	v_add_co_ci_u32_e32 v6, vcc_lo, s5, v8, vcc_lo
	v_add_co_u32 v7, vcc_lo, s2, v7
	v_add_co_ci_u32_e64 v15, null, 0, 0, s20
	v_lshlrev_b32_e32 v21, 2, v13
	v_add_co_ci_u32_e32 v8, vcc_lo, s3, v8, vcc_lo
	v_add_co_u32 v11, vcc_lo, s4, v14
	s_delay_alu instid0(VALU_DEP_4)
	v_add_co_ci_u32_e32 v12, vcc_lo, s5, v15, vcc_lo
	v_add_co_u32 v14, vcc_lo, s2, v14
	v_add_co_u32 v17, s13, s13, v0
	v_add_co_u32 v19, s4, s4, v21
	;; [unrolled: 1-line block ×3, first 2 shown]
	v_add_co_ci_u32_e32 v15, vcc_lo, s3, v15, vcc_lo
	v_add_co_ci_u32_e64 v16, null, 0, 0, s19
	v_add_co_ci_u32_e64 v18, null, 0, 0, s13
	;; [unrolled: 1-line block ×4, first 2 shown]
	s_lshl_b32 s19, s12, 2
	s_lshl_b32 s20, s12, 4
	s_mov_b64 s[12:13], 0
	s_branch .LBB114_4
.LBB114_3:                              ;   in Loop: Header=BB114_4 Depth=1
	s_or_b32 exec_lo, exec_lo, s2
	v_add_co_u32 v1, vcc_lo, v1, s20
	v_add_co_ci_u32_e32 v2, vcc_lo, 0, v2, vcc_lo
	v_add_co_u32 v3, vcc_lo, v3, s20
	v_add_co_ci_u32_e32 v4, vcc_lo, 0, v4, vcc_lo
	v_add_co_u32 v5, vcc_lo, v5, s20
	v_add_co_ci_u32_e32 v6, vcc_lo, 0, v6, vcc_lo
	v_add_co_u32 v7, vcc_lo, v7, s20
	v_add_co_ci_u32_e32 v8, vcc_lo, 0, v8, vcc_lo
	v_add_co_u32 v11, vcc_lo, v11, s20
	v_add_co_ci_u32_e32 v12, vcc_lo, 0, v12, vcc_lo
	s_add_u32 s12, s12, s19
	v_add_co_u32 v14, vcc_lo, v14, s20
	s_addc_u32 s13, s13, 0
	v_add_co_ci_u32_e32 v15, vcc_lo, 0, v15, vcc_lo
	v_cmp_lt_i64_e64 s2, s[12:13], s[6:7]
	v_cmp_gt_u64_e64 s3, 0x10000, s[12:13]
	v_add_co_u32 v19, vcc_lo, v19, s20
	v_add_co_ci_u32_e32 v20, vcc_lo, 0, v20, vcc_lo
	v_add_co_u32 v21, vcc_lo, v21, s20
	v_add_co_ci_u32_e32 v22, vcc_lo, 0, v22, vcc_lo
	s_and_b32 s2, s2, s3
	s_delay_alu instid0(SALU_CYCLE_1)
	s_and_b32 vcc_lo, exec_lo, s2
	s_cbranch_vccz .LBB114_20
.LBB114_4:                              ; =>This Inner Loop Header: Depth=1
	s_waitcnt vmcnt(0)
	v_add_co_u32 v23, s2, v0, s12
	s_delay_alu instid0(VALU_DEP_1) | instskip(NEXT) | instid1(VALU_DEP_1)
	v_add_co_ci_u32_e64 v24, null, 0, s13, s2
	v_cmp_gt_u64_e32 vcc_lo, s[10:11], v[23:24]
	v_mov_b32_e32 v23, 0
	s_and_saveexec_b32 s3, vcc_lo
	s_cbranch_execz .LBB114_6
; %bb.5:                                ;   in Loop: Header=BB114_4 Depth=1
	v_add_co_u32 v23, s2, v1, s8
	s_delay_alu instid0(VALU_DEP_1)
	v_add_co_ci_u32_e64 v24, s2, s9, v2, s2
	global_load_b32 v23, v[23:24], off
.LBB114_6:                              ;   in Loop: Header=BB114_4 Depth=1
	s_or_b32 exec_lo, exec_lo, s3
	v_add_co_u32 v24, s2, v13, s12
	s_delay_alu instid0(VALU_DEP_1) | instskip(NEXT) | instid1(VALU_DEP_1)
	v_add_co_ci_u32_e64 v25, s2, s13, v16, s2
	v_cmp_gt_u64_e64 s2, s[10:11], v[24:25]
	v_mov_b32_e32 v25, 0
	s_delay_alu instid0(VALU_DEP_2)
	s_and_saveexec_b32 s4, s2
	s_cbranch_execz .LBB114_8
; %bb.7:                                ;   in Loop: Header=BB114_4 Depth=1
	v_add_co_u32 v24, s3, v19, s8
	s_delay_alu instid0(VALU_DEP_1)
	v_add_co_ci_u32_e64 v25, s3, s9, v20, s3
	global_load_b32 v25, v[24:25], off
.LBB114_8:                              ;   in Loop: Header=BB114_4 Depth=1
	s_or_b32 exec_lo, exec_lo, s4
	v_add_co_u32 v26, s3, v17, s12
	s_delay_alu instid0(VALU_DEP_1) | instskip(SKIP_1) | instid1(VALU_DEP_2)
	v_add_co_ci_u32_e64 v27, s3, s13, v18, s3
	v_mov_b32_e32 v24, 0
	v_cmp_gt_u64_e64 s3, s[10:11], v[26:27]
	v_mov_b32_e32 v26, 0
	s_delay_alu instid0(VALU_DEP_2)
	s_and_saveexec_b32 s5, s3
	s_cbranch_execz .LBB114_10
; %bb.9:                                ;   in Loop: Header=BB114_4 Depth=1
	v_add_co_u32 v26, s4, v11, s8
	s_delay_alu instid0(VALU_DEP_1)
	v_add_co_ci_u32_e64 v27, s4, s9, v12, s4
	global_load_b32 v26, v[26:27], off
.LBB114_10:                             ;   in Loop: Header=BB114_4 Depth=1
	s_or_b32 exec_lo, exec_lo, s5
	v_add_co_u32 v27, s4, v9, s12
	s_delay_alu instid0(VALU_DEP_1) | instskip(NEXT) | instid1(VALU_DEP_1)
	v_add_co_ci_u32_e64 v28, s4, s13, v10, s4
	v_cmp_gt_u64_e64 s4, s[10:11], v[27:28]
	s_delay_alu instid0(VALU_DEP_1)
	s_and_saveexec_b32 s21, s4
	s_cbranch_execnz .LBB114_15
; %bb.11:                               ;   in Loop: Header=BB114_4 Depth=1
	s_or_b32 exec_lo, exec_lo, s21
	s_and_saveexec_b32 s5, vcc_lo
	s_cbranch_execnz .LBB114_16
.LBB114_12:                             ;   in Loop: Header=BB114_4 Depth=1
	s_or_b32 exec_lo, exec_lo, s5
	s_and_saveexec_b32 s5, s2
	s_cbranch_execnz .LBB114_17
.LBB114_13:                             ;   in Loop: Header=BB114_4 Depth=1
	s_or_b32 exec_lo, exec_lo, s5
	s_and_saveexec_b32 s2, s3
	s_cbranch_execnz .LBB114_18
.LBB114_14:                             ;   in Loop: Header=BB114_4 Depth=1
	s_or_b32 exec_lo, exec_lo, s2
	s_and_saveexec_b32 s2, s4
	s_cbranch_execz .LBB114_3
	s_branch .LBB114_19
.LBB114_15:                             ;   in Loop: Header=BB114_4 Depth=1
	v_add_co_u32 v27, s5, v5, s8
	s_delay_alu instid0(VALU_DEP_1)
	v_add_co_ci_u32_e64 v28, s5, s9, v6, s5
	global_load_b32 v24, v[27:28], off
	s_or_b32 exec_lo, exec_lo, s21
	s_and_saveexec_b32 s5, vcc_lo
	s_cbranch_execz .LBB114_12
.LBB114_16:                             ;   in Loop: Header=BB114_4 Depth=1
	v_add_co_u32 v27, vcc_lo, v3, s8
	s_waitcnt vmcnt(0)
	v_subrev_f32_e32 v23, s14, v23
	v_add_co_ci_u32_e32 v28, vcc_lo, s9, v4, vcc_lo
	global_store_b32 v[27:28], v23, off
	s_or_b32 exec_lo, exec_lo, s5
	s_and_saveexec_b32 s5, s2
	s_cbranch_execz .LBB114_13
.LBB114_17:                             ;   in Loop: Header=BB114_4 Depth=1
	v_add_co_u32 v27, vcc_lo, v21, s8
	s_waitcnt vmcnt(0)
	v_subrev_f32_e32 v23, s14, v25
	v_add_co_ci_u32_e32 v28, vcc_lo, s9, v22, vcc_lo
	global_store_b32 v[27:28], v23, off
	s_or_b32 exec_lo, exec_lo, s5
	s_and_saveexec_b32 s2, s3
	s_cbranch_execz .LBB114_14
.LBB114_18:                             ;   in Loop: Header=BB114_4 Depth=1
	s_waitcnt vmcnt(0)
	v_add_co_u32 v25, vcc_lo, v14, s8
	v_subrev_f32_e32 v23, s14, v26
	v_add_co_ci_u32_e32 v26, vcc_lo, s9, v15, vcc_lo
	global_store_b32 v[25:26], v23, off
	s_or_b32 exec_lo, exec_lo, s2
	s_and_saveexec_b32 s2, s4
	s_cbranch_execz .LBB114_3
.LBB114_19:                             ;   in Loop: Header=BB114_4 Depth=1
	s_waitcnt vmcnt(0)
	v_add_co_u32 v23, vcc_lo, v7, s8
	v_subrev_f32_e32 v25, s14, v24
	v_add_co_ci_u32_e32 v24, vcc_lo, s9, v8, vcc_lo
	global_store_b32 v[23:24], v25, off
	s_branch .LBB114_3
.LBB114_20:
	s_mov_b32 s10, 0
.LBB114_21:
	s_delay_alu instid0(SALU_CYCLE_1)
	s_and_not1_b32 vcc_lo, exec_lo, s10
	s_cbranch_vccnz .LBB114_25
; %bb.22:
	v_dual_mov_b32 v2, 0 :: v_dual_lshlrev_b32 v1, 2, v0
	s_mov_b32 s2, 0
	s_mov_b32 s3, exec_lo
	s_delay_alu instid0(VALU_DEP_1)
	v_cmpx_gt_i64_e64 s[6:7], v[1:2]
	s_cbranch_execz .LBB114_25
; %bb.23:
	s_load_b32 s0, s[0:1], 0xd54
	s_waitcnt lgkmcnt(0)
	s_and_b32 s0, s0, 0xffff
	s_delay_alu instid0(SALU_CYCLE_1)
	v_add_lshl_u32 v1, v0, s0, 2
	v_lshlrev_b32_e32 v0, 4, v0
	s_lshl_b32 s3, s0, 2
	s_lshl_b32 s4, s0, 4
	s_set_inst_prefetch_distance 0x1
	.p2align	6
.LBB114_24:                             ; =>This Inner Loop Header: Depth=1
	s_delay_alu instid0(VALU_DEP_1) | instskip(NEXT) | instid1(VALU_DEP_1)
	v_add_co_u32 v3, s0, s15, v0
	v_add_co_ci_u32_e64 v4, null, s16, 0, s0
	v_cmp_le_i64_e32 vcc_lo, s[6:7], v[1:2]
	v_cmp_lt_u64_e64 s0, 0xffff, v[1:2]
	v_add_co_u32 v7, s1, s17, v0
	global_load_b128 v[3:6], v[3:4], off
	v_add_co_ci_u32_e64 v8, null, s18, 0, s1
	s_or_b32 s0, vcc_lo, s0
	s_add_u32 s15, s15, s4
	v_add_co_u32 v1, s1, v1, s3
	s_addc_u32 s16, s16, 0
	s_add_u32 s17, s17, s4
	v_add_co_ci_u32_e64 v2, s1, 0, v2, s1
	s_addc_u32 s18, s18, 0
	s_and_b32 s0, exec_lo, s0
	s_delay_alu instid0(SALU_CYCLE_1)
	s_or_b32 s2, s0, s2
	s_waitcnt vmcnt(0)
	v_dual_subrev_f32 v3, s14, v3 :: v_dual_subrev_f32 v4, s14, v4
	v_dual_subrev_f32 v5, s14, v5 :: v_dual_subrev_f32 v6, s14, v6
	global_store_b128 v[7:8], v[3:6], off
	s_and_not1_b32 exec_lo, exec_lo, s2
	s_cbranch_execnz .LBB114_24
.LBB114_25:
	s_set_inst_prefetch_distance 0x2
	s_nop 0
	s_sendmsg sendmsg(MSG_DEALLOC_VGPRS)
	s_endpgm
	.section	.rodata,"a",@progbits
	.p2align	6, 0x0
	.amdhsa_kernel _ZN2at6native12_GLOBAL__N_125multi_tensor_apply_kernelINS1_28TensorListScalarListMetadataIfLi2EEENS1_25BinaryOpScalarListFunctorIfLi2ELi1ELi1EEEJSt5minusIfEEEEvT_T0_DpT1_
		.amdhsa_group_segment_fixed_size 0
		.amdhsa_private_segment_fixed_size 0
		.amdhsa_kernarg_size 3656
		.amdhsa_user_sgpr_count 15
		.amdhsa_user_sgpr_dispatch_ptr 0
		.amdhsa_user_sgpr_queue_ptr 0
		.amdhsa_user_sgpr_kernarg_segment_ptr 1
		.amdhsa_user_sgpr_dispatch_id 0
		.amdhsa_user_sgpr_private_segment_size 0
		.amdhsa_wavefront_size32 1
		.amdhsa_uses_dynamic_stack 0
		.amdhsa_enable_private_segment 0
		.amdhsa_system_sgpr_workgroup_id_x 1
		.amdhsa_system_sgpr_workgroup_id_y 0
		.amdhsa_system_sgpr_workgroup_id_z 0
		.amdhsa_system_sgpr_workgroup_info 0
		.amdhsa_system_vgpr_workitem_id 0
		.amdhsa_next_free_vgpr 29
		.amdhsa_next_free_sgpr 22
		.amdhsa_reserve_vcc 1
		.amdhsa_float_round_mode_32 0
		.amdhsa_float_round_mode_16_64 0
		.amdhsa_float_denorm_mode_32 3
		.amdhsa_float_denorm_mode_16_64 3
		.amdhsa_dx10_clamp 1
		.amdhsa_ieee_mode 1
		.amdhsa_fp16_overflow 0
		.amdhsa_workgroup_processor_mode 1
		.amdhsa_memory_ordered 1
		.amdhsa_forward_progress 0
		.amdhsa_shared_vgpr_count 0
		.amdhsa_exception_fp_ieee_invalid_op 0
		.amdhsa_exception_fp_denorm_src 0
		.amdhsa_exception_fp_ieee_div_zero 0
		.amdhsa_exception_fp_ieee_overflow 0
		.amdhsa_exception_fp_ieee_underflow 0
		.amdhsa_exception_fp_ieee_inexact 0
		.amdhsa_exception_int_div_zero 0
	.end_amdhsa_kernel
	.section	.text._ZN2at6native12_GLOBAL__N_125multi_tensor_apply_kernelINS1_28TensorListScalarListMetadataIfLi2EEENS1_25BinaryOpScalarListFunctorIfLi2ELi1ELi1EEEJSt5minusIfEEEEvT_T0_DpT1_,"axG",@progbits,_ZN2at6native12_GLOBAL__N_125multi_tensor_apply_kernelINS1_28TensorListScalarListMetadataIfLi2EEENS1_25BinaryOpScalarListFunctorIfLi2ELi1ELi1EEEJSt5minusIfEEEEvT_T0_DpT1_,comdat
.Lfunc_end114:
	.size	_ZN2at6native12_GLOBAL__N_125multi_tensor_apply_kernelINS1_28TensorListScalarListMetadataIfLi2EEENS1_25BinaryOpScalarListFunctorIfLi2ELi1ELi1EEEJSt5minusIfEEEEvT_T0_DpT1_, .Lfunc_end114-_ZN2at6native12_GLOBAL__N_125multi_tensor_apply_kernelINS1_28TensorListScalarListMetadataIfLi2EEENS1_25BinaryOpScalarListFunctorIfLi2ELi1ELi1EEEJSt5minusIfEEEEvT_T0_DpT1_
                                        ; -- End function
	.section	.AMDGPU.csdata,"",@progbits
; Kernel info:
; codeLenInByte = 1440
; NumSgprs: 24
; NumVgprs: 29
; ScratchSize: 0
; MemoryBound: 0
; FloatMode: 240
; IeeeMode: 1
; LDSByteSize: 0 bytes/workgroup (compile time only)
; SGPRBlocks: 2
; VGPRBlocks: 3
; NumSGPRsForWavesPerEU: 24
; NumVGPRsForWavesPerEU: 29
; Occupancy: 16
; WaveLimiterHint : 0
; COMPUTE_PGM_RSRC2:SCRATCH_EN: 0
; COMPUTE_PGM_RSRC2:USER_SGPR: 15
; COMPUTE_PGM_RSRC2:TRAP_HANDLER: 0
; COMPUTE_PGM_RSRC2:TGID_X_EN: 1
; COMPUTE_PGM_RSRC2:TGID_Y_EN: 0
; COMPUTE_PGM_RSRC2:TGID_Z_EN: 0
; COMPUTE_PGM_RSRC2:TIDIG_COMP_CNT: 0
	.section	.text._ZN2at6native12_GLOBAL__N_125multi_tensor_apply_kernelINS1_28TensorListScalarListMetadataIN3c107complexIdEELi2EEENS1_25BinaryOpScalarListFunctorIS6_Li2ELi1ELi1EEEJSt5minusIS6_EEEEvT_T0_DpT1_,"axG",@progbits,_ZN2at6native12_GLOBAL__N_125multi_tensor_apply_kernelINS1_28TensorListScalarListMetadataIN3c107complexIdEELi2EEENS1_25BinaryOpScalarListFunctorIS6_Li2ELi1ELi1EEEJSt5minusIS6_EEEEvT_T0_DpT1_,comdat
	.globl	_ZN2at6native12_GLOBAL__N_125multi_tensor_apply_kernelINS1_28TensorListScalarListMetadataIN3c107complexIdEELi2EEENS1_25BinaryOpScalarListFunctorIS6_Li2ELi1ELi1EEEJSt5minusIS6_EEEEvT_T0_DpT1_ ; -- Begin function _ZN2at6native12_GLOBAL__N_125multi_tensor_apply_kernelINS1_28TensorListScalarListMetadataIN3c107complexIdEELi2EEENS1_25BinaryOpScalarListFunctorIS6_Li2ELi1ELi1EEEJSt5minusIS6_EEEEvT_T0_DpT1_
	.p2align	8
	.type	_ZN2at6native12_GLOBAL__N_125multi_tensor_apply_kernelINS1_28TensorListScalarListMetadataIN3c107complexIdEELi2EEENS1_25BinaryOpScalarListFunctorIS6_Li2ELi1ELi1EEEJSt5minusIS6_EEEEvT_T0_DpT1_,@function
_ZN2at6native12_GLOBAL__N_125multi_tensor_apply_kernelINS1_28TensorListScalarListMetadataIN3c107complexIdEELi2EEENS1_25BinaryOpScalarListFunctorIS6_Li2ELi1ELi1EEEJSt5minusIS6_EEEEvT_T0_DpT1_: ; @_ZN2at6native12_GLOBAL__N_125multi_tensor_apply_kernelINS1_28TensorListScalarListMetadataIN3c107complexIdEELi2EEENS1_25BinaryOpScalarListFunctorIS6_Li2ELi1ELi1EEEJSt5minusIS6_EEEEvT_T0_DpT1_
; %bb.0:
	v_mov_b32_e32 v1, s15
	s_add_u32 s2, s0, s15
	s_mul_hi_u32 s3, s15, 3
	s_mul_i32 s15, s15, 3
	s_addc_u32 s4, s1, 0
	global_load_u8 v1, v1, s[0:1] offset:2400
	s_add_u32 s2, s2, s15
	s_addc_u32 s3, s4, s3
	s_mov_b32 s17, 0
	s_load_b32 s6, s[2:3], 0xaa0
	s_waitcnt lgkmcnt(0)
	s_ashr_i32 s7, s6, 31
	s_waitcnt vmcnt(0)
	v_readfirstlane_b32 s2, v1
	s_delay_alu instid0(VALU_DEP_1)
	s_lshl_b32 s10, s2, 3
	s_clause 0x2
	s_load_b64 s[2:3], s[0:1], s10 offset:0x0
	s_load_b64 s[4:5], s[0:1], s10 offset:0x1e0
	;; [unrolled: 1-line block ×3, first 2 shown]
	s_add_u32 s8, s0, s10
	s_addc_u32 s9, s1, 0
	s_lshl_b64 s[12:13], s[6:7], 20
	s_load_b128 s[8:11], s[8:9], s10 offset:0x5a0
	s_waitcnt lgkmcnt(0)
	s_add_u32 s20, s2, s12
	s_addc_u32 s21, s3, s13
	s_add_u32 s22, s4, s12
	s_addc_u32 s23, s5, s13
	s_and_b32 s16, s20, 63
	s_and_b32 s18, s14, 3
	;; [unrolled: 1-line block ×3, first 2 shown]
	s_or_b32 s16, s16, s18
	s_lshl_b64 s[6:7], s[6:7], 16
	s_or_b32 s16, s19, s16
	s_sub_u32 s6, s14, s6
	s_subb_u32 s7, s15, s7
	s_cmp_eq_u64 s[16:17], 0
	s_mov_b32 s14, -1
	s_cbranch_scc1 .LBB115_21
; %bb.1:
	v_cmp_lt_i64_e64 s14, s[6:7], 1
	s_delay_alu instid0(VALU_DEP_1)
	s_and_b32 vcc_lo, exec_lo, s14
	s_cbranch_vccnz .LBB115_20
; %bb.2:
	s_load_b32 s14, s[0:1], 0xfb4
	v_mov_b32_e32 v1, 0
	v_lshl_or_b32 v2, v0, 4, 8
	v_cmp_gt_u64_e64 s16, 0x10000, s[6:7]
	s_mov_b32 s15, 0
	s_delay_alu instid0(VALU_DEP_3) | instskip(NEXT) | instid1(VALU_DEP_3)
	v_mov_b32_e32 v3, v1
	v_add_co_u32 v19, s17, s2, v2
	s_delay_alu instid0(VALU_DEP_1) | instskip(SKIP_1) | instid1(VALU_DEP_1)
	v_add_co_ci_u32_e64 v20, null, s3, 0, s17
	v_add_co_u32 v21, s17, s4, v2
	v_add_co_ci_u32_e64 v22, null, s5, 0, s17
	v_dual_mov_b32 v18, v1 :: v_dual_mov_b32 v17, v0
	s_waitcnt lgkmcnt(0)
	s_and_b32 s24, s14, 0xffff
	s_and_b32 s14, s16, exec_lo
	v_add_lshl_u32 v6, v0, s24, 4
	v_mad_u64_u32 v[4:5], null, s24, 48, v[2:3]
	s_cselect_b32 s17, s7, 0
	s_cselect_b32 s16, s6, 0x10000
	s_delay_alu instid0(VALU_DEP_2) | instskip(NEXT) | instid1(VALU_DEP_1)
	v_add_co_u32 v23, s14, s4, v6
	v_add_co_ci_u32_e64 v24, null, s5, 0, s14
	v_add_co_u32 v27, s14, s2, v6
	s_delay_alu instid0(VALU_DEP_1)
	v_add_co_ci_u32_e64 v28, null, s3, 0, s14
	s_lshl_b32 s14, s24, 5
	v_add_co_u32 v25, vcc_lo, s2, v4
	v_add_co_u32 v2, s14, v2, s14
	v_add_co_ci_u32_e32 v26, vcc_lo, s3, v5, vcc_lo
	v_add_co_ci_u32_e64 v3, null, 0, 0, s14
	v_add_co_u32 v29, vcc_lo, s4, v4
	v_add_co_ci_u32_e32 v30, vcc_lo, s5, v5, vcc_lo
	v_add_co_u32 v31, vcc_lo, s2, v2
	s_delay_alu instid0(VALU_DEP_4)
	v_add_co_ci_u32_e32 v32, vcc_lo, s3, v3, vcc_lo
	v_add_co_u32 v33, vcc_lo, s4, v2
	v_add_co_ci_u32_e32 v34, vcc_lo, s5, v3, vcc_lo
	s_lshl_b32 s14, s24, 2
	s_lshl_b32 s25, s24, 1
	s_mul_i32 s26, s24, 3
	s_lshl_b32 s27, s24, 6
	s_mov_b64 s[18:19], s[14:15]
	s_branch .LBB115_4
.LBB115_3:                              ;   in Loop: Header=BB115_4 Depth=1
	s_or_b32 exec_lo, exec_lo, s2
	v_add_co_u32 v17, vcc_lo, v17, s14
	v_add_co_ci_u32_e32 v18, vcc_lo, 0, v18, vcc_lo
	v_add_co_u32 v19, vcc_lo, v19, s27
	v_add_co_ci_u32_e32 v20, vcc_lo, 0, v20, vcc_lo
	v_add_co_u32 v21, vcc_lo, v21, s27
	v_add_co_ci_u32_e32 v22, vcc_lo, 0, v22, vcc_lo
	v_add_co_u32 v23, vcc_lo, v23, s27
	v_add_co_ci_u32_e32 v24, vcc_lo, 0, v24, vcc_lo
	v_add_co_u32 v25, vcc_lo, v25, s27
	v_add_co_ci_u32_e32 v26, vcc_lo, 0, v26, vcc_lo
	v_add_co_u32 v27, vcc_lo, v27, s27
	v_add_co_ci_u32_e32 v28, vcc_lo, 0, v28, vcc_lo
	v_add_co_u32 v29, vcc_lo, v29, s27
	v_add_co_ci_u32_e32 v30, vcc_lo, 0, v30, vcc_lo
	v_cmp_lt_i64_e64 s2, s[18:19], s[6:7]
	v_cmp_gt_u64_e64 s3, 0x10000, s[18:19]
	v_add_co_u32 v31, vcc_lo, v31, s27
	v_add_co_ci_u32_e32 v32, vcc_lo, 0, v32, vcc_lo
	v_add_co_u32 v33, vcc_lo, v33, s27
	v_add_co_ci_u32_e32 v34, vcc_lo, 0, v34, vcc_lo
	s_and_b32 s2, s2, s3
	s_add_u32 s18, s18, s14
	s_addc_u32 s19, s19, 0
	s_and_b32 vcc_lo, exec_lo, s2
	s_cbranch_vccz .LBB115_20
.LBB115_4:                              ; =>This Inner Loop Header: Depth=1
	s_waitcnt vmcnt(0)
	v_mov_b32_e32 v3, 0
	v_mov_b32_e32 v4, 0
	v_cmp_gt_u64_e32 vcc_lo, s[16:17], v[17:18]
	s_delay_alu instid0(VALU_DEP_2)
	v_dual_mov_b32 v12, v4 :: v_dual_mov_b32 v11, v3
	v_dual_mov_b32 v10, v4 :: v_dual_mov_b32 v9, v3
	s_and_saveexec_b32 s3, vcc_lo
	s_cbranch_execz .LBB115_6
; %bb.5:                                ;   in Loop: Header=BB115_4 Depth=1
	v_add_co_u32 v1, s2, v19, s12
	s_delay_alu instid0(VALU_DEP_1)
	v_add_co_ci_u32_e64 v2, s2, s13, v20, s2
	global_load_b128 v[9:12], v[1:2], off offset:-8
.LBB115_6:                              ;   in Loop: Header=BB115_4 Depth=1
	s_or_b32 exec_lo, exec_lo, s3
	v_add_co_u32 v1, s2, s24, v17
	s_delay_alu instid0(VALU_DEP_1) | instskip(NEXT) | instid1(VALU_DEP_1)
	v_add_co_ci_u32_e64 v2, s2, 0, v18, s2
	v_cmp_gt_u64_e64 s2, s[16:17], v[1:2]
	v_dual_mov_b32 v1, v3 :: v_dual_mov_b32 v2, v4
	s_delay_alu instid0(VALU_DEP_2)
	s_and_saveexec_b32 s4, s2
	s_cbranch_execz .LBB115_8
; %bb.7:                                ;   in Loop: Header=BB115_4 Depth=1
	v_add_co_u32 v1, s3, v27, s12
	s_delay_alu instid0(VALU_DEP_1)
	v_add_co_ci_u32_e64 v2, s3, s13, v28, s3
	global_load_b128 v[1:4], v[1:2], off
.LBB115_8:                              ;   in Loop: Header=BB115_4 Depth=1
	s_or_b32 exec_lo, exec_lo, s4
	v_add_co_u32 v5, s3, s25, v17
	s_delay_alu instid0(VALU_DEP_1) | instskip(SKIP_2) | instid1(VALU_DEP_3)
	v_add_co_ci_u32_e64 v6, s3, 0, v18, s3
	v_mov_b32_e32 v7, 0
	v_mov_b32_e32 v8, 0
	v_cmp_gt_u64_e64 s3, s[16:17], v[5:6]
	s_delay_alu instid0(VALU_DEP_2) | instskip(SKIP_1) | instid1(VALU_DEP_3)
	v_dual_mov_b32 v16, v8 :: v_dual_mov_b32 v15, v7
	v_dual_mov_b32 v14, v8 :: v_dual_mov_b32 v13, v7
	s_and_saveexec_b32 s5, s3
	s_cbranch_execz .LBB115_10
; %bb.9:                                ;   in Loop: Header=BB115_4 Depth=1
	v_add_co_u32 v5, s4, v31, s12
	s_delay_alu instid0(VALU_DEP_1)
	v_add_co_ci_u32_e64 v6, s4, s13, v32, s4
	global_load_b128 v[13:16], v[5:6], off offset:-8
.LBB115_10:                             ;   in Loop: Header=BB115_4 Depth=1
	s_or_b32 exec_lo, exec_lo, s5
	v_add_co_u32 v5, s4, s26, v17
	s_delay_alu instid0(VALU_DEP_1) | instskip(NEXT) | instid1(VALU_DEP_1)
	v_add_co_ci_u32_e64 v6, s4, 0, v18, s4
	v_cmp_gt_u64_e64 s4, s[16:17], v[5:6]
	v_dual_mov_b32 v5, v7 :: v_dual_mov_b32 v6, v8
	s_delay_alu instid0(VALU_DEP_2)
	s_and_saveexec_b32 s15, s4
	s_cbranch_execnz .LBB115_15
; %bb.11:                               ;   in Loop: Header=BB115_4 Depth=1
	s_or_b32 exec_lo, exec_lo, s15
	s_and_saveexec_b32 s5, vcc_lo
	s_cbranch_execnz .LBB115_16
.LBB115_12:                             ;   in Loop: Header=BB115_4 Depth=1
	s_or_b32 exec_lo, exec_lo, s5
	s_and_saveexec_b32 s5, s2
	s_cbranch_execnz .LBB115_17
.LBB115_13:                             ;   in Loop: Header=BB115_4 Depth=1
	s_or_b32 exec_lo, exec_lo, s5
	s_and_saveexec_b32 s2, s3
	s_cbranch_execnz .LBB115_18
.LBB115_14:                             ;   in Loop: Header=BB115_4 Depth=1
	s_or_b32 exec_lo, exec_lo, s2
	s_and_saveexec_b32 s2, s4
	s_cbranch_execz .LBB115_3
	s_branch .LBB115_19
.LBB115_15:                             ;   in Loop: Header=BB115_4 Depth=1
	v_add_co_u32 v5, s5, v25, s12
	s_delay_alu instid0(VALU_DEP_1)
	v_add_co_ci_u32_e64 v6, s5, s13, v26, s5
	global_load_b128 v[5:8], v[5:6], off offset:-8
	s_or_b32 exec_lo, exec_lo, s15
	s_and_saveexec_b32 s5, vcc_lo
	s_cbranch_execz .LBB115_12
.LBB115_16:                             ;   in Loop: Header=BB115_4 Depth=1
	s_waitcnt vmcnt(0)
	v_add_f64 v[11:12], v[11:12], -s[10:11]
	v_add_f64 v[9:10], v[9:10], -s[8:9]
	v_add_co_u32 v35, vcc_lo, v21, s12
	v_add_co_ci_u32_e32 v36, vcc_lo, s13, v22, vcc_lo
	global_store_b128 v[35:36], v[9:12], off offset:-8
	s_or_b32 exec_lo, exec_lo, s5
	s_and_saveexec_b32 s5, s2
	s_cbranch_execz .LBB115_13
.LBB115_17:                             ;   in Loop: Header=BB115_4 Depth=1
	s_waitcnt vmcnt(0)
	v_add_f64 v[1:2], v[1:2], -s[8:9]
	v_add_f64 v[3:4], v[3:4], -s[10:11]
	v_add_co_u32 v9, vcc_lo, v23, s12
	v_add_co_ci_u32_e32 v10, vcc_lo, s13, v24, vcc_lo
	global_store_b128 v[9:10], v[1:4], off
	s_or_b32 exec_lo, exec_lo, s5
	s_and_saveexec_b32 s2, s3
	s_cbranch_execz .LBB115_14
.LBB115_18:                             ;   in Loop: Header=BB115_4 Depth=1
	s_waitcnt vmcnt(0)
	v_add_f64 v[1:2], v[13:14], -s[8:9]
	v_add_f64 v[3:4], v[15:16], -s[10:11]
	v_add_co_u32 v9, vcc_lo, v33, s12
	v_add_co_ci_u32_e32 v10, vcc_lo, s13, v34, vcc_lo
	global_store_b128 v[9:10], v[1:4], off offset:-8
	s_or_b32 exec_lo, exec_lo, s2
	s_and_saveexec_b32 s2, s4
	s_cbranch_execz .LBB115_3
.LBB115_19:                             ;   in Loop: Header=BB115_4 Depth=1
	s_waitcnt vmcnt(0)
	v_add_f64 v[1:2], v[5:6], -s[8:9]
	v_add_f64 v[3:4], v[7:8], -s[10:11]
	v_add_co_u32 v5, vcc_lo, v29, s12
	v_add_co_ci_u32_e32 v6, vcc_lo, s13, v30, vcc_lo
	global_store_b128 v[5:6], v[1:4], off offset:-8
	s_branch .LBB115_3
.LBB115_20:
	s_mov_b32 s14, 0
.LBB115_21:
	s_delay_alu instid0(SALU_CYCLE_1)
	s_and_not1_b32 vcc_lo, exec_lo, s14
	s_cbranch_vccnz .LBB115_25
; %bb.22:
	s_waitcnt vmcnt(0)
	v_dual_mov_b32 v2, 0 :: v_dual_lshlrev_b32 v1, 2, v0
	s_mov_b32 s2, 0
	s_mov_b32 s3, exec_lo
	s_delay_alu instid0(VALU_DEP_1)
	v_cmpx_gt_i64_e64 s[6:7], v[1:2]
	s_cbranch_execz .LBB115_25
; %bb.23:
	s_load_b32 s0, s[0:1], 0xfb4
	s_waitcnt lgkmcnt(0)
	s_and_b32 s0, s0, 0xffff
	s_delay_alu instid0(SALU_CYCLE_1)
	v_add_lshl_u32 v1, v0, s0, 2
	v_lshlrev_b32_e32 v0, 6, v0
	s_lshl_b32 s3, s0, 2
	s_lshl_b32 s4, s0, 6
.LBB115_24:                             ; =>This Inner Loop Header: Depth=1
	s_delay_alu instid0(VALU_DEP_1) | instskip(NEXT) | instid1(VALU_DEP_1)
	v_add_co_u32 v15, s0, s20, v0
	v_add_co_ci_u32_e64 v16, null, s21, 0, s0
	v_cmp_le_i64_e32 vcc_lo, s[6:7], v[1:2]
	v_cmp_lt_u64_e64 s0, 0xffff, v[1:2]
	v_add_co_u32 v19, s1, s22, v0
	s_clause 0x3
	global_load_b128 v[3:6], v[15:16], off
	global_load_b128 v[7:10], v[15:16], off offset:16
	global_load_b128 v[11:14], v[15:16], off offset:32
	global_load_b128 v[15:18], v[15:16], off offset:48
	v_add_co_ci_u32_e64 v20, null, s23, 0, s1
	s_or_b32 s0, vcc_lo, s0
	s_add_u32 s20, s20, s4
	v_add_co_u32 v1, s1, v1, s3
	s_addc_u32 s21, s21, 0
	s_add_u32 s22, s22, s4
	v_add_co_ci_u32_e64 v2, s1, 0, v2, s1
	s_addc_u32 s23, s23, 0
	s_and_b32 s0, exec_lo, s0
	s_delay_alu instid0(SALU_CYCLE_1)
	s_or_b32 s2, s0, s2
	s_waitcnt vmcnt(3)
	v_add_f64 v[3:4], v[3:4], -s[8:9]
	v_add_f64 v[5:6], v[5:6], -s[10:11]
	s_waitcnt vmcnt(2)
	v_add_f64 v[7:8], v[7:8], -s[8:9]
	v_add_f64 v[9:10], v[9:10], -s[10:11]
	;; [unrolled: 3-line block ×4, first 2 shown]
	s_clause 0x3
	global_store_b128 v[19:20], v[3:6], off
	global_store_b128 v[19:20], v[7:10], off offset:16
	global_store_b128 v[19:20], v[11:14], off offset:32
	;; [unrolled: 1-line block ×3, first 2 shown]
	s_and_not1_b32 exec_lo, exec_lo, s2
	s_cbranch_execnz .LBB115_24
.LBB115_25:
	s_nop 0
	s_sendmsg sendmsg(MSG_DEALLOC_VGPRS)
	s_endpgm
	.section	.rodata,"a",@progbits
	.p2align	6, 0x0
	.amdhsa_kernel _ZN2at6native12_GLOBAL__N_125multi_tensor_apply_kernelINS1_28TensorListScalarListMetadataIN3c107complexIdEELi2EEENS1_25BinaryOpScalarListFunctorIS6_Li2ELi1ELi1EEEJSt5minusIS6_EEEEvT_T0_DpT1_
		.amdhsa_group_segment_fixed_size 0
		.amdhsa_private_segment_fixed_size 0
		.amdhsa_kernarg_size 4264
		.amdhsa_user_sgpr_count 15
		.amdhsa_user_sgpr_dispatch_ptr 0
		.amdhsa_user_sgpr_queue_ptr 0
		.amdhsa_user_sgpr_kernarg_segment_ptr 1
		.amdhsa_user_sgpr_dispatch_id 0
		.amdhsa_user_sgpr_private_segment_size 0
		.amdhsa_wavefront_size32 1
		.amdhsa_uses_dynamic_stack 0
		.amdhsa_enable_private_segment 0
		.amdhsa_system_sgpr_workgroup_id_x 1
		.amdhsa_system_sgpr_workgroup_id_y 0
		.amdhsa_system_sgpr_workgroup_id_z 0
		.amdhsa_system_sgpr_workgroup_info 0
		.amdhsa_system_vgpr_workitem_id 0
		.amdhsa_next_free_vgpr 37
		.amdhsa_next_free_sgpr 28
		.amdhsa_reserve_vcc 1
		.amdhsa_float_round_mode_32 0
		.amdhsa_float_round_mode_16_64 0
		.amdhsa_float_denorm_mode_32 3
		.amdhsa_float_denorm_mode_16_64 3
		.amdhsa_dx10_clamp 1
		.amdhsa_ieee_mode 1
		.amdhsa_fp16_overflow 0
		.amdhsa_workgroup_processor_mode 1
		.amdhsa_memory_ordered 1
		.amdhsa_forward_progress 0
		.amdhsa_shared_vgpr_count 0
		.amdhsa_exception_fp_ieee_invalid_op 0
		.amdhsa_exception_fp_denorm_src 0
		.amdhsa_exception_fp_ieee_div_zero 0
		.amdhsa_exception_fp_ieee_overflow 0
		.amdhsa_exception_fp_ieee_underflow 0
		.amdhsa_exception_fp_ieee_inexact 0
		.amdhsa_exception_int_div_zero 0
	.end_amdhsa_kernel
	.section	.text._ZN2at6native12_GLOBAL__N_125multi_tensor_apply_kernelINS1_28TensorListScalarListMetadataIN3c107complexIdEELi2EEENS1_25BinaryOpScalarListFunctorIS6_Li2ELi1ELi1EEEJSt5minusIS6_EEEEvT_T0_DpT1_,"axG",@progbits,_ZN2at6native12_GLOBAL__N_125multi_tensor_apply_kernelINS1_28TensorListScalarListMetadataIN3c107complexIdEELi2EEENS1_25BinaryOpScalarListFunctorIS6_Li2ELi1ELi1EEEJSt5minusIS6_EEEEvT_T0_DpT1_,comdat
.Lfunc_end115:
	.size	_ZN2at6native12_GLOBAL__N_125multi_tensor_apply_kernelINS1_28TensorListScalarListMetadataIN3c107complexIdEELi2EEENS1_25BinaryOpScalarListFunctorIS6_Li2ELi1ELi1EEEJSt5minusIS6_EEEEvT_T0_DpT1_, .Lfunc_end115-_ZN2at6native12_GLOBAL__N_125multi_tensor_apply_kernelINS1_28TensorListScalarListMetadataIN3c107complexIdEELi2EEENS1_25BinaryOpScalarListFunctorIS6_Li2ELi1ELi1EEEJSt5minusIS6_EEEEvT_T0_DpT1_
                                        ; -- End function
	.section	.AMDGPU.csdata,"",@progbits
; Kernel info:
; codeLenInByte = 1584
; NumSgprs: 30
; NumVgprs: 37
; ScratchSize: 0
; MemoryBound: 1
; FloatMode: 240
; IeeeMode: 1
; LDSByteSize: 0 bytes/workgroup (compile time only)
; SGPRBlocks: 3
; VGPRBlocks: 4
; NumSGPRsForWavesPerEU: 30
; NumVGPRsForWavesPerEU: 37
; Occupancy: 16
; WaveLimiterHint : 0
; COMPUTE_PGM_RSRC2:SCRATCH_EN: 0
; COMPUTE_PGM_RSRC2:USER_SGPR: 15
; COMPUTE_PGM_RSRC2:TRAP_HANDLER: 0
; COMPUTE_PGM_RSRC2:TGID_X_EN: 1
; COMPUTE_PGM_RSRC2:TGID_Y_EN: 0
; COMPUTE_PGM_RSRC2:TGID_Z_EN: 0
; COMPUTE_PGM_RSRC2:TIDIG_COMP_CNT: 0
	.section	.text._ZN2at6native12_GLOBAL__N_125multi_tensor_apply_kernelINS1_28TensorListScalarListMetadataIN3c107complexIfEELi2EEENS1_25BinaryOpScalarListFunctorIS6_Li2ELi1ELi1EEEJSt5minusIS6_EEEEvT_T0_DpT1_,"axG",@progbits,_ZN2at6native12_GLOBAL__N_125multi_tensor_apply_kernelINS1_28TensorListScalarListMetadataIN3c107complexIfEELi2EEENS1_25BinaryOpScalarListFunctorIS6_Li2ELi1ELi1EEEJSt5minusIS6_EEEEvT_T0_DpT1_,comdat
	.globl	_ZN2at6native12_GLOBAL__N_125multi_tensor_apply_kernelINS1_28TensorListScalarListMetadataIN3c107complexIfEELi2EEENS1_25BinaryOpScalarListFunctorIS6_Li2ELi1ELi1EEEJSt5minusIS6_EEEEvT_T0_DpT1_ ; -- Begin function _ZN2at6native12_GLOBAL__N_125multi_tensor_apply_kernelINS1_28TensorListScalarListMetadataIN3c107complexIfEELi2EEENS1_25BinaryOpScalarListFunctorIS6_Li2ELi1ELi1EEEJSt5minusIS6_EEEEvT_T0_DpT1_
	.p2align	8
	.type	_ZN2at6native12_GLOBAL__N_125multi_tensor_apply_kernelINS1_28TensorListScalarListMetadataIN3c107complexIfEELi2EEENS1_25BinaryOpScalarListFunctorIS6_Li2ELi1ELi1EEEJSt5minusIS6_EEEEvT_T0_DpT1_,@function
_ZN2at6native12_GLOBAL__N_125multi_tensor_apply_kernelINS1_28TensorListScalarListMetadataIN3c107complexIfEELi2EEENS1_25BinaryOpScalarListFunctorIS6_Li2ELi1ELi1EEEJSt5minusIS6_EEEEvT_T0_DpT1_: ; @_ZN2at6native12_GLOBAL__N_125multi_tensor_apply_kernelINS1_28TensorListScalarListMetadataIN3c107complexIfEELi2EEENS1_25BinaryOpScalarListFunctorIS6_Li2ELi1ELi1EEEJSt5minusIS6_EEEEvT_T0_DpT1_
; %bb.0:
	v_mov_b32_e32 v1, s15
	s_load_b64 s[8:9], s[0:1], 0x4
	s_mul_i32 s0, s15, 3
	s_mul_hi_u32 s1, s15, 3
	v_bfe_u32 v3, v0, 10, 10
	global_load_u8 v1, v1, s[2:3] offset:2048
	s_waitcnt lgkmcnt(0)
	s_lshr_b32 s10, s8, 16
	s_add_u32 s4, s2, s15
	s_addc_u32 s5, s3, 0
	s_add_u32 s0, s4, s0
	s_addc_u32 s1, s5, s1
	s_mul_i32 s10, s10, s9
	s_load_b32 s8, s[0:1], 0x940
	s_mov_b32 s15, 0
	s_delay_alu instid0(SALU_CYCLE_1)
	s_mov_b32 s17, s15
	s_mov_b32 s23, s15
	s_waitcnt vmcnt(0)
	v_readfirstlane_b32 s0, v1
	v_and_b32_e32 v1, 0x3ff, v0
	v_bfe_u32 v0, v0, 20, 10
	s_delay_alu instid0(VALU_DEP_3) | instskip(NEXT) | instid1(VALU_DEP_2)
	s_lshl_b32 s11, s0, 3
	v_mul_lo_u32 v2, s10, v1
	s_clause 0x3
	s_load_b64 s[0:1], s[2:3], s11 offset:0x0
	s_load_b64 s[6:7], s[2:3], s11 offset:0x600
	;; [unrolled: 1-line block ×4, first 2 shown]
	s_delay_alu instid0(VALU_DEP_1) | instskip(SKIP_2) | instid1(SALU_CYCLE_1)
	v_mad_u32_u24 v2, v3, s9, v2
	s_waitcnt lgkmcnt(0)
	s_ashr_i32 s9, s8, 31
	s_lshl_b64 s[10:11], s[8:9], 19
	s_delay_alu instid0(VALU_DEP_1)
	v_add_lshl_u32 v0, v2, v0, 3
	s_add_u32 s18, s0, s10
	s_addc_u32 s19, s1, s11
	s_add_u32 s20, s4, s10
	s_addc_u32 s21, s5, s11
	s_and_b32 s16, s18, 31
	s_and_b32 s22, s12, 3
	;; [unrolled: 1-line block ×3, first 2 shown]
	s_or_b64 s[16:17], s[16:17], s[22:23]
	s_lshl_b64 s[8:9], s[8:9], 16
	s_or_b64 s[14:15], s[14:15], s[16:17]
	s_sub_u32 s8, s12, s8
	s_subb_u32 s9, s13, s9
	s_cmp_eq_u64 s[14:15], 0
	s_mov_b32 s12, -1
	s_cbranch_scc1 .LBB116_19
; %bb.1:
	v_cmp_lt_i64_e64 s12, s[8:9], 1
	s_delay_alu instid0(VALU_DEP_1)
	s_and_b32 vcc_lo, exec_lo, s12
	s_cbranch_vccnz .LBB116_18
; %bb.2:
	s_load_b32 s12, s[2:3], 0xe54
	v_dual_mov_b32 v2, 0 :: v_dual_lshlrev_b32 v3, 3, v1
	s_mov_b64 s[14:15], src_shared_base
	v_cmp_gt_u64_e64 s14, 0x10000, s[8:9]
	v_mov_b32_e32 v13, s15
	s_delay_alu instid0(VALU_DEP_3) | instskip(SKIP_2) | instid1(VALU_DEP_2)
	v_or_b32_e32 v7, 4, v3
	v_mov_b32_e32 v4, v2
	s_mov_b32 s13, 0
	v_add_co_u32 v14, s15, s0, v7
	s_delay_alu instid0(VALU_DEP_1)
	v_add_co_ci_u32_e64 v15, null, s1, 0, s15
	s_waitcnt lgkmcnt(0)
	s_and_b32 s22, s12, 0xffff
	v_add_co_u32 v16, s12, s4, v7
	v_mad_u64_u32 v[5:6], null, s22, 24, v[3:4]
	v_add_co_ci_u32_e64 v17, null, s5, 0, s12
	s_and_b32 s12, s14, exec_lo
	s_cselect_b32 s15, s9, 0
	s_cselect_b32 s14, s8, 0x10000
	s_lshl_b32 s12, s22, 4
	s_delay_alu instid0(VALU_DEP_2)
	v_add_co_u32 v18, vcc_lo, s0, v5
	v_add_co_u32 v4, s12, v7, s12
	v_add_co_ci_u32_e32 v19, vcc_lo, s1, v6, vcc_lo
	v_add_co_u32 v20, vcc_lo, s4, v5
	v_add_co_ci_u32_e64 v5, null, 0, 0, s12
	v_add_co_ci_u32_e32 v21, vcc_lo, s5, v6, vcc_lo
	v_add_lshl_u32 v3, v1, s22, 3
	v_add_co_u32 v24, vcc_lo, s0, v4
	s_delay_alu instid0(VALU_DEP_4) | instskip(SKIP_1) | instid1(VALU_DEP_4)
	v_add_co_ci_u32_e32 v25, vcc_lo, s1, v5, vcc_lo
	v_add_co_u32 v28, vcc_lo, s4, v4
	v_add_co_u32 v22, s12, s4, v3
	v_add_co_u32 v26, s0, s0, v3
	v_add_co_ci_u32_e32 v29, vcc_lo, s5, v5, vcc_lo
	v_mov_b32_e32 v6, v2
	v_add_co_ci_u32_e64 v23, null, s5, 0, s12
	v_add_co_ci_u32_e64 v27, null, s1, 0, s0
	v_mov_b32_e32 v3, v2
	v_dual_mov_b32 v4, v2 :: v_dual_mov_b32 v5, v1
	s_lshl_b32 s12, s22, 2
	s_lshl_b32 s23, s22, 1
	s_mul_i32 s24, s22, 3
	s_lshl_b32 s5, s22, 5
	s_mov_b64 s[16:17], s[12:13]
	s_branch .LBB116_4
.LBB116_3:                              ;   in Loop: Header=BB116_4 Depth=1
	s_or_b32 exec_lo, exec_lo, s0
	v_add_co_u32 v5, vcc_lo, v5, s12
	v_add_co_ci_u32_e32 v6, vcc_lo, 0, v6, vcc_lo
	v_add_co_u32 v14, vcc_lo, v14, s5
	v_add_co_ci_u32_e32 v15, vcc_lo, 0, v15, vcc_lo
	;; [unrolled: 2-line block ×7, first 2 shown]
	v_cmp_lt_i64_e64 s0, s[16:17], s[8:9]
	v_cmp_gt_u64_e64 s1, 0x10000, s[16:17]
	v_add_co_u32 v26, vcc_lo, v26, s5
	v_add_co_ci_u32_e32 v27, vcc_lo, 0, v27, vcc_lo
	v_add_co_u32 v28, vcc_lo, v28, s5
	v_add_co_ci_u32_e32 v29, vcc_lo, 0, v29, vcc_lo
	s_and_b32 s0, s0, s1
	s_add_u32 s16, s16, s12
	s_addc_u32 s17, s17, 0
	s_and_b32 vcc_lo, exec_lo, s0
	s_cbranch_vccz .LBB116_18
.LBB116_4:                              ; =>This Inner Loop Header: Depth=1
	v_cmp_gt_u64_e32 vcc_lo, s[14:15], v[5:6]
	v_dual_mov_b32 v10, 0 :: v_dual_mov_b32 v9, 0
	s_and_saveexec_b32 s1, vcc_lo
	s_cbranch_execz .LBB116_6
; %bb.5:                                ;   in Loop: Header=BB116_4 Depth=1
	v_add_co_u32 v7, s0, v14, s10
	s_delay_alu instid0(VALU_DEP_1)
	v_add_co_ci_u32_e64 v8, s0, s11, v15, s0
	global_load_b64 v[9:10], v[7:8], off offset:-4
.LBB116_6:                              ;   in Loop: Header=BB116_4 Depth=1
	s_or_b32 exec_lo, exec_lo, s1
	v_add_co_u32 v11, s0, s22, v5
	s_delay_alu instid0(VALU_DEP_1) | instskip(SKIP_1) | instid1(VALU_DEP_2)
	v_add_co_ci_u32_e64 v12, s0, 0, v6, s0
	v_mov_b32_e32 v8, 0
	v_cmp_gt_u64_e64 s0, s[14:15], v[11:12]
	v_dual_mov_b32 v11, 0 :: v_dual_mov_b32 v12, 0
	s_delay_alu instid0(VALU_DEP_2)
	s_and_saveexec_b32 s4, s0
	s_cbranch_execz .LBB116_8
; %bb.7:                                ;   in Loop: Header=BB116_4 Depth=1
	v_add_co_u32 v11, s1, v26, s10
	s_delay_alu instid0(VALU_DEP_1)
	v_add_co_ci_u32_e64 v12, s1, s11, v27, s1
	global_load_b64 v[11:12], v[11:12], off
.LBB116_8:                              ;   in Loop: Header=BB116_4 Depth=1
	s_or_b32 exec_lo, exec_lo, s4
	v_add_co_u32 v30, s1, s23, v5
	s_delay_alu instid0(VALU_DEP_1) | instskip(SKIP_1) | instid1(VALU_DEP_2)
	v_add_co_ci_u32_e64 v31, s1, 0, v6, s1
	v_mov_b32_e32 v7, 0
	v_cmp_gt_u64_e64 s1, s[14:15], v[30:31]
	s_delay_alu instid0(VALU_DEP_1)
	s_and_saveexec_b32 s13, s1
	s_cbranch_execz .LBB116_10
; %bb.9:                                ;   in Loop: Header=BB116_4 Depth=1
	v_add_co_u32 v7, s4, v24, s10
	s_delay_alu instid0(VALU_DEP_1)
	v_add_co_ci_u32_e64 v8, s4, s11, v25, s4
	global_load_b64 v[7:8], v[7:8], off offset:-4
.LBB116_10:                             ;   in Loop: Header=BB116_4 Depth=1
	s_or_b32 exec_lo, exec_lo, s13
	v_add_co_u32 v30, s4, s24, v5
	s_delay_alu instid0(VALU_DEP_1) | instskip(SKIP_1) | instid1(VALU_DEP_1)
	v_add_co_ci_u32_e64 v31, s4, 0, v6, s4
	v_add_co_u32 v2, s4, v18, s10
	v_add_co_ci_u32_e64 v32, s4, s11, v19, s4
	s_delay_alu instid0(VALU_DEP_3)
	v_cmp_gt_u64_e64 s4, s[14:15], v[30:31]
	ds_store_b64 v0, v[3:4]
	v_cndmask_b32_e64 v31, v13, v32, s4
	v_cndmask_b32_e64 v30, v0, v2, s4
	flat_load_b64 v[30:31], v[30:31]
	s_waitcnt vmcnt(0) lgkmcnt(0)
	v_dual_subrev_f32 v30, s6, v30 :: v_dual_subrev_f32 v31, s7, v31
	ds_store_b64 v0, v[30:31]
	s_and_saveexec_b32 s13, vcc_lo
	s_cbranch_execnz .LBB116_14
; %bb.11:                               ;   in Loop: Header=BB116_4 Depth=1
	s_or_b32 exec_lo, exec_lo, s13
	s_and_saveexec_b32 s13, s0
	s_cbranch_execnz .LBB116_15
.LBB116_12:                             ;   in Loop: Header=BB116_4 Depth=1
	s_or_b32 exec_lo, exec_lo, s13
	s_and_saveexec_b32 s0, s1
	s_cbranch_execnz .LBB116_16
.LBB116_13:                             ;   in Loop: Header=BB116_4 Depth=1
	s_or_b32 exec_lo, exec_lo, s0
	s_and_saveexec_b32 s0, s4
	s_cbranch_execz .LBB116_3
	s_branch .LBB116_17
.LBB116_14:                             ;   in Loop: Header=BB116_4 Depth=1
	v_add_co_u32 v30, vcc_lo, v16, s10
	v_add_co_ci_u32_e32 v31, vcc_lo, s11, v17, vcc_lo
	v_dual_subrev_f32 v9, s6, v9 :: v_dual_subrev_f32 v10, s7, v10
	global_store_b64 v[30:31], v[9:10], off offset:-4
	s_or_b32 exec_lo, exec_lo, s13
	s_and_saveexec_b32 s13, s0
	s_cbranch_execz .LBB116_12
.LBB116_15:                             ;   in Loop: Header=BB116_4 Depth=1
	v_dual_subrev_f32 v9, s6, v11 :: v_dual_subrev_f32 v10, s7, v12
	v_add_co_u32 v11, vcc_lo, v22, s10
	v_add_co_ci_u32_e32 v12, vcc_lo, s11, v23, vcc_lo
	global_store_b64 v[11:12], v[9:10], off
	s_or_b32 exec_lo, exec_lo, s13
	s_and_saveexec_b32 s0, s1
	s_cbranch_execz .LBB116_13
.LBB116_16:                             ;   in Loop: Header=BB116_4 Depth=1
	v_add_co_u32 v9, vcc_lo, v28, s10
	v_dual_subrev_f32 v7, s6, v7 :: v_dual_subrev_f32 v8, s7, v8
	v_add_co_ci_u32_e32 v10, vcc_lo, s11, v29, vcc_lo
	global_store_b64 v[9:10], v[7:8], off offset:-4
	s_or_b32 exec_lo, exec_lo, s0
	s_and_saveexec_b32 s0, s4
	s_cbranch_execz .LBB116_3
.LBB116_17:                             ;   in Loop: Header=BB116_4 Depth=1
	ds_load_b64 v[7:8], v0
	v_add_co_u32 v9, vcc_lo, v20, s10
	v_add_co_ci_u32_e32 v10, vcc_lo, s11, v21, vcc_lo
	s_waitcnt lgkmcnt(0)
	global_store_b64 v[9:10], v[7:8], off
	s_branch .LBB116_3
.LBB116_18:
	s_mov_b32 s12, 0
.LBB116_19:
	s_delay_alu instid0(SALU_CYCLE_1)
	s_and_not1_b32 vcc_lo, exec_lo, s12
	s_cbranch_vccnz .LBB116_23
; %bb.20:
	v_dual_mov_b32 v3, 0 :: v_dual_lshlrev_b32 v2, 2, v1
	s_mov_b32 s4, 0
	s_mov_b32 s0, exec_lo
	s_delay_alu instid0(VALU_DEP_1)
	v_cmpx_gt_i64_e64 s[8:9], v[2:3]
	s_cbranch_execz .LBB116_23
; %bb.21:
	s_load_b32 s0, s[2:3], 0xe54
	s_waitcnt lgkmcnt(0)
	s_and_b32 s0, s0, 0xffff
	s_delay_alu instid0(SALU_CYCLE_1)
	v_add_lshl_u32 v2, v1, s0, 2
	v_lshlrev_b32_e32 v1, 5, v1
	s_lshl_b32 s2, s0, 2
	s_lshl_b32 s3, s0, 5
	s_set_inst_prefetch_distance 0x1
	.p2align	6
.LBB116_22:                             ; =>This Inner Loop Header: Depth=1
	s_delay_alu instid0(VALU_DEP_1) | instskip(NEXT) | instid1(VALU_DEP_1)
	v_add_co_u32 v8, s0, s18, v1
	v_add_co_ci_u32_e64 v9, null, s19, 0, s0
	v_cmp_le_i64_e32 vcc_lo, s[8:9], v[2:3]
	v_cmp_lt_u64_e64 s0, 0xffff, v[2:3]
	v_add_co_u32 v12, s1, s20, v1
	s_clause 0x1
	global_load_b128 v[4:7], v[8:9], off
	global_load_b128 v[8:11], v[8:9], off offset:16
	v_add_co_ci_u32_e64 v13, null, s21, 0, s1
	s_or_b32 s0, vcc_lo, s0
	s_add_u32 s18, s18, s3
	v_add_co_u32 v2, s1, v2, s2
	s_addc_u32 s19, s19, 0
	s_add_u32 s20, s20, s3
	v_add_co_ci_u32_e64 v3, s1, 0, v3, s1
	s_addc_u32 s21, s21, 0
	s_and_b32 s0, exec_lo, s0
	s_delay_alu instid0(SALU_CYCLE_1)
	s_or_b32 s4, s0, s4
	s_waitcnt vmcnt(1)
	v_dual_subrev_f32 v4, s6, v4 :: v_dual_subrev_f32 v5, s7, v5
	v_dual_subrev_f32 v6, s6, v6 :: v_dual_subrev_f32 v7, s7, v7
	s_waitcnt vmcnt(0)
	v_dual_subrev_f32 v8, s6, v8 :: v_dual_subrev_f32 v11, s7, v11
	v_dual_subrev_f32 v10, s6, v10 :: v_dual_subrev_f32 v9, s7, v9
	ds_store_b64 v0, v[10:11]
	s_clause 0x1
	global_store_b128 v[12:13], v[4:7], off
	global_store_b128 v[12:13], v[8:11], off offset:16
	s_and_not1_b32 exec_lo, exec_lo, s4
	s_cbranch_execnz .LBB116_22
.LBB116_23:
	s_set_inst_prefetch_distance 0x2
	s_nop 0
	s_sendmsg sendmsg(MSG_DEALLOC_VGPRS)
	s_endpgm
	.section	.rodata,"a",@progbits
	.p2align	6, 0x0
	.amdhsa_kernel _ZN2at6native12_GLOBAL__N_125multi_tensor_apply_kernelINS1_28TensorListScalarListMetadataIN3c107complexIfEELi2EEENS1_25BinaryOpScalarListFunctorIS6_Li2ELi1ELi1EEEJSt5minusIS6_EEEEvT_T0_DpT1_
		.amdhsa_group_segment_fixed_size 4096
		.amdhsa_private_segment_fixed_size 0
		.amdhsa_kernarg_size 3912
		.amdhsa_user_sgpr_count 15
		.amdhsa_user_sgpr_dispatch_ptr 1
		.amdhsa_user_sgpr_queue_ptr 0
		.amdhsa_user_sgpr_kernarg_segment_ptr 1
		.amdhsa_user_sgpr_dispatch_id 0
		.amdhsa_user_sgpr_private_segment_size 0
		.amdhsa_wavefront_size32 1
		.amdhsa_uses_dynamic_stack 0
		.amdhsa_enable_private_segment 0
		.amdhsa_system_sgpr_workgroup_id_x 1
		.amdhsa_system_sgpr_workgroup_id_y 0
		.amdhsa_system_sgpr_workgroup_id_z 0
		.amdhsa_system_sgpr_workgroup_info 0
		.amdhsa_system_vgpr_workitem_id 2
		.amdhsa_next_free_vgpr 33
		.amdhsa_next_free_sgpr 25
		.amdhsa_reserve_vcc 1
		.amdhsa_float_round_mode_32 0
		.amdhsa_float_round_mode_16_64 0
		.amdhsa_float_denorm_mode_32 3
		.amdhsa_float_denorm_mode_16_64 3
		.amdhsa_dx10_clamp 1
		.amdhsa_ieee_mode 1
		.amdhsa_fp16_overflow 0
		.amdhsa_workgroup_processor_mode 1
		.amdhsa_memory_ordered 1
		.amdhsa_forward_progress 0
		.amdhsa_shared_vgpr_count 0
		.amdhsa_exception_fp_ieee_invalid_op 0
		.amdhsa_exception_fp_denorm_src 0
		.amdhsa_exception_fp_ieee_div_zero 0
		.amdhsa_exception_fp_ieee_overflow 0
		.amdhsa_exception_fp_ieee_underflow 0
		.amdhsa_exception_fp_ieee_inexact 0
		.amdhsa_exception_int_div_zero 0
	.end_amdhsa_kernel
	.section	.text._ZN2at6native12_GLOBAL__N_125multi_tensor_apply_kernelINS1_28TensorListScalarListMetadataIN3c107complexIfEELi2EEENS1_25BinaryOpScalarListFunctorIS6_Li2ELi1ELi1EEEJSt5minusIS6_EEEEvT_T0_DpT1_,"axG",@progbits,_ZN2at6native12_GLOBAL__N_125multi_tensor_apply_kernelINS1_28TensorListScalarListMetadataIN3c107complexIfEELi2EEENS1_25BinaryOpScalarListFunctorIS6_Li2ELi1ELi1EEEJSt5minusIS6_EEEEvT_T0_DpT1_,comdat
.Lfunc_end116:
	.size	_ZN2at6native12_GLOBAL__N_125multi_tensor_apply_kernelINS1_28TensorListScalarListMetadataIN3c107complexIfEELi2EEENS1_25BinaryOpScalarListFunctorIS6_Li2ELi1ELi1EEEJSt5minusIS6_EEEEvT_T0_DpT1_, .Lfunc_end116-_ZN2at6native12_GLOBAL__N_125multi_tensor_apply_kernelINS1_28TensorListScalarListMetadataIN3c107complexIfEELi2EEENS1_25BinaryOpScalarListFunctorIS6_Li2ELi1ELi1EEEJSt5minusIS6_EEEEvT_T0_DpT1_
                                        ; -- End function
	.section	.AMDGPU.csdata,"",@progbits
; Kernel info:
; codeLenInByte = 1536
; NumSgprs: 27
; NumVgprs: 33
; ScratchSize: 0
; MemoryBound: 0
; FloatMode: 240
; IeeeMode: 1
; LDSByteSize: 4096 bytes/workgroup (compile time only)
; SGPRBlocks: 3
; VGPRBlocks: 4
; NumSGPRsForWavesPerEU: 27
; NumVGPRsForWavesPerEU: 33
; Occupancy: 16
; WaveLimiterHint : 1
; COMPUTE_PGM_RSRC2:SCRATCH_EN: 0
; COMPUTE_PGM_RSRC2:USER_SGPR: 15
; COMPUTE_PGM_RSRC2:TRAP_HANDLER: 0
; COMPUTE_PGM_RSRC2:TGID_X_EN: 1
; COMPUTE_PGM_RSRC2:TGID_Y_EN: 0
; COMPUTE_PGM_RSRC2:TGID_Z_EN: 0
; COMPUTE_PGM_RSRC2:TIDIG_COMP_CNT: 2
	.section	.text._ZN2at6native12_GLOBAL__N_125multi_tensor_apply_kernelINS1_28TensorListScalarListMetadataIbLi2EEENS1_25BinaryOpScalarListFunctorIbLi2ELi1ELi1EEEJSt5minusIbEEEEvT_T0_DpT1_,"axG",@progbits,_ZN2at6native12_GLOBAL__N_125multi_tensor_apply_kernelINS1_28TensorListScalarListMetadataIbLi2EEENS1_25BinaryOpScalarListFunctorIbLi2ELi1ELi1EEEJSt5minusIbEEEEvT_T0_DpT1_,comdat
	.globl	_ZN2at6native12_GLOBAL__N_125multi_tensor_apply_kernelINS1_28TensorListScalarListMetadataIbLi2EEENS1_25BinaryOpScalarListFunctorIbLi2ELi1ELi1EEEJSt5minusIbEEEEvT_T0_DpT1_ ; -- Begin function _ZN2at6native12_GLOBAL__N_125multi_tensor_apply_kernelINS1_28TensorListScalarListMetadataIbLi2EEENS1_25BinaryOpScalarListFunctorIbLi2ELi1ELi1EEEJSt5minusIbEEEEvT_T0_DpT1_
	.p2align	8
	.type	_ZN2at6native12_GLOBAL__N_125multi_tensor_apply_kernelINS1_28TensorListScalarListMetadataIbLi2EEENS1_25BinaryOpScalarListFunctorIbLi2ELi1ELi1EEEJSt5minusIbEEEEvT_T0_DpT1_,@function
_ZN2at6native12_GLOBAL__N_125multi_tensor_apply_kernelINS1_28TensorListScalarListMetadataIbLi2EEENS1_25BinaryOpScalarListFunctorIbLi2ELi1ELi1EEEJSt5minusIbEEEEvT_T0_DpT1_: ; @_ZN2at6native12_GLOBAL__N_125multi_tensor_apply_kernelINS1_28TensorListScalarListMetadataIbLi2EEENS1_25BinaryOpScalarListFunctorIbLi2ELi1ELi1EEEJSt5minusIbEEEEvT_T0_DpT1_
; %bb.0:
	v_mov_b32_e32 v1, s15
	s_mul_i32 s4, s15, 3
	s_mul_hi_u32 s5, s15, 3
	global_load_u8 v3, v1, s[0:1] offset:1600
	s_waitcnt vmcnt(0)
	v_add_co_u32 v1, s2, s0, v3
	s_delay_alu instid0(VALU_DEP_1)
	v_add_co_ci_u32_e64 v2, null, s1, 0, s2
	s_add_u32 s2, s0, s15
	s_addc_u32 s3, s1, 0
	s_add_u32 s2, s2, s4
	global_load_u8 v2, v[1:2], off offset:1536
	s_addc_u32 s3, s3, s5
	v_readfirstlane_b32 s4, v3
	s_load_b32 s6, s[2:3], 0x780
	s_delay_alu instid0(VALU_DEP_1)
	s_lshl_b32 s7, s4, 3
	s_clause 0x2
	s_load_b64 s[4:5], s[0:1], s7 offset:0x0
	s_load_b64 s[2:3], s[0:1], s7 offset:0x200
	;; [unrolled: 1-line block ×3, first 2 shown]
	s_waitcnt lgkmcnt(0)
	s_ashr_i32 s7, s6, 31
	s_delay_alu instid0(SALU_CYCLE_1) | instskip(NEXT) | instid1(SALU_CYCLE_1)
	s_lshl_b64 s[12:13], s[6:7], 16
	s_add_u32 s6, s4, s12
	s_addc_u32 s7, s5, s13
	s_add_u32 s14, s2, s12
	s_addc_u32 s15, s3, s13
	s_or_b64 s[10:11], s[8:9], s[6:7]
	s_delay_alu instid0(SALU_CYCLE_1) | instskip(NEXT) | instid1(SALU_CYCLE_1)
	s_or_b32 s10, s14, s10
	s_and_b32 s10, s10, 3
	s_sub_u32 s8, s8, s12
	s_subb_u32 s9, s9, s13
	s_cmp_eq_u32 s10, 0
	s_mov_b32 s10, -1
	s_cbranch_scc1 .LBB117_21
; %bb.1:
	v_cmp_lt_i64_e64 s10, s[8:9], 1
	s_delay_alu instid0(VALU_DEP_1)
	s_and_b32 vcc_lo, exec_lo, s10
	s_cbranch_vccnz .LBB117_20
; %bb.2:
	s_load_b32 s10, s[0:1], 0xc94
	v_add_co_u32 v16, s11, s12, v0
	s_delay_alu instid0(VALU_DEP_1) | instskip(SKIP_1) | instid1(VALU_DEP_3)
	v_add_co_ci_u32_e64 v17, null, s13, 0, s11
	v_cmp_gt_u64_e64 s11, 0x10000, s[8:9]
	v_add_co_u32 v1, vcc_lo, s4, v16
	s_delay_alu instid0(VALU_DEP_3)
	v_add_co_ci_u32_e32 v3, vcc_lo, s5, v17, vcc_lo
	v_add_co_u32 v4, vcc_lo, s2, v16
	v_add_co_ci_u32_e32 v5, vcc_lo, s3, v17, vcc_lo
	s_waitcnt vmcnt(0)
	v_and_b32_e32 v24, 0xff, v2
	s_waitcnt lgkmcnt(0)
	s_and_b32 s17, s10, 0xffff
	s_and_b32 s10, s11, exec_lo
	s_mul_i32 s19, s17, 3
	s_cselect_b32 s11, s9, 0
	s_cselect_b32 s10, s8, 0x10000
	s_lshl_b32 s18, s17, 1
	s_lshl_b32 s16, s17, 2
	s_add_u32 s20, s12, s19
	s_addc_u32 s21, s13, 0
	v_add_co_u32 v8, s20, s20, v0
	s_delay_alu instid0(VALU_DEP_1) | instskip(SKIP_1) | instid1(VALU_DEP_2)
	v_add_co_ci_u32_e64 v9, null, s21, 0, s20
	s_add_u32 s12, s12, s18
	v_add_co_u32 v6, vcc_lo, s4, v8
	s_addc_u32 s13, s13, 0
	v_add_co_u32 v14, s12, s12, v0
	v_add_co_ci_u32_e32 v7, vcc_lo, s5, v9, vcc_lo
	v_add_co_u32 v8, vcc_lo, s2, v8
	v_add_co_ci_u32_e64 v15, null, s13, 0, s12
	v_add_co_ci_u32_e32 v9, vcc_lo, s3, v9, vcc_lo
	v_add_co_u32 v12, vcc_lo, s4, v14
	s_delay_alu instid0(VALU_DEP_3)
	v_add_co_ci_u32_e32 v13, vcc_lo, s5, v15, vcc_lo
	v_add_co_u32 v14, vcc_lo, s2, v14
	v_add_co_ci_u32_e32 v15, vcc_lo, s3, v15, vcc_lo
	v_add_co_u32 v20, vcc_lo, v16, s17
	v_add_co_ci_u32_e32 v21, vcc_lo, 0, v17, vcc_lo
	v_add_co_u32 v10, s12, s19, v0
	s_delay_alu instid0(VALU_DEP_3) | instskip(NEXT) | instid1(VALU_DEP_3)
	v_add_co_u32 v18, vcc_lo, s4, v20
	v_add_co_ci_u32_e32 v19, vcc_lo, s5, v21, vcc_lo
	v_add_co_ci_u32_e64 v11, null, 0, 0, s12
	v_add_co_u32 v16, s12, s18, v0
	v_add_co_u32 v20, vcc_lo, s2, v20
	v_add_co_u32 v22, s2, v0, s17
	v_add_co_ci_u32_e64 v17, null, 0, 0, s12
	v_add_co_ci_u32_e32 v21, vcc_lo, s3, v21, vcc_lo
	v_add_co_ci_u32_e64 v23, null, 0, 0, s2
	s_mov_b64 s[12:13], 0
	s_branch .LBB117_4
.LBB117_3:                              ;   in Loop: Header=BB117_4 Depth=1
	s_or_b32 exec_lo, exec_lo, s2
	s_add_u32 s12, s12, s16
	s_addc_u32 s13, s13, 0
	s_delay_alu instid0(SALU_CYCLE_1) | instskip(SKIP_1) | instid1(VALU_DEP_1)
	v_cmp_lt_i64_e64 s2, s[12:13], s[8:9]
	v_cmp_gt_u64_e64 s3, 0x10000, s[12:13]
	s_and_b32 s2, s2, s3
	s_delay_alu instid0(SALU_CYCLE_1)
	s_and_b32 vcc_lo, exec_lo, s2
	s_cbranch_vccz .LBB117_20
.LBB117_4:                              ; =>This Inner Loop Header: Depth=1
	s_waitcnt vmcnt(0)
	v_add_co_u32 v25, s2, v0, s12
	s_delay_alu instid0(VALU_DEP_1) | instskip(NEXT) | instid1(VALU_DEP_1)
	v_add_co_ci_u32_e64 v26, null, 0, s13, s2
	v_cmp_gt_u64_e32 vcc_lo, s[10:11], v[25:26]
	v_mov_b32_e32 v26, 0
	s_and_saveexec_b32 s3, vcc_lo
	s_cbranch_execz .LBB117_6
; %bb.5:                                ;   in Loop: Header=BB117_4 Depth=1
	v_add_co_u32 v25, s2, v1, s12
	s_delay_alu instid0(VALU_DEP_1)
	v_add_co_ci_u32_e64 v26, s2, s13, v3, s2
	global_load_u8 v26, v[25:26], off
.LBB117_6:                              ;   in Loop: Header=BB117_4 Depth=1
	s_or_b32 exec_lo, exec_lo, s3
	v_add_co_u32 v27, s2, v22, s12
	s_delay_alu instid0(VALU_DEP_1) | instskip(NEXT) | instid1(VALU_DEP_1)
	v_add_co_ci_u32_e64 v28, s2, s13, v23, s2
	v_cmp_gt_u64_e64 s2, s[10:11], v[27:28]
	v_mov_b32_e32 v27, 0
	s_delay_alu instid0(VALU_DEP_2)
	s_and_saveexec_b32 s4, s2
	s_cbranch_execz .LBB117_8
; %bb.7:                                ;   in Loop: Header=BB117_4 Depth=1
	v_add_co_u32 v27, s3, v18, s12
	s_delay_alu instid0(VALU_DEP_1)
	v_add_co_ci_u32_e64 v28, s3, s13, v19, s3
	global_load_u8 v27, v[27:28], off
.LBB117_8:                              ;   in Loop: Header=BB117_4 Depth=1
	s_or_b32 exec_lo, exec_lo, s4
	v_add_co_u32 v28, s3, v16, s12
	s_delay_alu instid0(VALU_DEP_1) | instskip(SKIP_1) | instid1(VALU_DEP_2)
	v_add_co_ci_u32_e64 v29, s3, s13, v17, s3
	v_mov_b32_e32 v25, 0
	v_cmp_gt_u64_e64 s3, s[10:11], v[28:29]
	v_mov_b32_e32 v28, 0
	s_delay_alu instid0(VALU_DEP_2)
	s_and_saveexec_b32 s5, s3
	s_cbranch_execz .LBB117_10
; %bb.9:                                ;   in Loop: Header=BB117_4 Depth=1
	v_add_co_u32 v28, s4, v12, s12
	s_delay_alu instid0(VALU_DEP_1)
	v_add_co_ci_u32_e64 v29, s4, s13, v13, s4
	global_load_u8 v28, v[28:29], off
.LBB117_10:                             ;   in Loop: Header=BB117_4 Depth=1
	s_or_b32 exec_lo, exec_lo, s5
	v_add_co_u32 v29, s4, v10, s12
	s_delay_alu instid0(VALU_DEP_1) | instskip(NEXT) | instid1(VALU_DEP_1)
	v_add_co_ci_u32_e64 v30, s4, s13, v11, s4
	v_cmp_gt_u64_e64 s4, s[10:11], v[29:30]
	s_delay_alu instid0(VALU_DEP_1)
	s_and_saveexec_b32 s17, s4
	s_cbranch_execnz .LBB117_15
; %bb.11:                               ;   in Loop: Header=BB117_4 Depth=1
	s_or_b32 exec_lo, exec_lo, s17
	s_and_saveexec_b32 s5, vcc_lo
	s_cbranch_execnz .LBB117_16
.LBB117_12:                             ;   in Loop: Header=BB117_4 Depth=1
	s_or_b32 exec_lo, exec_lo, s5
	s_and_saveexec_b32 s5, s2
	s_cbranch_execnz .LBB117_17
.LBB117_13:                             ;   in Loop: Header=BB117_4 Depth=1
	s_or_b32 exec_lo, exec_lo, s5
	s_and_saveexec_b32 s2, s3
	s_cbranch_execnz .LBB117_18
.LBB117_14:                             ;   in Loop: Header=BB117_4 Depth=1
	s_or_b32 exec_lo, exec_lo, s2
	s_and_saveexec_b32 s2, s4
	s_cbranch_execz .LBB117_3
	s_branch .LBB117_19
.LBB117_15:                             ;   in Loop: Header=BB117_4 Depth=1
	v_add_co_u32 v29, s5, v6, s12
	s_delay_alu instid0(VALU_DEP_1)
	v_add_co_ci_u32_e64 v30, s5, s13, v7, s5
	global_load_u8 v25, v[29:30], off
	s_or_b32 exec_lo, exec_lo, s17
	s_and_saveexec_b32 s5, vcc_lo
	s_cbranch_execz .LBB117_12
.LBB117_16:                             ;   in Loop: Header=BB117_4 Depth=1
	s_waitcnt vmcnt(0)
	v_and_b32_e32 v26, 0xff, v26
	s_delay_alu instid0(VALU_DEP_1)
	v_cmp_ne_u16_e32 vcc_lo, v26, v24
	v_cndmask_b32_e64 v26, 0, 1, vcc_lo
	v_add_co_u32 v29, vcc_lo, v4, s12
	v_add_co_ci_u32_e32 v30, vcc_lo, s13, v5, vcc_lo
	global_store_b8 v[29:30], v26, off
	s_or_b32 exec_lo, exec_lo, s5
	s_and_saveexec_b32 s5, s2
	s_cbranch_execz .LBB117_13
.LBB117_17:                             ;   in Loop: Header=BB117_4 Depth=1
	s_waitcnt vmcnt(0)
	v_and_b32_e32 v26, 0xff, v27
	s_delay_alu instid0(VALU_DEP_1)
	v_cmp_ne_u16_e32 vcc_lo, v26, v24
	v_cndmask_b32_e64 v29, 0, 1, vcc_lo
	v_add_co_u32 v26, vcc_lo, v20, s12
	v_add_co_ci_u32_e32 v27, vcc_lo, s13, v21, vcc_lo
	global_store_b8 v[26:27], v29, off
	s_or_b32 exec_lo, exec_lo, s5
	s_and_saveexec_b32 s2, s3
	s_cbranch_execz .LBB117_14
.LBB117_18:                             ;   in Loop: Header=BB117_4 Depth=1
	s_waitcnt vmcnt(0)
	v_and_b32_e32 v26, 0xff, v28
	s_delay_alu instid0(VALU_DEP_1)
	v_cmp_ne_u16_e32 vcc_lo, v26, v24
	v_cndmask_b32_e64 v28, 0, 1, vcc_lo
	v_add_co_u32 v26, vcc_lo, v14, s12
	v_add_co_ci_u32_e32 v27, vcc_lo, s13, v15, vcc_lo
	global_store_b8 v[26:27], v28, off
	s_or_b32 exec_lo, exec_lo, s2
	s_and_saveexec_b32 s2, s4
	s_cbranch_execz .LBB117_3
.LBB117_19:                             ;   in Loop: Header=BB117_4 Depth=1
	s_waitcnt vmcnt(0)
	v_and_b32_e32 v25, 0xff, v25
	s_delay_alu instid0(VALU_DEP_1)
	v_cmp_ne_u16_e32 vcc_lo, v25, v24
	v_cndmask_b32_e64 v27, 0, 1, vcc_lo
	v_add_co_u32 v25, vcc_lo, v8, s12
	v_add_co_ci_u32_e32 v26, vcc_lo, s13, v9, vcc_lo
	global_store_b8 v[25:26], v27, off
	s_branch .LBB117_3
.LBB117_20:
	s_mov_b32 s10, 0
.LBB117_21:
	s_delay_alu instid0(SALU_CYCLE_1)
	s_and_not1_b32 vcc_lo, exec_lo, s10
	s_cbranch_vccnz .LBB117_25
; %bb.22:
	v_dual_mov_b32 v1, 0 :: v_dual_lshlrev_b32 v0, 2, v0
	s_mov_b32 s2, exec_lo
	s_delay_alu instid0(VALU_DEP_1)
	v_cmpx_gt_i64_e64 s[8:9], v[0:1]
	s_cbranch_execz .LBB117_25
; %bb.23:
	s_load_b32 s0, s[0:1], 0xc94
	s_waitcnt vmcnt(0)
	v_and_b32_e32 v2, 0xff, v2
	s_mov_b32 s2, 0
	s_waitcnt lgkmcnt(0)
	s_and_b32 s0, s0, 0xffff
	s_delay_alu instid0(SALU_CYCLE_1)
	s_lshl_b32 s1, s0, 2
.LBB117_24:                             ; =>This Inner Loop Header: Depth=1
	v_add_co_u32 v3, vcc_lo, s6, v0
	v_add_co_ci_u32_e32 v4, vcc_lo, s7, v1, vcc_lo
	global_load_b32 v5, v[3:4], off
	v_add_co_u32 v3, vcc_lo, s14, v0
	v_add_co_ci_u32_e32 v4, vcc_lo, s15, v1, vcc_lo
	v_add_co_u32 v0, vcc_lo, s1, v0
	v_add_co_ci_u32_e32 v1, vcc_lo, 0, v1, vcc_lo
	s_delay_alu instid0(VALU_DEP_1)
	v_cmp_lt_u64_e64 s0, 0xffff, v[0:1]
	s_waitcnt vmcnt(0)
	v_lshrrev_b32_e32 v8, 24, v5
	v_lshrrev_b32_e32 v6, 16, v5
	v_lshrrev_b32_e32 v7, 8, v5
	v_and_b32_e32 v5, 0xff, v5
	s_delay_alu instid0(VALU_DEP_4) | instskip(NEXT) | instid1(VALU_DEP_4)
	v_cmp_ne_u16_e32 vcc_lo, v2, v8
	v_and_b32_e32 v6, 0xff, v6
	s_delay_alu instid0(VALU_DEP_4) | instskip(SKIP_2) | instid1(VALU_DEP_2)
	v_and_b32_e32 v7, 0xff, v7
	v_cndmask_b32_e64 v8, 0, 1, vcc_lo
	v_cmp_ne_u16_e32 vcc_lo, v2, v5
	v_lshlrev_b32_e32 v8, 24, v8
	v_cndmask_b32_e64 v5, 0, 1, vcc_lo
	v_cmp_ne_u16_e32 vcc_lo, v2, v7
	v_cndmask_b32_e64 v7, 0, 1, vcc_lo
	v_cmp_ne_u16_e32 vcc_lo, v2, v6
	s_delay_alu instid0(VALU_DEP_2) | instskip(SKIP_2) | instid1(VALU_DEP_2)
	v_lshlrev_b32_e32 v7, 8, v7
	v_cndmask_b32_e64 v6, 0, 1, vcc_lo
	v_cmp_le_i64_e32 vcc_lo, s[8:9], v[0:1]
	v_lshl_or_b32 v5, v6, 16, v5
	s_or_b32 s0, vcc_lo, s0
	s_delay_alu instid0(SALU_CYCLE_1) | instskip(NEXT) | instid1(VALU_DEP_1)
	s_and_b32 s0, exec_lo, s0
	v_or3_b32 v5, v5, v8, v7
	s_or_b32 s2, s0, s2
	global_store_b32 v[3:4], v5, off
	s_and_not1_b32 exec_lo, exec_lo, s2
	s_cbranch_execnz .LBB117_24
.LBB117_25:
	s_nop 0
	s_sendmsg sendmsg(MSG_DEALLOC_VGPRS)
	s_endpgm
	.section	.rodata,"a",@progbits
	.p2align	6, 0x0
	.amdhsa_kernel _ZN2at6native12_GLOBAL__N_125multi_tensor_apply_kernelINS1_28TensorListScalarListMetadataIbLi2EEENS1_25BinaryOpScalarListFunctorIbLi2ELi1ELi1EEEJSt5minusIbEEEEvT_T0_DpT1_
		.amdhsa_group_segment_fixed_size 0
		.amdhsa_private_segment_fixed_size 0
		.amdhsa_kernarg_size 3464
		.amdhsa_user_sgpr_count 15
		.amdhsa_user_sgpr_dispatch_ptr 0
		.amdhsa_user_sgpr_queue_ptr 0
		.amdhsa_user_sgpr_kernarg_segment_ptr 1
		.amdhsa_user_sgpr_dispatch_id 0
		.amdhsa_user_sgpr_private_segment_size 0
		.amdhsa_wavefront_size32 1
		.amdhsa_uses_dynamic_stack 0
		.amdhsa_enable_private_segment 0
		.amdhsa_system_sgpr_workgroup_id_x 1
		.amdhsa_system_sgpr_workgroup_id_y 0
		.amdhsa_system_sgpr_workgroup_id_z 0
		.amdhsa_system_sgpr_workgroup_info 0
		.amdhsa_system_vgpr_workitem_id 0
		.amdhsa_next_free_vgpr 31
		.amdhsa_next_free_sgpr 22
		.amdhsa_reserve_vcc 1
		.amdhsa_float_round_mode_32 0
		.amdhsa_float_round_mode_16_64 0
		.amdhsa_float_denorm_mode_32 3
		.amdhsa_float_denorm_mode_16_64 3
		.amdhsa_dx10_clamp 1
		.amdhsa_ieee_mode 1
		.amdhsa_fp16_overflow 0
		.amdhsa_workgroup_processor_mode 1
		.amdhsa_memory_ordered 1
		.amdhsa_forward_progress 0
		.amdhsa_shared_vgpr_count 0
		.amdhsa_exception_fp_ieee_invalid_op 0
		.amdhsa_exception_fp_denorm_src 0
		.amdhsa_exception_fp_ieee_div_zero 0
		.amdhsa_exception_fp_ieee_overflow 0
		.amdhsa_exception_fp_ieee_underflow 0
		.amdhsa_exception_fp_ieee_inexact 0
		.amdhsa_exception_int_div_zero 0
	.end_amdhsa_kernel
	.section	.text._ZN2at6native12_GLOBAL__N_125multi_tensor_apply_kernelINS1_28TensorListScalarListMetadataIbLi2EEENS1_25BinaryOpScalarListFunctorIbLi2ELi1ELi1EEEJSt5minusIbEEEEvT_T0_DpT1_,"axG",@progbits,_ZN2at6native12_GLOBAL__N_125multi_tensor_apply_kernelINS1_28TensorListScalarListMetadataIbLi2EEENS1_25BinaryOpScalarListFunctorIbLi2ELi1ELi1EEEJSt5minusIbEEEEvT_T0_DpT1_,comdat
.Lfunc_end117:
	.size	_ZN2at6native12_GLOBAL__N_125multi_tensor_apply_kernelINS1_28TensorListScalarListMetadataIbLi2EEENS1_25BinaryOpScalarListFunctorIbLi2ELi1ELi1EEEJSt5minusIbEEEEvT_T0_DpT1_, .Lfunc_end117-_ZN2at6native12_GLOBAL__N_125multi_tensor_apply_kernelINS1_28TensorListScalarListMetadataIbLi2EEENS1_25BinaryOpScalarListFunctorIbLi2ELi1ELi1EEEJSt5minusIbEEEEvT_T0_DpT1_
                                        ; -- End function
	.section	.AMDGPU.csdata,"",@progbits
; Kernel info:
; codeLenInByte = 1488
; NumSgprs: 24
; NumVgprs: 31
; ScratchSize: 0
; MemoryBound: 0
; FloatMode: 240
; IeeeMode: 1
; LDSByteSize: 0 bytes/workgroup (compile time only)
; SGPRBlocks: 2
; VGPRBlocks: 3
; NumSGPRsForWavesPerEU: 24
; NumVGPRsForWavesPerEU: 31
; Occupancy: 16
; WaveLimiterHint : 0
; COMPUTE_PGM_RSRC2:SCRATCH_EN: 0
; COMPUTE_PGM_RSRC2:USER_SGPR: 15
; COMPUTE_PGM_RSRC2:TRAP_HANDLER: 0
; COMPUTE_PGM_RSRC2:TGID_X_EN: 1
; COMPUTE_PGM_RSRC2:TGID_Y_EN: 0
; COMPUTE_PGM_RSRC2:TGID_Z_EN: 0
; COMPUTE_PGM_RSRC2:TIDIG_COMP_CNT: 0
	.section	.text._ZN2at6native12_GLOBAL__N_125multi_tensor_apply_kernelINS1_28TensorListScalarListMetadataIfLi2EEENS1_25BinaryOpScalarListFunctorIN3c104HalfELi2ELi1ELi1EEEJSt5minusIfEEEEvT_T0_DpT1_,"axG",@progbits,_ZN2at6native12_GLOBAL__N_125multi_tensor_apply_kernelINS1_28TensorListScalarListMetadataIfLi2EEENS1_25BinaryOpScalarListFunctorIN3c104HalfELi2ELi1ELi1EEEJSt5minusIfEEEEvT_T0_DpT1_,comdat
	.globl	_ZN2at6native12_GLOBAL__N_125multi_tensor_apply_kernelINS1_28TensorListScalarListMetadataIfLi2EEENS1_25BinaryOpScalarListFunctorIN3c104HalfELi2ELi1ELi1EEEJSt5minusIfEEEEvT_T0_DpT1_ ; -- Begin function _ZN2at6native12_GLOBAL__N_125multi_tensor_apply_kernelINS1_28TensorListScalarListMetadataIfLi2EEENS1_25BinaryOpScalarListFunctorIN3c104HalfELi2ELi1ELi1EEEJSt5minusIfEEEEvT_T0_DpT1_
	.p2align	8
	.type	_ZN2at6native12_GLOBAL__N_125multi_tensor_apply_kernelINS1_28TensorListScalarListMetadataIfLi2EEENS1_25BinaryOpScalarListFunctorIN3c104HalfELi2ELi1ELi1EEEJSt5minusIfEEEEvT_T0_DpT1_,@function
_ZN2at6native12_GLOBAL__N_125multi_tensor_apply_kernelINS1_28TensorListScalarListMetadataIfLi2EEENS1_25BinaryOpScalarListFunctorIN3c104HalfELi2ELi1ELi1EEEJSt5minusIfEEEEvT_T0_DpT1_: ; @_ZN2at6native12_GLOBAL__N_125multi_tensor_apply_kernelINS1_28TensorListScalarListMetadataIfLi2EEENS1_25BinaryOpScalarListFunctorIN3c104HalfELi2ELi1ELi1EEEJSt5minusIfEEEEvT_T0_DpT1_
; %bb.0:
	v_mov_b32_e32 v1, s15
	s_add_u32 s2, s0, s15
	s_mul_hi_u32 s3, s15, 3
	s_mul_i32 s15, s15, 3
	s_addc_u32 s4, s1, 0
	global_load_u8 v1, v1, s[0:1] offset:1792
	s_add_u32 s2, s2, s15
	s_addc_u32 s3, s4, s3
	s_mov_b32 s15, 0
	s_load_b32 s2, s[2:3], 0x840
	s_waitcnt vmcnt(0)
	v_readfirstlane_b32 s3, v1
	v_lshlrev_b32_e32 v1, 2, v1
	s_delay_alu instid0(VALU_DEP_2)
	s_lshl_b32 s8, s3, 3
	s_waitcnt lgkmcnt(0)
	s_ashr_i32 s3, s2, 31
	s_add_u32 s9, s0, s8
	s_addc_u32 s10, s1, 0
	v_sub_co_u32 v1, s9, s9, v1
	s_delay_alu instid0(VALU_DEP_1)
	v_sub_co_ci_u32_e64 v2, null, s10, 0, s9
	s_clause 0x2
	s_load_b64 s[4:5], s[0:1], s8 offset:0x400
	s_load_b64 s[6:7], s[0:1], s8 offset:0x0
	;; [unrolled: 1-line block ×3, first 2 shown]
	v_readfirstlane_b32 s10, v1
	v_readfirstlane_b32 s11, v2
	s_lshl_b64 s[12:13], s[2:3], 17
	s_lshl_b64 s[2:3], s[2:3], 16
	s_load_b32 s18, s[10:11], 0x600
	s_waitcnt lgkmcnt(0)
	s_and_b32 s11, s4, 3
	s_and_b32 s10, s6, 7
	;; [unrolled: 1-line block ×3, first 2 shown]
	s_or_b32 s10, s10, s11
	s_delay_alu instid0(SALU_CYCLE_1)
	s_or_b32 s14, s14, s10
	s_sub_u32 s10, s4, s2
	s_subb_u32 s11, s5, s3
	s_cmp_eq_u64 s[14:15], 0
	s_mov_b32 s2, -1
	s_cbranch_scc1 .LBB118_21
; %bb.1:
	v_cmp_lt_i64_e64 s2, s[10:11], 1
	s_delay_alu instid0(VALU_DEP_1)
	s_and_b32 vcc_lo, exec_lo, s2
	s_cbranch_vccnz .LBB118_20
; %bb.2:
	s_load_b32 s2, s[0:1], 0xd54
	v_dual_mov_b32 v10, 0 :: v_dual_lshlrev_b32 v9, 1, v0
	v_cmp_gt_u64_e64 s3, 0x10000, s[10:11]
	s_mov_b64 s[16:17], 0
	s_delay_alu instid0(VALU_DEP_2) | instskip(NEXT) | instid1(VALU_DEP_1)
	v_add_co_u32 v1, s4, s6, v9
	v_add_co_ci_u32_e64 v2, null, s7, 0, s4
	v_add_co_u32 v3, s4, s8, v9
	s_delay_alu instid0(VALU_DEP_1)
	v_add_co_ci_u32_e64 v4, null, s9, 0, s4
	s_waitcnt lgkmcnt(0)
	s_and_b32 s2, s2, 0xffff
	s_and_b32 s3, s3, exec_lo
	v_mad_u64_u32 v[7:8], null, s2, 6, v[9:10]
	s_cselect_b32 s15, s11, 0
	s_cselect_b32 s14, s10, 0x10000
	s_mul_i32 s4, s2, 3
	s_lshl_b32 s19, s2, 2
	s_lshl_b32 s3, s2, 1
	v_add_co_u32 v14, s5, s19, v9
	v_add_co_u32 v9, s4, s4, v0
	s_delay_alu instid0(VALU_DEP_1) | instskip(SKIP_3) | instid1(VALU_DEP_3)
	v_add_co_ci_u32_e64 v10, null, 0, 0, s4
	v_add_co_u32 v13, s4, v0, s2
	v_add_co_u32 v5, vcc_lo, s6, v7
	v_add_co_ci_u32_e32 v6, vcc_lo, s7, v8, vcc_lo
	v_lshlrev_b32_e32 v21, 1, v13
	v_add_co_u32 v7, vcc_lo, s8, v7
	v_add_co_ci_u32_e64 v15, null, 0, 0, s5
	v_add_co_ci_u32_e32 v8, vcc_lo, s9, v8, vcc_lo
	v_add_co_u32 v17, s3, s3, v0
	v_add_co_u32 v11, vcc_lo, s6, v14
	v_add_co_ci_u32_e64 v18, null, 0, 0, s3
	v_add_co_u32 v19, s3, s6, v21
	v_add_co_ci_u32_e32 v12, vcc_lo, s7, v15, vcc_lo
	v_add_co_u32 v14, vcc_lo, s8, v14
	v_add_co_ci_u32_e64 v20, null, s7, 0, s3
	v_add_co_u32 v21, s3, s8, v21
	v_add_co_ci_u32_e32 v15, vcc_lo, s9, v15, vcc_lo
	v_add_co_ci_u32_e64 v16, null, 0, 0, s4
	v_add_co_ci_u32_e64 v22, null, s9, 0, s3
	s_lshl_b32 s20, s2, 3
	s_branch .LBB118_4
.LBB118_3:                              ;   in Loop: Header=BB118_4 Depth=1
	s_or_b32 exec_lo, exec_lo, s2
	v_add_co_u32 v1, vcc_lo, v1, s20
	v_add_co_ci_u32_e32 v2, vcc_lo, 0, v2, vcc_lo
	v_add_co_u32 v3, vcc_lo, v3, s20
	v_add_co_ci_u32_e32 v4, vcc_lo, 0, v4, vcc_lo
	;; [unrolled: 2-line block ×5, first 2 shown]
	s_add_u32 s16, s16, s19
	v_add_co_u32 v14, vcc_lo, v14, s20
	s_addc_u32 s17, s17, 0
	v_add_co_ci_u32_e32 v15, vcc_lo, 0, v15, vcc_lo
	v_cmp_lt_i64_e64 s2, s[16:17], s[10:11]
	v_cmp_gt_u64_e64 s3, 0x10000, s[16:17]
	v_add_co_u32 v19, vcc_lo, v19, s20
	v_add_co_ci_u32_e32 v20, vcc_lo, 0, v20, vcc_lo
	v_add_co_u32 v21, vcc_lo, v21, s20
	v_add_co_ci_u32_e32 v22, vcc_lo, 0, v22, vcc_lo
	s_and_b32 s2, s2, s3
	s_delay_alu instid0(SALU_CYCLE_1)
	s_and_b32 vcc_lo, exec_lo, s2
	s_cbranch_vccz .LBB118_20
.LBB118_4:                              ; =>This Inner Loop Header: Depth=1
	s_waitcnt vmcnt(0)
	v_add_co_u32 v23, s2, v0, s16
	s_delay_alu instid0(VALU_DEP_1) | instskip(NEXT) | instid1(VALU_DEP_1)
	v_add_co_ci_u32_e64 v24, null, 0, s17, s2
	v_cmp_gt_u64_e32 vcc_lo, s[14:15], v[23:24]
	v_mov_b32_e32 v24, 0
	s_and_saveexec_b32 s3, vcc_lo
	s_cbranch_execz .LBB118_6
; %bb.5:                                ;   in Loop: Header=BB118_4 Depth=1
	v_add_co_u32 v23, s2, v1, s12
	s_delay_alu instid0(VALU_DEP_1)
	v_add_co_ci_u32_e64 v24, s2, s13, v2, s2
	global_load_u16 v24, v[23:24], off
.LBB118_6:                              ;   in Loop: Header=BB118_4 Depth=1
	s_or_b32 exec_lo, exec_lo, s3
	v_add_co_u32 v25, s2, v13, s16
	s_delay_alu instid0(VALU_DEP_1) | instskip(NEXT) | instid1(VALU_DEP_1)
	v_add_co_ci_u32_e64 v26, s2, s17, v16, s2
	v_cmp_gt_u64_e64 s2, s[14:15], v[25:26]
	v_mov_b32_e32 v25, 0
	s_delay_alu instid0(VALU_DEP_2)
	s_and_saveexec_b32 s4, s2
	s_cbranch_execz .LBB118_8
; %bb.7:                                ;   in Loop: Header=BB118_4 Depth=1
	v_add_co_u32 v25, s3, v19, s12
	s_delay_alu instid0(VALU_DEP_1)
	v_add_co_ci_u32_e64 v26, s3, s13, v20, s3
	global_load_u16 v25, v[25:26], off
.LBB118_8:                              ;   in Loop: Header=BB118_4 Depth=1
	s_or_b32 exec_lo, exec_lo, s4
	v_add_co_u32 v26, s3, v17, s16
	s_delay_alu instid0(VALU_DEP_1) | instskip(SKIP_1) | instid1(VALU_DEP_2)
	v_add_co_ci_u32_e64 v27, s3, s17, v18, s3
	v_mov_b32_e32 v23, 0
	v_cmp_gt_u64_e64 s3, s[14:15], v[26:27]
	v_mov_b32_e32 v26, 0
	s_delay_alu instid0(VALU_DEP_2)
	s_and_saveexec_b32 s5, s3
	s_cbranch_execz .LBB118_10
; %bb.9:                                ;   in Loop: Header=BB118_4 Depth=1
	v_add_co_u32 v26, s4, v11, s12
	s_delay_alu instid0(VALU_DEP_1)
	v_add_co_ci_u32_e64 v27, s4, s13, v12, s4
	global_load_u16 v26, v[26:27], off
.LBB118_10:                             ;   in Loop: Header=BB118_4 Depth=1
	s_or_b32 exec_lo, exec_lo, s5
	v_add_co_u32 v27, s4, v9, s16
	s_delay_alu instid0(VALU_DEP_1) | instskip(NEXT) | instid1(VALU_DEP_1)
	v_add_co_ci_u32_e64 v28, s4, s17, v10, s4
	v_cmp_gt_u64_e64 s4, s[14:15], v[27:28]
	s_delay_alu instid0(VALU_DEP_1)
	s_and_saveexec_b32 s21, s4
	s_cbranch_execnz .LBB118_15
; %bb.11:                               ;   in Loop: Header=BB118_4 Depth=1
	s_or_b32 exec_lo, exec_lo, s21
	s_and_saveexec_b32 s5, vcc_lo
	s_cbranch_execnz .LBB118_16
.LBB118_12:                             ;   in Loop: Header=BB118_4 Depth=1
	s_or_b32 exec_lo, exec_lo, s5
	s_and_saveexec_b32 s5, s2
	s_cbranch_execnz .LBB118_17
.LBB118_13:                             ;   in Loop: Header=BB118_4 Depth=1
	s_or_b32 exec_lo, exec_lo, s5
	s_and_saveexec_b32 s2, s3
	s_cbranch_execnz .LBB118_18
.LBB118_14:                             ;   in Loop: Header=BB118_4 Depth=1
	s_or_b32 exec_lo, exec_lo, s2
	s_and_saveexec_b32 s2, s4
	s_cbranch_execz .LBB118_3
	s_branch .LBB118_19
.LBB118_15:                             ;   in Loop: Header=BB118_4 Depth=1
	v_add_co_u32 v27, s5, v5, s12
	s_delay_alu instid0(VALU_DEP_1)
	v_add_co_ci_u32_e64 v28, s5, s13, v6, s5
	global_load_u16 v23, v[27:28], off
	s_or_b32 exec_lo, exec_lo, s21
	s_and_saveexec_b32 s5, vcc_lo
	s_cbranch_execz .LBB118_12
.LBB118_16:                             ;   in Loop: Header=BB118_4 Depth=1
	s_waitcnt vmcnt(0)
	v_cvt_f32_f16_e32 v24, v24
	v_add_co_u32 v27, vcc_lo, v3, s12
	v_add_co_ci_u32_e32 v28, vcc_lo, s13, v4, vcc_lo
	s_delay_alu instid0(VALU_DEP_3) | instskip(NEXT) | instid1(VALU_DEP_1)
	v_subrev_f32_e32 v24, s18, v24
	v_cvt_f16_f32_e32 v24, v24
	global_store_b16 v[27:28], v24, off
	s_or_b32 exec_lo, exec_lo, s5
	s_and_saveexec_b32 s5, s2
	s_cbranch_execz .LBB118_13
.LBB118_17:                             ;   in Loop: Header=BB118_4 Depth=1
	s_waitcnt vmcnt(0)
	v_cvt_f32_f16_e32 v24, v25
	s_delay_alu instid0(VALU_DEP_1) | instskip(NEXT) | instid1(VALU_DEP_1)
	v_subrev_f32_e32 v24, s18, v24
	v_cvt_f16_f32_e32 v27, v24
	v_add_co_u32 v24, vcc_lo, v21, s12
	v_add_co_ci_u32_e32 v25, vcc_lo, s13, v22, vcc_lo
	global_store_b16 v[24:25], v27, off
	s_or_b32 exec_lo, exec_lo, s5
	s_and_saveexec_b32 s2, s3
	s_cbranch_execz .LBB118_14
.LBB118_18:                             ;   in Loop: Header=BB118_4 Depth=1
	s_waitcnt vmcnt(0)
	v_cvt_f32_f16_e32 v24, v26
	s_delay_alu instid0(VALU_DEP_1) | instskip(NEXT) | instid1(VALU_DEP_1)
	v_subrev_f32_e32 v24, s18, v24
	v_cvt_f16_f32_e32 v26, v24
	v_add_co_u32 v24, vcc_lo, v14, s12
	v_add_co_ci_u32_e32 v25, vcc_lo, s13, v15, vcc_lo
	global_store_b16 v[24:25], v26, off
	s_or_b32 exec_lo, exec_lo, s2
	s_and_saveexec_b32 s2, s4
	s_cbranch_execz .LBB118_3
.LBB118_19:                             ;   in Loop: Header=BB118_4 Depth=1
	s_waitcnt vmcnt(0)
	v_cvt_f32_f16_e32 v23, v23
	s_delay_alu instid0(VALU_DEP_1) | instskip(NEXT) | instid1(VALU_DEP_1)
	v_subrev_f32_e32 v23, s18, v23
	v_cvt_f16_f32_e32 v25, v23
	v_add_co_u32 v23, vcc_lo, v7, s12
	v_add_co_ci_u32_e32 v24, vcc_lo, s13, v8, vcc_lo
	global_store_b16 v[23:24], v25, off
	s_branch .LBB118_3
.LBB118_20:
	s_mov_b32 s2, 0
.LBB118_21:
	s_delay_alu instid0(SALU_CYCLE_1)
	s_and_not1_b32 vcc_lo, exec_lo, s2
	s_cbranch_vccnz .LBB118_25
; %bb.22:
	v_dual_mov_b32 v2, 0 :: v_dual_lshlrev_b32 v1, 2, v0
	s_mov_b32 s2, 0
	s_mov_b32 s3, exec_lo
	s_delay_alu instid0(VALU_DEP_1)
	v_cmpx_gt_i64_e64 s[10:11], v[1:2]
	s_cbranch_execz .LBB118_25
; %bb.23:
	s_load_b32 s0, s[0:1], 0xd54
	v_lshlrev_b32_e32 v1, 3, v0
	s_mov_b32 s3, s18
	s_delay_alu instid0(VALU_DEP_1) | instskip(NEXT) | instid1(VALU_DEP_1)
	v_add_co_u32 v3, s1, s12, v1
	v_add_co_ci_u32_e64 v4, null, s13, 0, s1
	s_waitcnt lgkmcnt(0)
	s_and_b32 s0, s0, 0xffff
	s_delay_alu instid0(SALU_CYCLE_1)
	v_add_lshl_u32 v1, v0, s0, 2
	s_lshl_b32 s4, s0, 3
	s_lshl_b32 s5, s0, 2
	s_set_inst_prefetch_distance 0x1
	.p2align	6
.LBB118_24:                             ; =>This Inner Loop Header: Depth=1
	v_add_co_u32 v5, vcc_lo, s6, v3
	v_add_co_ci_u32_e32 v6, vcc_lo, s7, v4, vcc_lo
	v_add_co_u32 v7, vcc_lo, s8, v3
	v_add_co_ci_u32_e32 v8, vcc_lo, s9, v4, vcc_lo
	global_load_b64 v[5:6], v[5:6], off
	v_cmp_le_i64_e32 vcc_lo, s[10:11], v[1:2]
	v_cmp_lt_u64_e64 s0, 0xffff, v[1:2]
	v_add_co_u32 v3, s1, v3, s4
	s_delay_alu instid0(VALU_DEP_1) | instskip(SKIP_1) | instid1(VALU_DEP_4)
	v_add_co_ci_u32_e64 v4, s1, 0, v4, s1
	v_add_co_u32 v1, s1, v1, s5
	s_or_b32 s0, vcc_lo, s0
	v_add_co_ci_u32_e64 v2, s1, 0, v2, s1
	s_and_b32 s0, exec_lo, s0
	s_delay_alu instid0(SALU_CYCLE_1)
	s_or_b32 s2, s0, s2
	s_waitcnt vmcnt(0)
	v_lshrrev_b32_e32 v0, 16, v5
	v_lshrrev_b32_e32 v9, 16, v6
	v_cvt_f32_f16_e32 v5, v5
	v_cvt_f32_f16_e32 v6, v6
	s_delay_alu instid0(VALU_DEP_4) | instskip(NEXT) | instid1(VALU_DEP_4)
	v_cvt_f32_f16_e32 v0, v0
	v_cvt_f32_f16_e32 v9, v9
	s_delay_alu instid0(VALU_DEP_3) | instskip(NEXT) | instid1(VALU_DEP_2)
	v_dual_subrev_f32 v5, s18, v5 :: v_dual_subrev_f32 v6, s18, v6
	v_dual_subrev_f32 v0, s3, v0 :: v_dual_subrev_f32 v9, s3, v9
	s_delay_alu instid0(VALU_DEP_2) | instskip(NEXT) | instid1(VALU_DEP_3)
	v_cvt_f16_f32_e32 v5, v5
	v_cvt_f16_f32_e32 v6, v6
	s_delay_alu instid0(VALU_DEP_3) | instskip(NEXT) | instid1(VALU_DEP_4)
	v_cvt_f16_f32_e32 v0, v0
	v_cvt_f16_f32_e32 v9, v9
	s_delay_alu instid0(VALU_DEP_2) | instskip(NEXT) | instid1(VALU_DEP_2)
	v_pack_b32_f16 v5, v5, v0
	v_pack_b32_f16 v6, v6, v9
	global_store_b64 v[7:8], v[5:6], off
	s_and_not1_b32 exec_lo, exec_lo, s2
	s_cbranch_execnz .LBB118_24
.LBB118_25:
	s_set_inst_prefetch_distance 0x2
	s_nop 0
	s_sendmsg sendmsg(MSG_DEALLOC_VGPRS)
	s_endpgm
	.section	.rodata,"a",@progbits
	.p2align	6, 0x0
	.amdhsa_kernel _ZN2at6native12_GLOBAL__N_125multi_tensor_apply_kernelINS1_28TensorListScalarListMetadataIfLi2EEENS1_25BinaryOpScalarListFunctorIN3c104HalfELi2ELi1ELi1EEEJSt5minusIfEEEEvT_T0_DpT1_
		.amdhsa_group_segment_fixed_size 0
		.amdhsa_private_segment_fixed_size 0
		.amdhsa_kernarg_size 3656
		.amdhsa_user_sgpr_count 15
		.amdhsa_user_sgpr_dispatch_ptr 0
		.amdhsa_user_sgpr_queue_ptr 0
		.amdhsa_user_sgpr_kernarg_segment_ptr 1
		.amdhsa_user_sgpr_dispatch_id 0
		.amdhsa_user_sgpr_private_segment_size 0
		.amdhsa_wavefront_size32 1
		.amdhsa_uses_dynamic_stack 0
		.amdhsa_enable_private_segment 0
		.amdhsa_system_sgpr_workgroup_id_x 1
		.amdhsa_system_sgpr_workgroup_id_y 0
		.amdhsa_system_sgpr_workgroup_id_z 0
		.amdhsa_system_sgpr_workgroup_info 0
		.amdhsa_system_vgpr_workitem_id 0
		.amdhsa_next_free_vgpr 29
		.amdhsa_next_free_sgpr 22
		.amdhsa_reserve_vcc 1
		.amdhsa_float_round_mode_32 0
		.amdhsa_float_round_mode_16_64 0
		.amdhsa_float_denorm_mode_32 3
		.amdhsa_float_denorm_mode_16_64 3
		.amdhsa_dx10_clamp 1
		.amdhsa_ieee_mode 1
		.amdhsa_fp16_overflow 0
		.amdhsa_workgroup_processor_mode 1
		.amdhsa_memory_ordered 1
		.amdhsa_forward_progress 0
		.amdhsa_shared_vgpr_count 0
		.amdhsa_exception_fp_ieee_invalid_op 0
		.amdhsa_exception_fp_denorm_src 0
		.amdhsa_exception_fp_ieee_div_zero 0
		.amdhsa_exception_fp_ieee_overflow 0
		.amdhsa_exception_fp_ieee_underflow 0
		.amdhsa_exception_fp_ieee_inexact 0
		.amdhsa_exception_int_div_zero 0
	.end_amdhsa_kernel
	.section	.text._ZN2at6native12_GLOBAL__N_125multi_tensor_apply_kernelINS1_28TensorListScalarListMetadataIfLi2EEENS1_25BinaryOpScalarListFunctorIN3c104HalfELi2ELi1ELi1EEEJSt5minusIfEEEEvT_T0_DpT1_,"axG",@progbits,_ZN2at6native12_GLOBAL__N_125multi_tensor_apply_kernelINS1_28TensorListScalarListMetadataIfLi2EEENS1_25BinaryOpScalarListFunctorIN3c104HalfELi2ELi1ELi1EEEJSt5minusIfEEEEvT_T0_DpT1_,comdat
.Lfunc_end118:
	.size	_ZN2at6native12_GLOBAL__N_125multi_tensor_apply_kernelINS1_28TensorListScalarListMetadataIfLi2EEENS1_25BinaryOpScalarListFunctorIN3c104HalfELi2ELi1ELi1EEEJSt5minusIfEEEEvT_T0_DpT1_, .Lfunc_end118-_ZN2at6native12_GLOBAL__N_125multi_tensor_apply_kernelINS1_28TensorListScalarListMetadataIfLi2EEENS1_25BinaryOpScalarListFunctorIN3c104HalfELi2ELi1ELi1EEEJSt5minusIfEEEEvT_T0_DpT1_
                                        ; -- End function
	.section	.AMDGPU.csdata,"",@progbits
; Kernel info:
; codeLenInByte = 1556
; NumSgprs: 24
; NumVgprs: 29
; ScratchSize: 0
; MemoryBound: 0
; FloatMode: 240
; IeeeMode: 1
; LDSByteSize: 0 bytes/workgroup (compile time only)
; SGPRBlocks: 2
; VGPRBlocks: 3
; NumSGPRsForWavesPerEU: 24
; NumVGPRsForWavesPerEU: 29
; Occupancy: 16
; WaveLimiterHint : 0
; COMPUTE_PGM_RSRC2:SCRATCH_EN: 0
; COMPUTE_PGM_RSRC2:USER_SGPR: 15
; COMPUTE_PGM_RSRC2:TRAP_HANDLER: 0
; COMPUTE_PGM_RSRC2:TGID_X_EN: 1
; COMPUTE_PGM_RSRC2:TGID_Y_EN: 0
; COMPUTE_PGM_RSRC2:TGID_Z_EN: 0
; COMPUTE_PGM_RSRC2:TIDIG_COMP_CNT: 0
	.section	.text._ZN2at6native12_GLOBAL__N_125multi_tensor_apply_kernelINS1_28TensorListScalarListMetadataIfLi2EEENS1_25BinaryOpScalarListFunctorIN3c108BFloat16ELi2ELi1ELi1EEEJSt5minusIfEEEEvT_T0_DpT1_,"axG",@progbits,_ZN2at6native12_GLOBAL__N_125multi_tensor_apply_kernelINS1_28TensorListScalarListMetadataIfLi2EEENS1_25BinaryOpScalarListFunctorIN3c108BFloat16ELi2ELi1ELi1EEEJSt5minusIfEEEEvT_T0_DpT1_,comdat
	.globl	_ZN2at6native12_GLOBAL__N_125multi_tensor_apply_kernelINS1_28TensorListScalarListMetadataIfLi2EEENS1_25BinaryOpScalarListFunctorIN3c108BFloat16ELi2ELi1ELi1EEEJSt5minusIfEEEEvT_T0_DpT1_ ; -- Begin function _ZN2at6native12_GLOBAL__N_125multi_tensor_apply_kernelINS1_28TensorListScalarListMetadataIfLi2EEENS1_25BinaryOpScalarListFunctorIN3c108BFloat16ELi2ELi1ELi1EEEJSt5minusIfEEEEvT_T0_DpT1_
	.p2align	8
	.type	_ZN2at6native12_GLOBAL__N_125multi_tensor_apply_kernelINS1_28TensorListScalarListMetadataIfLi2EEENS1_25BinaryOpScalarListFunctorIN3c108BFloat16ELi2ELi1ELi1EEEJSt5minusIfEEEEvT_T0_DpT1_,@function
_ZN2at6native12_GLOBAL__N_125multi_tensor_apply_kernelINS1_28TensorListScalarListMetadataIfLi2EEENS1_25BinaryOpScalarListFunctorIN3c108BFloat16ELi2ELi1ELi1EEEJSt5minusIfEEEEvT_T0_DpT1_: ; @_ZN2at6native12_GLOBAL__N_125multi_tensor_apply_kernelINS1_28TensorListScalarListMetadataIfLi2EEENS1_25BinaryOpScalarListFunctorIN3c108BFloat16ELi2ELi1ELi1EEEJSt5minusIfEEEEvT_T0_DpT1_
; %bb.0:
	v_mov_b32_e32 v1, s15
	s_add_u32 s2, s0, s15
	s_mul_hi_u32 s3, s15, 3
	s_mul_i32 s15, s15, 3
	s_addc_u32 s4, s1, 0
	global_load_u8 v1, v1, s[0:1] offset:1792
	s_add_u32 s2, s2, s15
	s_addc_u32 s3, s4, s3
	s_mov_b32 s15, 0
	s_load_b32 s2, s[2:3], 0x840
	s_waitcnt vmcnt(0)
	v_readfirstlane_b32 s3, v1
	v_lshlrev_b32_e32 v1, 2, v1
	s_delay_alu instid0(VALU_DEP_2)
	s_lshl_b32 s8, s3, 3
	s_waitcnt lgkmcnt(0)
	s_ashr_i32 s3, s2, 31
	s_add_u32 s9, s0, s8
	s_addc_u32 s10, s1, 0
	v_sub_co_u32 v1, s9, s9, v1
	s_delay_alu instid0(VALU_DEP_1)
	v_sub_co_ci_u32_e64 v2, null, s10, 0, s9
	s_clause 0x2
	s_load_b64 s[4:5], s[0:1], s8 offset:0x400
	s_load_b64 s[6:7], s[0:1], s8 offset:0x0
	;; [unrolled: 1-line block ×3, first 2 shown]
	v_readfirstlane_b32 s10, v1
	v_readfirstlane_b32 s11, v2
	s_lshl_b64 s[12:13], s[2:3], 17
	s_lshl_b64 s[2:3], s[2:3], 16
	s_load_b32 s18, s[10:11], 0x600
	s_waitcnt lgkmcnt(0)
	s_and_b32 s11, s4, 3
	s_and_b32 s10, s6, 7
	;; [unrolled: 1-line block ×3, first 2 shown]
	s_or_b32 s10, s10, s11
	s_delay_alu instid0(SALU_CYCLE_1)
	s_or_b32 s14, s14, s10
	s_sub_u32 s10, s4, s2
	s_subb_u32 s11, s5, s3
	s_cmp_eq_u64 s[14:15], 0
	s_mov_b32 s2, -1
	s_cbranch_scc1 .LBB119_21
; %bb.1:
	v_cmp_lt_i64_e64 s2, s[10:11], 1
	s_delay_alu instid0(VALU_DEP_1)
	s_and_b32 vcc_lo, exec_lo, s2
	s_cbranch_vccnz .LBB119_20
; %bb.2:
	s_load_b32 s2, s[0:1], 0xd54
	v_dual_mov_b32 v10, 0 :: v_dual_lshlrev_b32 v9, 1, v0
	v_cmp_gt_u64_e64 s3, 0x10000, s[10:11]
	s_mov_b64 s[16:17], 0
	s_delay_alu instid0(VALU_DEP_2) | instskip(NEXT) | instid1(VALU_DEP_1)
	v_add_co_u32 v1, s4, s6, v9
	v_add_co_ci_u32_e64 v2, null, s7, 0, s4
	v_add_co_u32 v3, s4, s8, v9
	s_delay_alu instid0(VALU_DEP_1)
	v_add_co_ci_u32_e64 v4, null, s9, 0, s4
	s_waitcnt lgkmcnt(0)
	s_and_b32 s2, s2, 0xffff
	s_and_b32 s3, s3, exec_lo
	v_mad_u64_u32 v[7:8], null, s2, 6, v[9:10]
	s_cselect_b32 s15, s11, 0
	s_cselect_b32 s14, s10, 0x10000
	s_mul_i32 s4, s2, 3
	s_lshl_b32 s19, s2, 2
	s_lshl_b32 s3, s2, 1
	v_add_co_u32 v14, s5, s19, v9
	v_add_co_u32 v9, s4, s4, v0
	s_delay_alu instid0(VALU_DEP_1) | instskip(SKIP_3) | instid1(VALU_DEP_3)
	v_add_co_ci_u32_e64 v10, null, 0, 0, s4
	v_add_co_u32 v13, s4, v0, s2
	v_add_co_u32 v5, vcc_lo, s6, v7
	v_add_co_ci_u32_e32 v6, vcc_lo, s7, v8, vcc_lo
	v_lshlrev_b32_e32 v21, 1, v13
	v_add_co_u32 v7, vcc_lo, s8, v7
	v_add_co_ci_u32_e64 v15, null, 0, 0, s5
	v_add_co_ci_u32_e32 v8, vcc_lo, s9, v8, vcc_lo
	v_add_co_u32 v17, s3, s3, v0
	v_add_co_u32 v11, vcc_lo, s6, v14
	v_add_co_ci_u32_e64 v18, null, 0, 0, s3
	v_add_co_u32 v19, s3, s6, v21
	v_add_co_ci_u32_e32 v12, vcc_lo, s7, v15, vcc_lo
	v_add_co_u32 v14, vcc_lo, s8, v14
	v_add_co_ci_u32_e64 v20, null, s7, 0, s3
	v_add_co_u32 v21, s3, s8, v21
	v_add_co_ci_u32_e32 v15, vcc_lo, s9, v15, vcc_lo
	v_add_co_ci_u32_e64 v16, null, 0, 0, s4
	v_add_co_ci_u32_e64 v22, null, s9, 0, s3
	s_lshl_b32 s20, s2, 3
	s_branch .LBB119_4
.LBB119_3:                              ;   in Loop: Header=BB119_4 Depth=1
	s_or_b32 exec_lo, exec_lo, s2
	v_add_co_u32 v1, vcc_lo, v1, s20
	v_add_co_ci_u32_e32 v2, vcc_lo, 0, v2, vcc_lo
	v_add_co_u32 v3, vcc_lo, v3, s20
	v_add_co_ci_u32_e32 v4, vcc_lo, 0, v4, vcc_lo
	;; [unrolled: 2-line block ×5, first 2 shown]
	s_add_u32 s16, s16, s19
	v_add_co_u32 v14, vcc_lo, v14, s20
	s_addc_u32 s17, s17, 0
	v_add_co_ci_u32_e32 v15, vcc_lo, 0, v15, vcc_lo
	v_cmp_lt_i64_e64 s2, s[16:17], s[10:11]
	v_cmp_gt_u64_e64 s3, 0x10000, s[16:17]
	v_add_co_u32 v19, vcc_lo, v19, s20
	v_add_co_ci_u32_e32 v20, vcc_lo, 0, v20, vcc_lo
	v_add_co_u32 v21, vcc_lo, v21, s20
	v_add_co_ci_u32_e32 v22, vcc_lo, 0, v22, vcc_lo
	s_and_b32 s2, s2, s3
	s_delay_alu instid0(SALU_CYCLE_1)
	s_and_b32 vcc_lo, exec_lo, s2
	s_cbranch_vccz .LBB119_20
.LBB119_4:                              ; =>This Inner Loop Header: Depth=1
	s_waitcnt vmcnt(0)
	v_add_co_u32 v23, s2, v0, s16
	s_delay_alu instid0(VALU_DEP_1) | instskip(NEXT) | instid1(VALU_DEP_1)
	v_add_co_ci_u32_e64 v24, null, 0, s17, s2
	v_cmp_gt_u64_e64 s2, s[14:15], v[23:24]
	v_mov_b32_e32 v24, 0
	s_delay_alu instid0(VALU_DEP_2)
	s_and_saveexec_b32 s3, s2
	s_cbranch_execz .LBB119_6
; %bb.5:                                ;   in Loop: Header=BB119_4 Depth=1
	v_add_co_u32 v23, vcc_lo, v1, s12
	v_add_co_ci_u32_e32 v24, vcc_lo, s13, v2, vcc_lo
	global_load_u16 v24, v[23:24], off
.LBB119_6:                              ;   in Loop: Header=BB119_4 Depth=1
	s_or_b32 exec_lo, exec_lo, s3
	v_add_co_u32 v25, vcc_lo, v13, s16
	v_add_co_ci_u32_e32 v26, vcc_lo, s17, v16, vcc_lo
	s_delay_alu instid0(VALU_DEP_1)
	v_cmp_gt_u64_e32 vcc_lo, s[14:15], v[25:26]
	v_mov_b32_e32 v25, 0
	s_and_saveexec_b32 s4, vcc_lo
	s_cbranch_execz .LBB119_8
; %bb.7:                                ;   in Loop: Header=BB119_4 Depth=1
	v_add_co_u32 v25, s3, v19, s12
	s_delay_alu instid0(VALU_DEP_1)
	v_add_co_ci_u32_e64 v26, s3, s13, v20, s3
	global_load_u16 v25, v[25:26], off
.LBB119_8:                              ;   in Loop: Header=BB119_4 Depth=1
	s_or_b32 exec_lo, exec_lo, s4
	v_add_co_u32 v26, s3, v17, s16
	s_delay_alu instid0(VALU_DEP_1) | instskip(SKIP_1) | instid1(VALU_DEP_2)
	v_add_co_ci_u32_e64 v27, s3, s17, v18, s3
	v_mov_b32_e32 v23, 0
	v_cmp_gt_u64_e64 s3, s[14:15], v[26:27]
	v_mov_b32_e32 v26, 0
	s_delay_alu instid0(VALU_DEP_2)
	s_and_saveexec_b32 s5, s3
	s_cbranch_execz .LBB119_10
; %bb.9:                                ;   in Loop: Header=BB119_4 Depth=1
	v_add_co_u32 v26, s4, v11, s12
	s_delay_alu instid0(VALU_DEP_1)
	v_add_co_ci_u32_e64 v27, s4, s13, v12, s4
	global_load_u16 v26, v[26:27], off
.LBB119_10:                             ;   in Loop: Header=BB119_4 Depth=1
	s_or_b32 exec_lo, exec_lo, s5
	v_add_co_u32 v27, s4, v9, s16
	s_delay_alu instid0(VALU_DEP_1) | instskip(NEXT) | instid1(VALU_DEP_1)
	v_add_co_ci_u32_e64 v28, s4, s17, v10, s4
	v_cmp_gt_u64_e64 s4, s[14:15], v[27:28]
	s_delay_alu instid0(VALU_DEP_1)
	s_and_saveexec_b32 s21, s4
	s_cbranch_execnz .LBB119_15
; %bb.11:                               ;   in Loop: Header=BB119_4 Depth=1
	s_or_b32 exec_lo, exec_lo, s21
	s_and_saveexec_b32 s5, s2
	s_cbranch_execnz .LBB119_16
.LBB119_12:                             ;   in Loop: Header=BB119_4 Depth=1
	s_or_b32 exec_lo, exec_lo, s5
	s_and_saveexec_b32 s2, vcc_lo
	s_cbranch_execnz .LBB119_17
.LBB119_13:                             ;   in Loop: Header=BB119_4 Depth=1
	s_or_b32 exec_lo, exec_lo, s2
	s_and_saveexec_b32 s2, s3
	s_cbranch_execnz .LBB119_18
.LBB119_14:                             ;   in Loop: Header=BB119_4 Depth=1
	s_or_b32 exec_lo, exec_lo, s2
	s_and_saveexec_b32 s2, s4
	s_cbranch_execz .LBB119_3
	s_branch .LBB119_19
.LBB119_15:                             ;   in Loop: Header=BB119_4 Depth=1
	v_add_co_u32 v27, s5, v5, s12
	s_delay_alu instid0(VALU_DEP_1)
	v_add_co_ci_u32_e64 v28, s5, s13, v6, s5
	global_load_u16 v23, v[27:28], off
	s_or_b32 exec_lo, exec_lo, s21
	s_and_saveexec_b32 s5, s2
	s_cbranch_execz .LBB119_12
.LBB119_16:                             ;   in Loop: Header=BB119_4 Depth=1
	s_waitcnt vmcnt(0)
	v_lshlrev_b32_e32 v24, 16, v24
	s_delay_alu instid0(VALU_DEP_1) | instskip(NEXT) | instid1(VALU_DEP_1)
	v_subrev_f32_e32 v24, s18, v24
	v_bfe_u32 v27, v24, 16, 1
	s_delay_alu instid0(VALU_DEP_1) | instskip(NEXT) | instid1(VALU_DEP_1)
	v_add3_u32 v27, v24, v27, 0x7fff
	v_lshrrev_b32_e32 v29, 16, v27
	v_add_co_u32 v27, s2, v3, s12
	s_delay_alu instid0(VALU_DEP_1) | instskip(SKIP_1) | instid1(VALU_DEP_1)
	v_add_co_ci_u32_e64 v28, s2, s13, v4, s2
	v_cmp_o_f32_e64 s2, v24, v24
	v_cndmask_b32_e64 v24, 0x7fc0, v29, s2
	global_store_b16 v[27:28], v24, off
	s_or_b32 exec_lo, exec_lo, s5
	s_and_saveexec_b32 s2, vcc_lo
	s_cbranch_execz .LBB119_13
.LBB119_17:                             ;   in Loop: Header=BB119_4 Depth=1
	s_waitcnt vmcnt(0)
	v_lshlrev_b32_e32 v24, 16, v25
	s_delay_alu instid0(VALU_DEP_1) | instskip(NEXT) | instid1(VALU_DEP_1)
	v_subrev_f32_e32 v24, s18, v24
	v_bfe_u32 v25, v24, 16, 1
	v_cmp_o_f32_e32 vcc_lo, v24, v24
	s_delay_alu instid0(VALU_DEP_2) | instskip(NEXT) | instid1(VALU_DEP_1)
	v_add3_u32 v25, v24, v25, 0x7fff
	v_lshrrev_b32_e32 v25, 16, v25
	s_delay_alu instid0(VALU_DEP_1)
	v_cndmask_b32_e32 v27, 0x7fc0, v25, vcc_lo
	v_add_co_u32 v24, vcc_lo, v21, s12
	v_add_co_ci_u32_e32 v25, vcc_lo, s13, v22, vcc_lo
	global_store_b16 v[24:25], v27, off
	s_or_b32 exec_lo, exec_lo, s2
	s_and_saveexec_b32 s2, s3
	s_cbranch_execz .LBB119_14
.LBB119_18:                             ;   in Loop: Header=BB119_4 Depth=1
	s_waitcnt vmcnt(0)
	v_lshlrev_b32_e32 v24, 16, v26
	s_delay_alu instid0(VALU_DEP_1) | instskip(NEXT) | instid1(VALU_DEP_1)
	v_subrev_f32_e32 v24, s18, v24
	v_bfe_u32 v25, v24, 16, 1
	v_cmp_o_f32_e32 vcc_lo, v24, v24
	s_delay_alu instid0(VALU_DEP_2) | instskip(NEXT) | instid1(VALU_DEP_1)
	v_add3_u32 v25, v24, v25, 0x7fff
	v_lshrrev_b32_e32 v25, 16, v25
	s_delay_alu instid0(VALU_DEP_1)
	v_cndmask_b32_e32 v26, 0x7fc0, v25, vcc_lo
	v_add_co_u32 v24, vcc_lo, v14, s12
	v_add_co_ci_u32_e32 v25, vcc_lo, s13, v15, vcc_lo
	global_store_b16 v[24:25], v26, off
	s_or_b32 exec_lo, exec_lo, s2
	s_and_saveexec_b32 s2, s4
	s_cbranch_execz .LBB119_3
.LBB119_19:                             ;   in Loop: Header=BB119_4 Depth=1
	s_waitcnt vmcnt(0)
	v_lshlrev_b32_e32 v23, 16, v23
	s_delay_alu instid0(VALU_DEP_1) | instskip(NEXT) | instid1(VALU_DEP_1)
	v_subrev_f32_e32 v23, s18, v23
	v_bfe_u32 v24, v23, 16, 1
	v_cmp_o_f32_e32 vcc_lo, v23, v23
	s_delay_alu instid0(VALU_DEP_2) | instskip(NEXT) | instid1(VALU_DEP_1)
	v_add3_u32 v24, v23, v24, 0x7fff
	v_lshrrev_b32_e32 v24, 16, v24
	s_delay_alu instid0(VALU_DEP_1)
	v_cndmask_b32_e32 v25, 0x7fc0, v24, vcc_lo
	v_add_co_u32 v23, vcc_lo, v7, s12
	v_add_co_ci_u32_e32 v24, vcc_lo, s13, v8, vcc_lo
	global_store_b16 v[23:24], v25, off
	s_branch .LBB119_3
.LBB119_20:
	s_mov_b32 s2, 0
.LBB119_21:
	s_delay_alu instid0(SALU_CYCLE_1)
	s_and_not1_b32 vcc_lo, exec_lo, s2
	s_cbranch_vccnz .LBB119_25
; %bb.22:
	v_dual_mov_b32 v2, 0 :: v_dual_lshlrev_b32 v1, 2, v0
	s_mov_b32 s4, 0
	s_mov_b32 s2, exec_lo
	s_delay_alu instid0(VALU_DEP_1)
	v_cmpx_gt_i64_e64 s[10:11], v[1:2]
	s_cbranch_execz .LBB119_25
; %bb.23:
	s_load_b32 s0, s[0:1], 0xd54
	v_lshlrev_b32_e32 v1, 3, v0
	s_delay_alu instid0(VALU_DEP_1) | instskip(NEXT) | instid1(VALU_DEP_1)
	v_add_co_u32 v3, s1, s12, v1
	v_add_co_ci_u32_e64 v4, null, s13, 0, s1
	s_waitcnt lgkmcnt(0)
	s_and_b32 s0, s0, 0xffff
	s_delay_alu instid0(SALU_CYCLE_1)
	v_add_lshl_u32 v1, v0, s0, 2
	s_lshl_b32 s5, s0, 3
	s_lshl_b32 s12, s0, 2
.LBB119_24:                             ; =>This Inner Loop Header: Depth=1
	v_add_co_u32 v5, vcc_lo, s6, v3
	v_add_co_ci_u32_e32 v6, vcc_lo, s7, v4, vcc_lo
	v_add_co_u32 v7, vcc_lo, s8, v3
	v_add_co_ci_u32_e32 v8, vcc_lo, s9, v4, vcc_lo
	global_load_b64 v[5:6], v[5:6], off
	v_cmp_le_i64_e32 vcc_lo, s[10:11], v[1:2]
	v_cmp_lt_u64_e64 s0, 0xffff, v[1:2]
	v_add_co_u32 v3, s1, v3, s5
	s_delay_alu instid0(VALU_DEP_1) | instskip(SKIP_1) | instid1(VALU_DEP_4)
	v_add_co_ci_u32_e64 v4, s1, 0, v4, s1
	v_add_co_u32 v1, s1, v1, s12
	s_or_b32 s0, vcc_lo, s0
	v_add_co_ci_u32_e64 v2, s1, 0, v2, s1
	s_and_b32 s0, exec_lo, s0
	s_delay_alu instid0(SALU_CYCLE_1) | instskip(SKIP_3) | instid1(VALU_DEP_2)
	s_or_b32 s4, s0, s4
	s_waitcnt vmcnt(0)
	v_lshlrev_b32_e32 v0, 16, v5
	v_alignbit_b32 v9, v6, v5, 16
	v_dual_subrev_f32 v0, s18, v0 :: v_dual_and_b32 v5, 0xffff0000, v5
	s_delay_alu instid0(VALU_DEP_1) | instskip(NEXT) | instid1(VALU_DEP_3)
	v_dual_subrev_f32 v5, s18, v5 :: v_dual_and_b32 v6, 0xffff0000, v6
	v_and_b32_e32 v9, 0xffff0000, v9
	s_delay_alu instid0(VALU_DEP_3) | instskip(NEXT) | instid1(VALU_DEP_3)
	v_bfe_u32 v10, v0, 16, 1
	v_subrev_f32_e32 v6, s18, v6
	s_delay_alu instid0(VALU_DEP_4)
	v_bfe_u32 v11, v5, 16, 1
	v_cmp_o_f32_e64 s2, v0, v0
	v_cmp_o_f32_e64 s3, v5, v5
	v_add3_u32 v10, v0, v10, 0x7fff
	v_bfe_u32 v12, v6, 16, 1
	v_add3_u32 v11, v5, v11, 0x7fff
	s_delay_alu instid0(VALU_DEP_3) | instskip(NEXT) | instid1(VALU_DEP_3)
	v_lshrrev_b32_e32 v10, 16, v10
	v_add3_u32 v12, v6, v12, 0x7fff
	v_subrev_f32_e32 v9, s18, v9
	s_delay_alu instid0(VALU_DEP_4) | instskip(NEXT) | instid1(VALU_DEP_4)
	v_and_b32_e32 v11, 0xffff0000, v11
	v_cndmask_b32_e64 v10, 0x7fc0, v10, s2
	s_delay_alu instid0(VALU_DEP_4) | instskip(NEXT) | instid1(VALU_DEP_4)
	v_and_b32_e32 v12, 0xffff0000, v12
	v_bfe_u32 v13, v9, 16, 1
	v_cmp_o_f32_e64 s2, v6, v6
	v_cndmask_b32_e64 v5, 0x7fc00000, v11, s3
	s_delay_alu instid0(VALU_DEP_3) | instskip(NEXT) | instid1(VALU_DEP_3)
	v_add3_u32 v13, v9, v13, 0x7fff
	v_cndmask_b32_e64 v6, 0x7fc00000, v12, s2
	v_cmp_o_f32_e64 s2, v9, v9
	s_delay_alu instid0(VALU_DEP_4) | instskip(NEXT) | instid1(VALU_DEP_4)
	v_or_b32_e32 v5, v10, v5
	v_lshrrev_b32_e32 v0, 16, v13
	s_delay_alu instid0(VALU_DEP_2) | instskip(NEXT) | instid1(VALU_DEP_2)
	v_or3_b32 v5, v5, 0, 0
	v_cndmask_b32_e64 v0, 0x7fc0, v0, s2
	s_delay_alu instid0(VALU_DEP_1)
	v_or3_b32 v6, 0, v0, v6
	global_store_b64 v[7:8], v[5:6], off
	s_and_not1_b32 exec_lo, exec_lo, s4
	s_cbranch_execnz .LBB119_24
.LBB119_25:
	s_nop 0
	s_sendmsg sendmsg(MSG_DEALLOC_VGPRS)
	s_endpgm
	.section	.rodata,"a",@progbits
	.p2align	6, 0x0
	.amdhsa_kernel _ZN2at6native12_GLOBAL__N_125multi_tensor_apply_kernelINS1_28TensorListScalarListMetadataIfLi2EEENS1_25BinaryOpScalarListFunctorIN3c108BFloat16ELi2ELi1ELi1EEEJSt5minusIfEEEEvT_T0_DpT1_
		.amdhsa_group_segment_fixed_size 0
		.amdhsa_private_segment_fixed_size 0
		.amdhsa_kernarg_size 3656
		.amdhsa_user_sgpr_count 15
		.amdhsa_user_sgpr_dispatch_ptr 0
		.amdhsa_user_sgpr_queue_ptr 0
		.amdhsa_user_sgpr_kernarg_segment_ptr 1
		.amdhsa_user_sgpr_dispatch_id 0
		.amdhsa_user_sgpr_private_segment_size 0
		.amdhsa_wavefront_size32 1
		.amdhsa_uses_dynamic_stack 0
		.amdhsa_enable_private_segment 0
		.amdhsa_system_sgpr_workgroup_id_x 1
		.amdhsa_system_sgpr_workgroup_id_y 0
		.amdhsa_system_sgpr_workgroup_id_z 0
		.amdhsa_system_sgpr_workgroup_info 0
		.amdhsa_system_vgpr_workitem_id 0
		.amdhsa_next_free_vgpr 30
		.amdhsa_next_free_sgpr 22
		.amdhsa_reserve_vcc 1
		.amdhsa_float_round_mode_32 0
		.amdhsa_float_round_mode_16_64 0
		.amdhsa_float_denorm_mode_32 3
		.amdhsa_float_denorm_mode_16_64 3
		.amdhsa_dx10_clamp 1
		.amdhsa_ieee_mode 1
		.amdhsa_fp16_overflow 0
		.amdhsa_workgroup_processor_mode 1
		.amdhsa_memory_ordered 1
		.amdhsa_forward_progress 0
		.amdhsa_shared_vgpr_count 0
		.amdhsa_exception_fp_ieee_invalid_op 0
		.amdhsa_exception_fp_denorm_src 0
		.amdhsa_exception_fp_ieee_div_zero 0
		.amdhsa_exception_fp_ieee_overflow 0
		.amdhsa_exception_fp_ieee_underflow 0
		.amdhsa_exception_fp_ieee_inexact 0
		.amdhsa_exception_int_div_zero 0
	.end_amdhsa_kernel
	.section	.text._ZN2at6native12_GLOBAL__N_125multi_tensor_apply_kernelINS1_28TensorListScalarListMetadataIfLi2EEENS1_25BinaryOpScalarListFunctorIN3c108BFloat16ELi2ELi1ELi1EEEJSt5minusIfEEEEvT_T0_DpT1_,"axG",@progbits,_ZN2at6native12_GLOBAL__N_125multi_tensor_apply_kernelINS1_28TensorListScalarListMetadataIfLi2EEENS1_25BinaryOpScalarListFunctorIN3c108BFloat16ELi2ELi1ELi1EEEJSt5minusIfEEEEvT_T0_DpT1_,comdat
.Lfunc_end119:
	.size	_ZN2at6native12_GLOBAL__N_125multi_tensor_apply_kernelINS1_28TensorListScalarListMetadataIfLi2EEENS1_25BinaryOpScalarListFunctorIN3c108BFloat16ELi2ELi1ELi1EEEJSt5minusIfEEEEvT_T0_DpT1_, .Lfunc_end119-_ZN2at6native12_GLOBAL__N_125multi_tensor_apply_kernelINS1_28TensorListScalarListMetadataIfLi2EEENS1_25BinaryOpScalarListFunctorIN3c108BFloat16ELi2ELi1ELi1EEEJSt5minusIfEEEEvT_T0_DpT1_
                                        ; -- End function
	.section	.AMDGPU.csdata,"",@progbits
; Kernel info:
; codeLenInByte = 1908
; NumSgprs: 24
; NumVgprs: 30
; ScratchSize: 0
; MemoryBound: 0
; FloatMode: 240
; IeeeMode: 1
; LDSByteSize: 0 bytes/workgroup (compile time only)
; SGPRBlocks: 2
; VGPRBlocks: 3
; NumSGPRsForWavesPerEU: 24
; NumVGPRsForWavesPerEU: 30
; Occupancy: 16
; WaveLimiterHint : 0
; COMPUTE_PGM_RSRC2:SCRATCH_EN: 0
; COMPUTE_PGM_RSRC2:USER_SGPR: 15
; COMPUTE_PGM_RSRC2:TRAP_HANDLER: 0
; COMPUTE_PGM_RSRC2:TGID_X_EN: 1
; COMPUTE_PGM_RSRC2:TGID_Y_EN: 0
; COMPUTE_PGM_RSRC2:TGID_Z_EN: 0
; COMPUTE_PGM_RSRC2:TIDIG_COMP_CNT: 0
	.section	.text._ZN2at6native12_GLOBAL__N_125multi_tensor_apply_kernelINS1_28TensorListScalarListMetadataIhLi1EEENS1_25BinaryOpScalarListFunctorIhLi1ELi1ELi0EEEJNS0_7minimumIhEEEEEvT_T0_DpT1_,"axG",@progbits,_ZN2at6native12_GLOBAL__N_125multi_tensor_apply_kernelINS1_28TensorListScalarListMetadataIhLi1EEENS1_25BinaryOpScalarListFunctorIhLi1ELi1ELi0EEEJNS0_7minimumIhEEEEEvT_T0_DpT1_,comdat
	.globl	_ZN2at6native12_GLOBAL__N_125multi_tensor_apply_kernelINS1_28TensorListScalarListMetadataIhLi1EEENS1_25BinaryOpScalarListFunctorIhLi1ELi1ELi0EEEJNS0_7minimumIhEEEEEvT_T0_DpT1_ ; -- Begin function _ZN2at6native12_GLOBAL__N_125multi_tensor_apply_kernelINS1_28TensorListScalarListMetadataIhLi1EEENS1_25BinaryOpScalarListFunctorIhLi1ELi1ELi0EEEJNS0_7minimumIhEEEEEvT_T0_DpT1_
	.p2align	8
	.type	_ZN2at6native12_GLOBAL__N_125multi_tensor_apply_kernelINS1_28TensorListScalarListMetadataIhLi1EEENS1_25BinaryOpScalarListFunctorIhLi1ELi1ELi0EEEJNS0_7minimumIhEEEEEvT_T0_DpT1_,@function
_ZN2at6native12_GLOBAL__N_125multi_tensor_apply_kernelINS1_28TensorListScalarListMetadataIhLi1EEENS1_25BinaryOpScalarListFunctorIhLi1ELi1ELi0EEEJNS0_7minimumIhEEEEEvT_T0_DpT1_: ; @_ZN2at6native12_GLOBAL__N_125multi_tensor_apply_kernelINS1_28TensorListScalarListMetadataIhLi1EEENS1_25BinaryOpScalarListFunctorIhLi1ELi1ELi0EEEJNS0_7minimumIhEEEEEvT_T0_DpT1_
; %bb.0:
	v_mov_b32_e32 v1, s15
	s_mul_i32 s4, s15, 3
	s_mul_hi_u32 s5, s15, 3
	global_load_u8 v3, v1, s[0:1] offset:1632
	s_waitcnt vmcnt(0)
	v_add_co_u32 v1, s2, s0, v3
	s_delay_alu instid0(VALU_DEP_1)
	v_add_co_ci_u32_e64 v2, null, s1, 0, s2
	s_add_u32 s2, s0, s15
	s_addc_u32 s3, s1, 0
	s_add_u32 s2, s2, s4
	global_load_u8 v2, v[1:2], off offset:1536
	v_readfirstlane_b32 s6, v3
	s_addc_u32 s3, s3, s5
	s_load_b32 s4, s[2:3], 0x7a0
	s_delay_alu instid0(VALU_DEP_1)
	s_lshl_b32 s5, s6, 3
	s_clause 0x1
	s_load_b64 s[2:3], s[0:1], s5 offset:0x0
	s_load_b64 s[8:9], s[0:1], s5 offset:0x300
	s_waitcnt lgkmcnt(0)
	s_ashr_i32 s5, s4, 31
	s_delay_alu instid0(SALU_CYCLE_1) | instskip(NEXT) | instid1(SALU_CYCLE_1)
	s_lshl_b64 s[4:5], s[4:5], 16
	s_add_u32 s12, s2, s4
	s_addc_u32 s13, s3, s5
	s_sub_u32 s6, s8, s4
	s_subb_u32 s7, s9, s5
	s_or_b32 s8, s8, s12
	s_delay_alu instid0(SALU_CYCLE_1) | instskip(NEXT) | instid1(SALU_CYCLE_1)
	s_and_b32 s8, s8, 3
	s_cmp_eq_u32 s8, 0
	s_cbranch_scc1 .LBB120_21
; %bb.1:
	v_cmp_lt_i64_e64 s8, s[6:7], 1
	s_delay_alu instid0(VALU_DEP_1)
	s_and_b32 vcc_lo, exec_lo, s8
	s_cbranch_vccnz .LBB120_20
; %bb.2:
	s_load_b32 s8, s[0:1], 0xcb4
	v_add_co_u32 v12, s9, s4, v0
	s_delay_alu instid0(VALU_DEP_1) | instskip(SKIP_1) | instid1(VALU_DEP_3)
	v_add_co_ci_u32_e64 v13, null, s5, 0, s9
	v_cmp_gt_u64_e64 s9, 0x10000, s[6:7]
	v_add_co_u32 v1, vcc_lo, s2, v12
	s_delay_alu instid0(VALU_DEP_3)
	v_add_co_ci_u32_e32 v3, vcc_lo, s3, v13, vcc_lo
	s_waitcnt vmcnt(0)
	v_and_b32_e32 v16, 0xff, v2
	s_waitcnt lgkmcnt(0)
	s_and_b32 s10, s8, 0xffff
	s_and_b32 s8, s9, exec_lo
	s_mul_i32 s15, s10, 3
	s_cselect_b32 s9, s7, 0
	s_cselect_b32 s8, s6, 0x10000
	s_lshl_b32 s11, s10, 1
	s_lshl_b32 s14, s10, 2
	s_add_u32 s16, s4, s15
	v_add_co_u32 v4, s15, s15, v0
	s_delay_alu instid0(VALU_DEP_1)
	v_add_co_ci_u32_e64 v5, null, 0, 0, s15
	s_addc_u32 s15, s5, 0
	s_add_u32 s16, s2, s16
	s_addc_u32 s15, s3, s15
	s_add_u32 s4, s4, s11
	;; [unrolled: 2-line block ×3, first 2 shown]
	s_addc_u32 s5, s3, s5
	v_add_co_u32 v8, s4, s4, v0
	s_add_u32 s2, s2, s10
	v_add_co_u32 v6, s16, s16, v0
	v_add_co_ci_u32_e64 v9, null, s5, 0, s4
	v_add_co_u32 v10, s4, s11, v0
	s_addc_u32 s3, s3, 0
	v_add_co_u32 v12, vcc_lo, s2, v12
	v_add_co_u32 v14, s2, v0, s10
	v_add_co_ci_u32_e64 v7, null, s15, 0, s16
	v_add_co_ci_u32_e64 v11, null, 0, 0, s4
	v_add_co_ci_u32_e32 v13, vcc_lo, s3, v13, vcc_lo
	v_add_co_ci_u32_e64 v15, null, 0, 0, s2
	s_mov_b64 s[10:11], 0
	s_branch .LBB120_4
.LBB120_3:                              ;   in Loop: Header=BB120_4 Depth=1
	s_or_b32 exec_lo, exec_lo, s2
	s_add_u32 s10, s10, s14
	s_addc_u32 s11, s11, 0
	s_delay_alu instid0(SALU_CYCLE_1) | instskip(SKIP_1) | instid1(VALU_DEP_1)
	v_cmp_lt_i64_e64 s2, s[10:11], s[6:7]
	v_cmp_gt_u64_e64 s3, 0x10000, s[10:11]
	s_and_b32 s2, s2, s3
	s_delay_alu instid0(SALU_CYCLE_1)
	s_and_b32 vcc_lo, exec_lo, s2
	s_cbranch_vccz .LBB120_20
.LBB120_4:                              ; =>This Inner Loop Header: Depth=1
	s_waitcnt vmcnt(0)
	v_add_co_u32 v17, s2, v0, s10
	s_delay_alu instid0(VALU_DEP_1) | instskip(NEXT) | instid1(VALU_DEP_1)
	v_add_co_ci_u32_e64 v18, null, 0, s11, s2
	v_cmp_gt_u64_e32 vcc_lo, s[8:9], v[17:18]
	v_mov_b32_e32 v18, 0
	s_and_saveexec_b32 s3, vcc_lo
	s_cbranch_execz .LBB120_6
; %bb.5:                                ;   in Loop: Header=BB120_4 Depth=1
	v_add_co_u32 v17, s2, v1, s10
	s_delay_alu instid0(VALU_DEP_1)
	v_add_co_ci_u32_e64 v18, s2, s11, v3, s2
	global_load_u8 v18, v[17:18], off
.LBB120_6:                              ;   in Loop: Header=BB120_4 Depth=1
	s_or_b32 exec_lo, exec_lo, s3
	v_add_co_u32 v19, s2, v14, s10
	s_delay_alu instid0(VALU_DEP_1) | instskip(NEXT) | instid1(VALU_DEP_1)
	v_add_co_ci_u32_e64 v20, s2, s11, v15, s2
	v_cmp_gt_u64_e64 s2, s[8:9], v[19:20]
	v_mov_b32_e32 v19, 0
	s_delay_alu instid0(VALU_DEP_2)
	s_and_saveexec_b32 s4, s2
	s_cbranch_execz .LBB120_8
; %bb.7:                                ;   in Loop: Header=BB120_4 Depth=1
	v_add_co_u32 v19, s3, v12, s10
	s_delay_alu instid0(VALU_DEP_1)
	v_add_co_ci_u32_e64 v20, s3, s11, v13, s3
	global_load_u8 v19, v[19:20], off
.LBB120_8:                              ;   in Loop: Header=BB120_4 Depth=1
	s_or_b32 exec_lo, exec_lo, s4
	v_add_co_u32 v20, s3, v10, s10
	s_delay_alu instid0(VALU_DEP_1) | instskip(SKIP_1) | instid1(VALU_DEP_2)
	v_add_co_ci_u32_e64 v21, s3, s11, v11, s3
	v_mov_b32_e32 v17, 0
	v_cmp_gt_u64_e64 s3, s[8:9], v[20:21]
	v_mov_b32_e32 v20, 0
	s_delay_alu instid0(VALU_DEP_2)
	s_and_saveexec_b32 s5, s3
	s_cbranch_execz .LBB120_10
; %bb.9:                                ;   in Loop: Header=BB120_4 Depth=1
	v_add_co_u32 v20, s4, v8, s10
	s_delay_alu instid0(VALU_DEP_1)
	v_add_co_ci_u32_e64 v21, s4, s11, v9, s4
	global_load_u8 v20, v[20:21], off
.LBB120_10:                             ;   in Loop: Header=BB120_4 Depth=1
	s_or_b32 exec_lo, exec_lo, s5
	v_add_co_u32 v21, s4, v4, s10
	s_delay_alu instid0(VALU_DEP_1) | instskip(NEXT) | instid1(VALU_DEP_1)
	v_add_co_ci_u32_e64 v22, s4, s11, v5, s4
	v_cmp_gt_u64_e64 s4, s[8:9], v[21:22]
	s_delay_alu instid0(VALU_DEP_1)
	s_and_saveexec_b32 s15, s4
	s_cbranch_execnz .LBB120_15
; %bb.11:                               ;   in Loop: Header=BB120_4 Depth=1
	s_or_b32 exec_lo, exec_lo, s15
	s_and_saveexec_b32 s5, vcc_lo
	s_cbranch_execnz .LBB120_16
.LBB120_12:                             ;   in Loop: Header=BB120_4 Depth=1
	s_or_b32 exec_lo, exec_lo, s5
	s_and_saveexec_b32 s5, s2
	s_cbranch_execnz .LBB120_17
.LBB120_13:                             ;   in Loop: Header=BB120_4 Depth=1
	s_or_b32 exec_lo, exec_lo, s5
	s_and_saveexec_b32 s2, s3
	s_cbranch_execnz .LBB120_18
.LBB120_14:                             ;   in Loop: Header=BB120_4 Depth=1
	s_or_b32 exec_lo, exec_lo, s2
	s_and_saveexec_b32 s2, s4
	s_cbranch_execz .LBB120_3
	s_branch .LBB120_19
.LBB120_15:                             ;   in Loop: Header=BB120_4 Depth=1
	v_add_co_u32 v21, s5, v6, s10
	s_delay_alu instid0(VALU_DEP_1)
	v_add_co_ci_u32_e64 v22, s5, s11, v7, s5
	global_load_u8 v17, v[21:22], off
	s_or_b32 exec_lo, exec_lo, s15
	s_and_saveexec_b32 s5, vcc_lo
	s_cbranch_execz .LBB120_12
.LBB120_16:                             ;   in Loop: Header=BB120_4 Depth=1
	s_waitcnt vmcnt(0)
	v_and_b32_e32 v18, 0xff, v18
	v_add_co_u32 v21, vcc_lo, v1, s10
	v_add_co_ci_u32_e32 v22, vcc_lo, s11, v3, vcc_lo
	s_delay_alu instid0(VALU_DEP_3)
	v_min_u16 v18, v18, v16
	global_store_b8 v[21:22], v18, off
	s_or_b32 exec_lo, exec_lo, s5
	s_and_saveexec_b32 s5, s2
	s_cbranch_execz .LBB120_13
.LBB120_17:                             ;   in Loop: Header=BB120_4 Depth=1
	s_waitcnt vmcnt(0)
	v_and_b32_e32 v18, 0xff, v19
	s_delay_alu instid0(VALU_DEP_1)
	v_min_u16 v21, v18, v16
	v_add_co_u32 v18, vcc_lo, v12, s10
	v_add_co_ci_u32_e32 v19, vcc_lo, s11, v13, vcc_lo
	global_store_b8 v[18:19], v21, off
	s_or_b32 exec_lo, exec_lo, s5
	s_and_saveexec_b32 s2, s3
	s_cbranch_execz .LBB120_14
.LBB120_18:                             ;   in Loop: Header=BB120_4 Depth=1
	s_waitcnt vmcnt(0)
	v_and_b32_e32 v18, 0xff, v20
	s_delay_alu instid0(VALU_DEP_1)
	v_min_u16 v20, v18, v16
	v_add_co_u32 v18, vcc_lo, v8, s10
	v_add_co_ci_u32_e32 v19, vcc_lo, s11, v9, vcc_lo
	global_store_b8 v[18:19], v20, off
	s_or_b32 exec_lo, exec_lo, s2
	s_and_saveexec_b32 s2, s4
	s_cbranch_execz .LBB120_3
.LBB120_19:                             ;   in Loop: Header=BB120_4 Depth=1
	s_waitcnt vmcnt(0)
	v_and_b32_e32 v17, 0xff, v17
	s_delay_alu instid0(VALU_DEP_1)
	v_min_u16 v19, v17, v16
	v_add_co_u32 v17, vcc_lo, v6, s10
	v_add_co_ci_u32_e32 v18, vcc_lo, s11, v7, vcc_lo
	global_store_b8 v[17:18], v19, off
	s_branch .LBB120_3
.LBB120_20:
	s_cbranch_execz .LBB120_22
	s_branch .LBB120_25
.LBB120_21:
.LBB120_22:
	v_dual_mov_b32 v1, 0 :: v_dual_lshlrev_b32 v0, 2, v0
	s_mov_b32 s2, exec_lo
	s_delay_alu instid0(VALU_DEP_1)
	v_cmpx_gt_i64_e64 s[6:7], v[0:1]
	s_cbranch_execz .LBB120_25
; %bb.23:
	s_load_b32 s0, s[0:1], 0xcb4
	s_waitcnt vmcnt(0)
	v_and_b32_e32 v2, 0xff, v2
	s_mov_b32 s2, 0
	s_waitcnt lgkmcnt(0)
	s_and_b32 s0, s0, 0xffff
	s_delay_alu instid0(SALU_CYCLE_1)
	s_lshl_b32 s1, s0, 2
	s_set_inst_prefetch_distance 0x1
	.p2align	6
.LBB120_24:                             ; =>This Inner Loop Header: Depth=1
	v_add_co_u32 v3, vcc_lo, s12, v0
	v_add_co_ci_u32_e32 v4, vcc_lo, s13, v1, vcc_lo
	v_add_co_u32 v0, vcc_lo, s1, v0
	v_add_co_ci_u32_e32 v1, vcc_lo, 0, v1, vcc_lo
	global_load_b32 v5, v[3:4], off
	v_cmp_le_i64_e32 vcc_lo, s[6:7], v[0:1]
	v_cmp_lt_u64_e64 s0, 0xffff, v[0:1]
	s_delay_alu instid0(VALU_DEP_1) | instskip(NEXT) | instid1(SALU_CYCLE_1)
	s_or_b32 s0, vcc_lo, s0
	s_and_b32 s0, exec_lo, s0
	s_delay_alu instid0(SALU_CYCLE_1)
	s_or_b32 s2, s0, s2
	s_waitcnt vmcnt(0)
	v_lshrrev_b32_e32 v6, 8, v5
	v_lshrrev_b32_e32 v7, 16, v5
	v_and_b32_e32 v8, 0xff, v5
	v_lshrrev_b32_e32 v5, 24, v5
	s_delay_alu instid0(VALU_DEP_4) | instskip(NEXT) | instid1(VALU_DEP_4)
	v_and_b32_e32 v6, 0xff, v6
	v_and_b32_e32 v7, 0xff, v7
	s_delay_alu instid0(VALU_DEP_4) | instskip(NEXT) | instid1(VALU_DEP_4)
	v_min_u16 v8, v8, v2
	v_min_u16 v5, v5, v2
	s_delay_alu instid0(VALU_DEP_4) | instskip(NEXT) | instid1(VALU_DEP_4)
	v_min_u16 v6, v6, v2
	v_min_u16 v7, v7, v2
	s_delay_alu instid0(VALU_DEP_4) | instskip(NEXT) | instid1(VALU_DEP_3)
	v_and_b32_e32 v8, 0xffff, v8
	v_and_b32_e32 v6, 0xffff, v6
	s_delay_alu instid0(VALU_DEP_3) | instskip(NEXT) | instid1(VALU_DEP_2)
	v_lshlrev_b32_e32 v7, 16, v7
	v_lshlrev_b32_e32 v6, 8, v6
	s_delay_alu instid0(VALU_DEP_2) | instskip(NEXT) | instid1(VALU_DEP_1)
	v_lshl_or_b32 v5, v5, 24, v7
	v_or3_b32 v5, v5, v6, v8
	global_store_b32 v[3:4], v5, off
	s_and_not1_b32 exec_lo, exec_lo, s2
	s_cbranch_execnz .LBB120_24
.LBB120_25:
	s_set_inst_prefetch_distance 0x2
	s_nop 0
	s_sendmsg sendmsg(MSG_DEALLOC_VGPRS)
	s_endpgm
	.section	.rodata,"a",@progbits
	.p2align	6, 0x0
	.amdhsa_kernel _ZN2at6native12_GLOBAL__N_125multi_tensor_apply_kernelINS1_28TensorListScalarListMetadataIhLi1EEENS1_25BinaryOpScalarListFunctorIhLi1ELi1ELi0EEEJNS0_7minimumIhEEEEEvT_T0_DpT1_
		.amdhsa_group_segment_fixed_size 0
		.amdhsa_private_segment_fixed_size 0
		.amdhsa_kernarg_size 3496
		.amdhsa_user_sgpr_count 15
		.amdhsa_user_sgpr_dispatch_ptr 0
		.amdhsa_user_sgpr_queue_ptr 0
		.amdhsa_user_sgpr_kernarg_segment_ptr 1
		.amdhsa_user_sgpr_dispatch_id 0
		.amdhsa_user_sgpr_private_segment_size 0
		.amdhsa_wavefront_size32 1
		.amdhsa_uses_dynamic_stack 0
		.amdhsa_enable_private_segment 0
		.amdhsa_system_sgpr_workgroup_id_x 1
		.amdhsa_system_sgpr_workgroup_id_y 0
		.amdhsa_system_sgpr_workgroup_id_z 0
		.amdhsa_system_sgpr_workgroup_info 0
		.amdhsa_system_vgpr_workitem_id 0
		.amdhsa_next_free_vgpr 23
		.amdhsa_next_free_sgpr 17
		.amdhsa_reserve_vcc 1
		.amdhsa_float_round_mode_32 0
		.amdhsa_float_round_mode_16_64 0
		.amdhsa_float_denorm_mode_32 3
		.amdhsa_float_denorm_mode_16_64 3
		.amdhsa_dx10_clamp 1
		.amdhsa_ieee_mode 1
		.amdhsa_fp16_overflow 0
		.amdhsa_workgroup_processor_mode 1
		.amdhsa_memory_ordered 1
		.amdhsa_forward_progress 0
		.amdhsa_shared_vgpr_count 0
		.amdhsa_exception_fp_ieee_invalid_op 0
		.amdhsa_exception_fp_denorm_src 0
		.amdhsa_exception_fp_ieee_div_zero 0
		.amdhsa_exception_fp_ieee_overflow 0
		.amdhsa_exception_fp_ieee_underflow 0
		.amdhsa_exception_fp_ieee_inexact 0
		.amdhsa_exception_int_div_zero 0
	.end_amdhsa_kernel
	.section	.text._ZN2at6native12_GLOBAL__N_125multi_tensor_apply_kernelINS1_28TensorListScalarListMetadataIhLi1EEENS1_25BinaryOpScalarListFunctorIhLi1ELi1ELi0EEEJNS0_7minimumIhEEEEEvT_T0_DpT1_,"axG",@progbits,_ZN2at6native12_GLOBAL__N_125multi_tensor_apply_kernelINS1_28TensorListScalarListMetadataIhLi1EEENS1_25BinaryOpScalarListFunctorIhLi1ELi1ELi0EEEJNS0_7minimumIhEEEEEvT_T0_DpT1_,comdat
.Lfunc_end120:
	.size	_ZN2at6native12_GLOBAL__N_125multi_tensor_apply_kernelINS1_28TensorListScalarListMetadataIhLi1EEENS1_25BinaryOpScalarListFunctorIhLi1ELi1ELi0EEEJNS0_7minimumIhEEEEEvT_T0_DpT1_, .Lfunc_end120-_ZN2at6native12_GLOBAL__N_125multi_tensor_apply_kernelINS1_28TensorListScalarListMetadataIhLi1EEENS1_25BinaryOpScalarListFunctorIhLi1ELi1ELi0EEEJNS0_7minimumIhEEEEEvT_T0_DpT1_
                                        ; -- End function
	.section	.AMDGPU.csdata,"",@progbits
; Kernel info:
; codeLenInByte = 1380
; NumSgprs: 19
; NumVgprs: 23
; ScratchSize: 0
; MemoryBound: 0
; FloatMode: 240
; IeeeMode: 1
; LDSByteSize: 0 bytes/workgroup (compile time only)
; SGPRBlocks: 2
; VGPRBlocks: 2
; NumSGPRsForWavesPerEU: 19
; NumVGPRsForWavesPerEU: 23
; Occupancy: 16
; WaveLimiterHint : 0
; COMPUTE_PGM_RSRC2:SCRATCH_EN: 0
; COMPUTE_PGM_RSRC2:USER_SGPR: 15
; COMPUTE_PGM_RSRC2:TRAP_HANDLER: 0
; COMPUTE_PGM_RSRC2:TGID_X_EN: 1
; COMPUTE_PGM_RSRC2:TGID_Y_EN: 0
; COMPUTE_PGM_RSRC2:TGID_Z_EN: 0
; COMPUTE_PGM_RSRC2:TIDIG_COMP_CNT: 0
	.section	.text._ZN2at6native12_GLOBAL__N_125multi_tensor_apply_kernelINS1_28TensorListScalarListMetadataIaLi1EEENS1_25BinaryOpScalarListFunctorIaLi1ELi1ELi0EEEJNS0_7minimumIaEEEEEvT_T0_DpT1_,"axG",@progbits,_ZN2at6native12_GLOBAL__N_125multi_tensor_apply_kernelINS1_28TensorListScalarListMetadataIaLi1EEENS1_25BinaryOpScalarListFunctorIaLi1ELi1ELi0EEEJNS0_7minimumIaEEEEEvT_T0_DpT1_,comdat
	.globl	_ZN2at6native12_GLOBAL__N_125multi_tensor_apply_kernelINS1_28TensorListScalarListMetadataIaLi1EEENS1_25BinaryOpScalarListFunctorIaLi1ELi1ELi0EEEJNS0_7minimumIaEEEEEvT_T0_DpT1_ ; -- Begin function _ZN2at6native12_GLOBAL__N_125multi_tensor_apply_kernelINS1_28TensorListScalarListMetadataIaLi1EEENS1_25BinaryOpScalarListFunctorIaLi1ELi1ELi0EEEJNS0_7minimumIaEEEEEvT_T0_DpT1_
	.p2align	8
	.type	_ZN2at6native12_GLOBAL__N_125multi_tensor_apply_kernelINS1_28TensorListScalarListMetadataIaLi1EEENS1_25BinaryOpScalarListFunctorIaLi1ELi1ELi0EEEJNS0_7minimumIaEEEEEvT_T0_DpT1_,@function
_ZN2at6native12_GLOBAL__N_125multi_tensor_apply_kernelINS1_28TensorListScalarListMetadataIaLi1EEENS1_25BinaryOpScalarListFunctorIaLi1ELi1ELi0EEEJNS0_7minimumIaEEEEEvT_T0_DpT1_: ; @_ZN2at6native12_GLOBAL__N_125multi_tensor_apply_kernelINS1_28TensorListScalarListMetadataIaLi1EEENS1_25BinaryOpScalarListFunctorIaLi1ELi1ELi0EEEJNS0_7minimumIaEEEEEvT_T0_DpT1_
; %bb.0:
	v_mov_b32_e32 v1, s15
	s_mul_i32 s3, s15, 3
	s_mul_hi_u32 s4, s15, 3
	global_load_u8 v3, v1, s[0:1] offset:1632
	s_waitcnt vmcnt(0)
	v_add_co_u32 v1, s2, s0, v3
	s_delay_alu instid0(VALU_DEP_1)
	v_add_co_ci_u32_e64 v2, null, s1, 0, s2
	s_add_u32 s2, s0, s15
	s_addc_u32 s5, s1, 0
	s_add_u32 s2, s2, s3
	global_load_u8 v1, v[1:2], off offset:1536
	v_readfirstlane_b32 s6, v3
	s_addc_u32 s3, s5, s4
	s_load_b32 s4, s[2:3], 0x7a0
	s_delay_alu instid0(VALU_DEP_1)
	s_lshl_b32 s5, s6, 3
	s_clause 0x1
	s_load_b64 s[2:3], s[0:1], s5 offset:0x0
	s_load_b64 s[8:9], s[0:1], s5 offset:0x300
	s_waitcnt lgkmcnt(0)
	s_ashr_i32 s5, s4, 31
	s_delay_alu instid0(SALU_CYCLE_1) | instskip(NEXT) | instid1(SALU_CYCLE_1)
	s_lshl_b64 s[4:5], s[4:5], 16
	s_add_u32 s12, s2, s4
	s_addc_u32 s13, s3, s5
	s_sub_u32 s6, s8, s4
	s_subb_u32 s7, s9, s5
	s_or_b32 s8, s8, s12
	s_delay_alu instid0(SALU_CYCLE_1) | instskip(NEXT) | instid1(SALU_CYCLE_1)
	s_and_b32 s8, s8, 3
	s_cmp_eq_u32 s8, 0
	s_waitcnt vmcnt(0)
	v_readfirstlane_b32 s14, v1
	s_cbranch_scc1 .LBB121_21
; %bb.1:
	v_cmp_lt_i64_e64 s8, s[6:7], 1
	s_delay_alu instid0(VALU_DEP_1)
	s_and_b32 vcc_lo, exec_lo, s8
	s_cbranch_vccnz .LBB121_20
; %bb.2:
	s_load_b32 s8, s[0:1], 0xcb4
	v_add_co_u32 v11, s9, s4, v0
	s_delay_alu instid0(VALU_DEP_1) | instskip(SKIP_1) | instid1(VALU_DEP_3)
	v_add_co_ci_u32_e64 v12, null, s5, 0, s9
	v_cmp_gt_u64_e64 s9, 0x10000, s[6:7]
	v_add_co_u32 v1, vcc_lo, s2, v11
	s_delay_alu instid0(VALU_DEP_3) | instskip(SKIP_2) | instid1(VALU_DEP_3)
	v_add_co_ci_u32_e32 v2, vcc_lo, s3, v12, vcc_lo
	s_waitcnt lgkmcnt(0)
	s_and_b32 s10, s8, 0xffff
	s_and_b32 s8, s9, exec_lo
	s_mul_i32 s16, s10, 3
	s_cselect_b32 s9, s7, 0
	s_cselect_b32 s8, s6, 0x10000
	s_lshl_b32 s11, s10, 1
	s_lshl_b32 s15, s10, 2
	s_add_u32 s17, s4, s16
	v_add_co_u32 v3, s16, s16, v0
	s_delay_alu instid0(VALU_DEP_1)
	v_add_co_ci_u32_e64 v4, null, 0, 0, s16
	s_addc_u32 s16, s5, 0
	s_add_u32 s17, s2, s17
	s_addc_u32 s16, s3, s16
	s_add_u32 s4, s4, s11
	;; [unrolled: 2-line block ×3, first 2 shown]
	s_addc_u32 s5, s3, s5
	v_add_co_u32 v7, s4, s4, v0
	s_add_u32 s2, s2, s10
	v_add_co_u32 v5, s17, s17, v0
	v_add_co_ci_u32_e64 v8, null, s5, 0, s4
	v_add_co_u32 v9, s4, s11, v0
	s_addc_u32 s3, s3, 0
	v_add_co_u32 v11, vcc_lo, s2, v11
	v_add_co_u32 v13, s2, v0, s10
	v_add_co_ci_u32_e64 v6, null, s16, 0, s17
	v_add_co_ci_u32_e64 v10, null, 0, 0, s4
	v_add_co_ci_u32_e32 v12, vcc_lo, s3, v12, vcc_lo
	v_add_co_ci_u32_e64 v14, null, 0, 0, s2
	s_mov_b64 s[10:11], 0
	s_bfe_i32 s16, s14, 0x80000
	s_branch .LBB121_4
.LBB121_3:                              ;   in Loop: Header=BB121_4 Depth=1
	s_or_b32 exec_lo, exec_lo, s2
	s_add_u32 s10, s10, s15
	s_addc_u32 s11, s11, 0
	s_delay_alu instid0(SALU_CYCLE_1) | instskip(SKIP_1) | instid1(VALU_DEP_1)
	v_cmp_lt_i64_e64 s2, s[10:11], s[6:7]
	v_cmp_gt_u64_e64 s3, 0x10000, s[10:11]
	s_and_b32 s2, s2, s3
	s_delay_alu instid0(SALU_CYCLE_1)
	s_and_b32 vcc_lo, exec_lo, s2
	s_cbranch_vccz .LBB121_20
.LBB121_4:                              ; =>This Inner Loop Header: Depth=1
	s_waitcnt vmcnt(0)
	v_add_co_u32 v15, s2, v0, s10
	s_delay_alu instid0(VALU_DEP_1) | instskip(NEXT) | instid1(VALU_DEP_1)
	v_add_co_ci_u32_e64 v16, null, 0, s11, s2
	v_cmp_gt_u64_e32 vcc_lo, s[8:9], v[15:16]
	v_mov_b32_e32 v16, 0
	s_and_saveexec_b32 s3, vcc_lo
	s_cbranch_execz .LBB121_6
; %bb.5:                                ;   in Loop: Header=BB121_4 Depth=1
	v_add_co_u32 v15, s2, v1, s10
	s_delay_alu instid0(VALU_DEP_1)
	v_add_co_ci_u32_e64 v16, s2, s11, v2, s2
	global_load_u8 v16, v[15:16], off
.LBB121_6:                              ;   in Loop: Header=BB121_4 Depth=1
	s_or_b32 exec_lo, exec_lo, s3
	v_add_co_u32 v17, s2, v13, s10
	s_delay_alu instid0(VALU_DEP_1) | instskip(NEXT) | instid1(VALU_DEP_1)
	v_add_co_ci_u32_e64 v18, s2, s11, v14, s2
	v_cmp_gt_u64_e64 s2, s[8:9], v[17:18]
	v_mov_b32_e32 v17, 0
	s_delay_alu instid0(VALU_DEP_2)
	s_and_saveexec_b32 s4, s2
	s_cbranch_execz .LBB121_8
; %bb.7:                                ;   in Loop: Header=BB121_4 Depth=1
	v_add_co_u32 v17, s3, v11, s10
	s_delay_alu instid0(VALU_DEP_1)
	v_add_co_ci_u32_e64 v18, s3, s11, v12, s3
	global_load_u8 v17, v[17:18], off
.LBB121_8:                              ;   in Loop: Header=BB121_4 Depth=1
	s_or_b32 exec_lo, exec_lo, s4
	v_add_co_u32 v18, s3, v9, s10
	s_delay_alu instid0(VALU_DEP_1) | instskip(SKIP_1) | instid1(VALU_DEP_2)
	v_add_co_ci_u32_e64 v19, s3, s11, v10, s3
	v_mov_b32_e32 v15, 0
	v_cmp_gt_u64_e64 s3, s[8:9], v[18:19]
	v_mov_b32_e32 v18, 0
	s_delay_alu instid0(VALU_DEP_2)
	s_and_saveexec_b32 s5, s3
	s_cbranch_execz .LBB121_10
; %bb.9:                                ;   in Loop: Header=BB121_4 Depth=1
	v_add_co_u32 v18, s4, v7, s10
	s_delay_alu instid0(VALU_DEP_1)
	v_add_co_ci_u32_e64 v19, s4, s11, v8, s4
	global_load_u8 v18, v[18:19], off
.LBB121_10:                             ;   in Loop: Header=BB121_4 Depth=1
	s_or_b32 exec_lo, exec_lo, s5
	v_add_co_u32 v19, s4, v3, s10
	s_delay_alu instid0(VALU_DEP_1) | instskip(NEXT) | instid1(VALU_DEP_1)
	v_add_co_ci_u32_e64 v20, s4, s11, v4, s4
	v_cmp_gt_u64_e64 s4, s[8:9], v[19:20]
	s_delay_alu instid0(VALU_DEP_1)
	s_and_saveexec_b32 s17, s4
	s_cbranch_execnz .LBB121_15
; %bb.11:                               ;   in Loop: Header=BB121_4 Depth=1
	s_or_b32 exec_lo, exec_lo, s17
	s_and_saveexec_b32 s5, vcc_lo
	s_cbranch_execnz .LBB121_16
.LBB121_12:                             ;   in Loop: Header=BB121_4 Depth=1
	s_or_b32 exec_lo, exec_lo, s5
	s_and_saveexec_b32 s5, s2
	s_cbranch_execnz .LBB121_17
.LBB121_13:                             ;   in Loop: Header=BB121_4 Depth=1
	s_or_b32 exec_lo, exec_lo, s5
	s_and_saveexec_b32 s2, s3
	s_cbranch_execnz .LBB121_18
.LBB121_14:                             ;   in Loop: Header=BB121_4 Depth=1
	s_or_b32 exec_lo, exec_lo, s2
	s_and_saveexec_b32 s2, s4
	s_cbranch_execz .LBB121_3
	s_branch .LBB121_19
.LBB121_15:                             ;   in Loop: Header=BB121_4 Depth=1
	v_add_co_u32 v19, s5, v5, s10
	s_delay_alu instid0(VALU_DEP_1)
	v_add_co_ci_u32_e64 v20, s5, s11, v6, s5
	global_load_u8 v15, v[19:20], off
	s_or_b32 exec_lo, exec_lo, s17
	s_and_saveexec_b32 s5, vcc_lo
	s_cbranch_execz .LBB121_12
.LBB121_16:                             ;   in Loop: Header=BB121_4 Depth=1
	s_waitcnt vmcnt(0)
	v_bfe_i32 v16, v16, 0, 8
	v_add_co_u32 v19, vcc_lo, v1, s10
	v_add_co_ci_u32_e32 v20, vcc_lo, s11, v2, vcc_lo
	s_delay_alu instid0(VALU_DEP_3)
	v_min_i16 v16, v16, s16
	global_store_b8 v[19:20], v16, off
	s_or_b32 exec_lo, exec_lo, s5
	s_and_saveexec_b32 s5, s2
	s_cbranch_execz .LBB121_13
.LBB121_17:                             ;   in Loop: Header=BB121_4 Depth=1
	s_waitcnt vmcnt(0)
	v_bfe_i32 v16, v17, 0, 8
	s_delay_alu instid0(VALU_DEP_1)
	v_min_i16 v19, v16, s16
	v_add_co_u32 v16, vcc_lo, v11, s10
	v_add_co_ci_u32_e32 v17, vcc_lo, s11, v12, vcc_lo
	global_store_b8 v[16:17], v19, off
	s_or_b32 exec_lo, exec_lo, s5
	s_and_saveexec_b32 s2, s3
	s_cbranch_execz .LBB121_14
.LBB121_18:                             ;   in Loop: Header=BB121_4 Depth=1
	s_waitcnt vmcnt(0)
	v_bfe_i32 v16, v18, 0, 8
	s_delay_alu instid0(VALU_DEP_1)
	v_min_i16 v18, v16, s16
	v_add_co_u32 v16, vcc_lo, v7, s10
	v_add_co_ci_u32_e32 v17, vcc_lo, s11, v8, vcc_lo
	global_store_b8 v[16:17], v18, off
	s_or_b32 exec_lo, exec_lo, s2
	s_and_saveexec_b32 s2, s4
	s_cbranch_execz .LBB121_3
.LBB121_19:                             ;   in Loop: Header=BB121_4 Depth=1
	s_waitcnt vmcnt(0)
	v_bfe_i32 v15, v15, 0, 8
	s_delay_alu instid0(VALU_DEP_1)
	v_min_i16 v17, v15, s16
	v_add_co_u32 v15, vcc_lo, v5, s10
	v_add_co_ci_u32_e32 v16, vcc_lo, s11, v6, vcc_lo
	global_store_b8 v[15:16], v17, off
	s_branch .LBB121_3
.LBB121_20:
	s_cbranch_execz .LBB121_22
	s_branch .LBB121_25
.LBB121_21:
.LBB121_22:
	v_dual_mov_b32 v1, 0 :: v_dual_lshlrev_b32 v0, 2, v0
	s_mov_b32 s2, exec_lo
	s_delay_alu instid0(VALU_DEP_1)
	v_cmpx_gt_i64_e64 s[6:7], v[0:1]
	s_cbranch_execz .LBB121_25
; %bb.23:
	s_load_b32 s0, s[0:1], 0xcb4
	s_mov_b32 s1, 0
	s_bfe_i32 s3, s14, 0x80000
	s_waitcnt lgkmcnt(0)
	s_and_b32 s0, s0, 0xffff
	s_delay_alu instid0(SALU_CYCLE_1)
	s_lshl_b32 s2, s0, 2
.LBB121_24:                             ; =>This Inner Loop Header: Depth=1
	v_add_co_u32 v2, vcc_lo, s12, v0
	v_add_co_ci_u32_e32 v3, vcc_lo, s13, v1, vcc_lo
	v_add_co_u32 v0, vcc_lo, s2, v0
	v_add_co_ci_u32_e32 v1, vcc_lo, 0, v1, vcc_lo
	global_load_b32 v4, v[2:3], off
	v_cmp_le_i64_e32 vcc_lo, s[6:7], v[0:1]
	v_cmp_lt_u64_e64 s0, 0xffff, v[0:1]
	s_delay_alu instid0(VALU_DEP_1) | instskip(NEXT) | instid1(SALU_CYCLE_1)
	s_or_b32 s0, vcc_lo, s0
	s_and_b32 s0, exec_lo, s0
	s_delay_alu instid0(SALU_CYCLE_1)
	s_or_b32 s1, s0, s1
	s_waitcnt vmcnt(0)
	v_lshrrev_b32_e32 v5, 16, v4
	v_lshrrev_b32_e32 v6, 8, v4
	;; [unrolled: 1-line block ×3, first 2 shown]
	v_bfe_i32 v4, v4, 0, 8
	s_delay_alu instid0(VALU_DEP_4) | instskip(NEXT) | instid1(VALU_DEP_4)
	v_bfe_i32 v5, v5, 0, 8
	v_bfe_i32 v6, v6, 0, 8
	s_delay_alu instid0(VALU_DEP_4) | instskip(NEXT) | instid1(VALU_DEP_4)
	v_bfe_i32 v7, v7, 0, 8
	v_min_i16 v4, v4, s3
	s_delay_alu instid0(VALU_DEP_4) | instskip(NEXT) | instid1(VALU_DEP_4)
	v_min_i16 v5, v5, s3
	v_min_i16 v6, v6, s3
	s_delay_alu instid0(VALU_DEP_4) | instskip(NEXT) | instid1(VALU_DEP_4)
	v_min_i16 v7, v7, s3
	v_and_b32_e32 v4, 0xff, v4
	s_delay_alu instid0(VALU_DEP_4) | instskip(NEXT) | instid1(VALU_DEP_4)
	v_and_b32_e32 v5, 0xff, v5
	v_and_b32_e32 v6, 0xff, v6
	s_delay_alu instid0(VALU_DEP_2) | instskip(NEXT) | instid1(VALU_DEP_2)
	v_lshlrev_b32_e32 v5, 16, v5
	v_lshlrev_b32_e32 v6, 8, v6
	s_delay_alu instid0(VALU_DEP_2) | instskip(NEXT) | instid1(VALU_DEP_1)
	v_lshl_or_b32 v5, v7, 24, v5
	v_or3_b32 v4, v5, v6, v4
	global_store_b32 v[2:3], v4, off
	s_and_not1_b32 exec_lo, exec_lo, s1
	s_cbranch_execnz .LBB121_24
.LBB121_25:
	s_nop 0
	s_sendmsg sendmsg(MSG_DEALLOC_VGPRS)
	s_endpgm
	.section	.rodata,"a",@progbits
	.p2align	6, 0x0
	.amdhsa_kernel _ZN2at6native12_GLOBAL__N_125multi_tensor_apply_kernelINS1_28TensorListScalarListMetadataIaLi1EEENS1_25BinaryOpScalarListFunctorIaLi1ELi1ELi0EEEJNS0_7minimumIaEEEEEvT_T0_DpT1_
		.amdhsa_group_segment_fixed_size 0
		.amdhsa_private_segment_fixed_size 0
		.amdhsa_kernarg_size 3496
		.amdhsa_user_sgpr_count 15
		.amdhsa_user_sgpr_dispatch_ptr 0
		.amdhsa_user_sgpr_queue_ptr 0
		.amdhsa_user_sgpr_kernarg_segment_ptr 1
		.amdhsa_user_sgpr_dispatch_id 0
		.amdhsa_user_sgpr_private_segment_size 0
		.amdhsa_wavefront_size32 1
		.amdhsa_uses_dynamic_stack 0
		.amdhsa_enable_private_segment 0
		.amdhsa_system_sgpr_workgroup_id_x 1
		.amdhsa_system_sgpr_workgroup_id_y 0
		.amdhsa_system_sgpr_workgroup_id_z 0
		.amdhsa_system_sgpr_workgroup_info 0
		.amdhsa_system_vgpr_workitem_id 0
		.amdhsa_next_free_vgpr 21
		.amdhsa_next_free_sgpr 18
		.amdhsa_reserve_vcc 1
		.amdhsa_float_round_mode_32 0
		.amdhsa_float_round_mode_16_64 0
		.amdhsa_float_denorm_mode_32 3
		.amdhsa_float_denorm_mode_16_64 3
		.amdhsa_dx10_clamp 1
		.amdhsa_ieee_mode 1
		.amdhsa_fp16_overflow 0
		.amdhsa_workgroup_processor_mode 1
		.amdhsa_memory_ordered 1
		.amdhsa_forward_progress 0
		.amdhsa_shared_vgpr_count 0
		.amdhsa_exception_fp_ieee_invalid_op 0
		.amdhsa_exception_fp_denorm_src 0
		.amdhsa_exception_fp_ieee_div_zero 0
		.amdhsa_exception_fp_ieee_overflow 0
		.amdhsa_exception_fp_ieee_underflow 0
		.amdhsa_exception_fp_ieee_inexact 0
		.amdhsa_exception_int_div_zero 0
	.end_amdhsa_kernel
	.section	.text._ZN2at6native12_GLOBAL__N_125multi_tensor_apply_kernelINS1_28TensorListScalarListMetadataIaLi1EEENS1_25BinaryOpScalarListFunctorIaLi1ELi1ELi0EEEJNS0_7minimumIaEEEEEvT_T0_DpT1_,"axG",@progbits,_ZN2at6native12_GLOBAL__N_125multi_tensor_apply_kernelINS1_28TensorListScalarListMetadataIaLi1EEENS1_25BinaryOpScalarListFunctorIaLi1ELi1ELi0EEEJNS0_7minimumIaEEEEEvT_T0_DpT1_,comdat
.Lfunc_end121:
	.size	_ZN2at6native12_GLOBAL__N_125multi_tensor_apply_kernelINS1_28TensorListScalarListMetadataIaLi1EEENS1_25BinaryOpScalarListFunctorIaLi1ELi1ELi0EEEJNS0_7minimumIaEEEEEvT_T0_DpT1_, .Lfunc_end121-_ZN2at6native12_GLOBAL__N_125multi_tensor_apply_kernelINS1_28TensorListScalarListMetadataIaLi1EEENS1_25BinaryOpScalarListFunctorIaLi1ELi1ELi0EEEJNS0_7minimumIaEEEEEvT_T0_DpT1_
                                        ; -- End function
	.section	.AMDGPU.csdata,"",@progbits
; Kernel info:
; codeLenInByte = 1392
; NumSgprs: 20
; NumVgprs: 21
; ScratchSize: 0
; MemoryBound: 0
; FloatMode: 240
; IeeeMode: 1
; LDSByteSize: 0 bytes/workgroup (compile time only)
; SGPRBlocks: 2
; VGPRBlocks: 2
; NumSGPRsForWavesPerEU: 20
; NumVGPRsForWavesPerEU: 21
; Occupancy: 16
; WaveLimiterHint : 0
; COMPUTE_PGM_RSRC2:SCRATCH_EN: 0
; COMPUTE_PGM_RSRC2:USER_SGPR: 15
; COMPUTE_PGM_RSRC2:TRAP_HANDLER: 0
; COMPUTE_PGM_RSRC2:TGID_X_EN: 1
; COMPUTE_PGM_RSRC2:TGID_Y_EN: 0
; COMPUTE_PGM_RSRC2:TGID_Z_EN: 0
; COMPUTE_PGM_RSRC2:TIDIG_COMP_CNT: 0
	.section	.text._ZN2at6native12_GLOBAL__N_125multi_tensor_apply_kernelINS1_28TensorListScalarListMetadataIiLi1EEENS1_25BinaryOpScalarListFunctorIiLi1ELi1ELi0EEEJNS0_7minimumIiEEEEEvT_T0_DpT1_,"axG",@progbits,_ZN2at6native12_GLOBAL__N_125multi_tensor_apply_kernelINS1_28TensorListScalarListMetadataIiLi1EEENS1_25BinaryOpScalarListFunctorIiLi1ELi1ELi0EEEJNS0_7minimumIiEEEEEvT_T0_DpT1_,comdat
	.globl	_ZN2at6native12_GLOBAL__N_125multi_tensor_apply_kernelINS1_28TensorListScalarListMetadataIiLi1EEENS1_25BinaryOpScalarListFunctorIiLi1ELi1ELi0EEEJNS0_7minimumIiEEEEEvT_T0_DpT1_ ; -- Begin function _ZN2at6native12_GLOBAL__N_125multi_tensor_apply_kernelINS1_28TensorListScalarListMetadataIiLi1EEENS1_25BinaryOpScalarListFunctorIiLi1ELi1ELi0EEEJNS0_7minimumIiEEEEEvT_T0_DpT1_
	.p2align	8
	.type	_ZN2at6native12_GLOBAL__N_125multi_tensor_apply_kernelINS1_28TensorListScalarListMetadataIiLi1EEENS1_25BinaryOpScalarListFunctorIiLi1ELi1ELi0EEEJNS0_7minimumIiEEEEEvT_T0_DpT1_,@function
_ZN2at6native12_GLOBAL__N_125multi_tensor_apply_kernelINS1_28TensorListScalarListMetadataIiLi1EEENS1_25BinaryOpScalarListFunctorIiLi1ELi1ELi0EEEJNS0_7minimumIiEEEEEvT_T0_DpT1_: ; @_ZN2at6native12_GLOBAL__N_125multi_tensor_apply_kernelINS1_28TensorListScalarListMetadataIiLi1EEENS1_25BinaryOpScalarListFunctorIiLi1ELi1ELi0EEEJNS0_7minimumIiEEEEEvT_T0_DpT1_
; %bb.0:
	v_mov_b32_e32 v1, s15
	s_add_u32 s2, s0, s15
	s_mul_i32 s3, s15, 3
	s_mul_hi_u32 s4, s15, 3
	s_addc_u32 s5, s1, 0
	global_load_u8 v1, v1, s[0:1] offset:1920
	s_add_u32 s2, s2, s3
	s_addc_u32 s3, s5, s4
	s_load_b32 s2, s[2:3], 0x8c0
	s_waitcnt vmcnt(0)
	v_readfirstlane_b32 s3, v1
	v_lshlrev_b32_e32 v1, 2, v1
	s_delay_alu instid0(VALU_DEP_2)
	s_lshl_b32 s6, s3, 3
	s_waitcnt lgkmcnt(0)
	s_ashr_i32 s3, s2, 31
	s_clause 0x1
	s_load_b64 s[4:5], s[0:1], s6 offset:0x300
	s_load_b64 s[8:9], s[0:1], s6 offset:0x0
	s_add_u32 s6, s0, s6
	s_addc_u32 s7, s1, 0
	v_sub_co_u32 v1, s6, s6, v1
	s_delay_alu instid0(VALU_DEP_1) | instskip(SKIP_1) | instid1(VALU_DEP_2)
	v_sub_co_ci_u32_e64 v2, null, s7, 0, s6
	s_lshl_b64 s[10:11], s[2:3], 18
	v_readfirstlane_b32 s6, v1
	s_lshl_b64 s[2:3], s[2:3], 16
	s_delay_alu instid0(VALU_DEP_2)
	v_readfirstlane_b32 s7, v2
	s_load_b32 s16, s[6:7], 0x600
	s_waitcnt lgkmcnt(0)
	s_and_b32 s12, s8, 15
	s_sub_u32 s6, s4, s2
	s_subb_u32 s7, s5, s3
	s_and_b32 s2, s4, 3
	s_mov_b32 s3, 0
	s_or_b32 s2, s12, s2
	s_delay_alu instid0(SALU_CYCLE_1)
	s_cmp_eq_u64 s[2:3], 0
	s_cbranch_scc1 .LBB122_21
; %bb.1:
	v_cmp_lt_i64_e64 s2, s[6:7], 1
	s_delay_alu instid0(VALU_DEP_1)
	s_and_b32 vcc_lo, exec_lo, s2
	s_cbranch_vccnz .LBB122_20
; %bb.2:
	s_load_b32 s2, s[0:1], 0xdd4
	v_cmp_gt_u64_e64 s3, 0x10000, s[6:7]
	v_lshlrev_b32_e32 v1, 2, v0
	s_waitcnt lgkmcnt(0)
	s_and_b32 s2, s2, 0xffff
	s_delay_alu instid0(VALU_DEP_2)
	s_and_b32 s3, s3, exec_lo
	v_add_co_u32 v5, s5, v0, s2
	s_cselect_b32 s13, s7, 0
	s_cselect_b32 s12, s6, 0x10000
	s_lshl_b32 s3, s2, 1
	s_lshl_b32 s17, s2, 2
	v_lshlrev_b32_e32 v3, 2, v5
	v_add_co_ci_u32_e64 v6, null, 0, 0, s5
	s_add_u32 s5, s8, s10
	v_add_co_u32 v9, s3, s3, v0
	s_mul_i32 s4, s2, 3
	s_addc_u32 s14, s9, s11
	v_add_co_ci_u32_e64 v10, null, 0, 0, s3
	v_add_co_u32 v1, s3, s5, v1
	v_add_co_u32 v7, s4, s4, v0
	v_add_co_ci_u32_e64 v2, null, s14, 0, s3
	v_add_co_u32 v3, s3, s5, v3
	v_add_co_ci_u32_e64 v8, null, 0, 0, s4
	v_add_co_ci_u32_e64 v4, null, s14, 0, s3
	s_lshl_b32 s18, s2, 4
	s_mul_i32 s19, s2, 12
	s_lshl_b32 s20, s2, 3
	s_mov_b64 s[14:15], 0
	s_branch .LBB122_4
.LBB122_3:                              ;   in Loop: Header=BB122_4 Depth=1
	s_or_b32 exec_lo, exec_lo, s2
	s_add_u32 s14, s14, s17
	s_addc_u32 s15, s15, 0
	v_add_co_u32 v1, vcc_lo, v1, s18
	v_cmp_lt_i64_e64 s2, s[14:15], s[6:7]
	v_cmp_gt_u64_e64 s3, 0x10000, s[14:15]
	v_add_co_ci_u32_e32 v2, vcc_lo, 0, v2, vcc_lo
	v_add_co_u32 v3, vcc_lo, v3, s18
	v_add_co_ci_u32_e32 v4, vcc_lo, 0, v4, vcc_lo
	s_delay_alu instid0(VALU_DEP_4) | instskip(NEXT) | instid1(SALU_CYCLE_1)
	s_and_b32 s2, s2, s3
	s_and_b32 vcc_lo, exec_lo, s2
	s_cbranch_vccz .LBB122_20
.LBB122_4:                              ; =>This Inner Loop Header: Depth=1
	s_waitcnt vmcnt(0)
	v_add_co_u32 v11, s2, v0, s14
	s_delay_alu instid0(VALU_DEP_1) | instskip(NEXT) | instid1(VALU_DEP_1)
	v_add_co_ci_u32_e64 v12, null, 0, s15, s2
	v_cmp_gt_u64_e32 vcc_lo, s[12:13], v[11:12]
	v_mov_b32_e32 v11, 0
	s_and_saveexec_b32 s2, vcc_lo
	s_cbranch_execz .LBB122_6
; %bb.5:                                ;   in Loop: Header=BB122_4 Depth=1
	global_load_b32 v11, v[1:2], off
.LBB122_6:                              ;   in Loop: Header=BB122_4 Depth=1
	s_or_b32 exec_lo, exec_lo, s2
	v_add_co_u32 v12, s2, v5, s14
	s_delay_alu instid0(VALU_DEP_1) | instskip(NEXT) | instid1(VALU_DEP_1)
	v_add_co_ci_u32_e64 v13, s2, s15, v6, s2
	v_cmp_gt_u64_e64 s2, s[12:13], v[12:13]
	v_mov_b32_e32 v13, 0
	s_delay_alu instid0(VALU_DEP_2)
	s_and_saveexec_b32 s3, s2
	s_cbranch_execz .LBB122_8
; %bb.7:                                ;   in Loop: Header=BB122_4 Depth=1
	global_load_b32 v13, v[3:4], off
.LBB122_8:                              ;   in Loop: Header=BB122_4 Depth=1
	s_or_b32 exec_lo, exec_lo, s3
	v_add_co_u32 v14, s3, v9, s14
	s_delay_alu instid0(VALU_DEP_1) | instskip(SKIP_1) | instid1(VALU_DEP_2)
	v_add_co_ci_u32_e64 v15, s3, s15, v10, s3
	v_mov_b32_e32 v12, 0
	v_cmp_gt_u64_e64 s3, s[12:13], v[14:15]
	v_mov_b32_e32 v14, 0
	s_delay_alu instid0(VALU_DEP_2)
	s_and_saveexec_b32 s5, s3
	s_cbranch_execz .LBB122_10
; %bb.9:                                ;   in Loop: Header=BB122_4 Depth=1
	v_add_co_u32 v14, s4, v1, s20
	s_delay_alu instid0(VALU_DEP_1)
	v_add_co_ci_u32_e64 v15, s4, 0, v2, s4
	global_load_b32 v14, v[14:15], off
.LBB122_10:                             ;   in Loop: Header=BB122_4 Depth=1
	s_or_b32 exec_lo, exec_lo, s5
	v_add_co_u32 v15, s4, v7, s14
	s_delay_alu instid0(VALU_DEP_1) | instskip(NEXT) | instid1(VALU_DEP_1)
	v_add_co_ci_u32_e64 v16, s4, s15, v8, s4
	v_cmp_gt_u64_e64 s4, s[12:13], v[15:16]
	s_delay_alu instid0(VALU_DEP_1)
	s_and_saveexec_b32 s21, s4
	s_cbranch_execnz .LBB122_15
; %bb.11:                               ;   in Loop: Header=BB122_4 Depth=1
	s_or_b32 exec_lo, exec_lo, s21
	s_and_saveexec_b32 s5, vcc_lo
	s_cbranch_execnz .LBB122_16
.LBB122_12:                             ;   in Loop: Header=BB122_4 Depth=1
	s_or_b32 exec_lo, exec_lo, s5
	s_and_saveexec_b32 s5, s2
	s_cbranch_execnz .LBB122_17
.LBB122_13:                             ;   in Loop: Header=BB122_4 Depth=1
	s_or_b32 exec_lo, exec_lo, s5
	s_and_saveexec_b32 s2, s3
	s_cbranch_execnz .LBB122_18
.LBB122_14:                             ;   in Loop: Header=BB122_4 Depth=1
	s_or_b32 exec_lo, exec_lo, s2
	s_and_saveexec_b32 s2, s4
	s_cbranch_execz .LBB122_3
	s_branch .LBB122_19
.LBB122_15:                             ;   in Loop: Header=BB122_4 Depth=1
	v_add_co_u32 v15, s5, v1, s19
	s_delay_alu instid0(VALU_DEP_1)
	v_add_co_ci_u32_e64 v16, s5, 0, v2, s5
	global_load_b32 v12, v[15:16], off
	s_or_b32 exec_lo, exec_lo, s21
	s_and_saveexec_b32 s5, vcc_lo
	s_cbranch_execz .LBB122_12
.LBB122_16:                             ;   in Loop: Header=BB122_4 Depth=1
	s_waitcnt vmcnt(0)
	v_min_i32_e32 v11, s16, v11
	global_store_b32 v[1:2], v11, off
	s_or_b32 exec_lo, exec_lo, s5
	s_and_saveexec_b32 s5, s2
	s_cbranch_execz .LBB122_13
.LBB122_17:                             ;   in Loop: Header=BB122_4 Depth=1
	s_waitcnt vmcnt(0)
	v_min_i32_e32 v11, s16, v13
	global_store_b32 v[3:4], v11, off
	s_or_b32 exec_lo, exec_lo, s5
	s_and_saveexec_b32 s2, s3
	s_cbranch_execz .LBB122_14
.LBB122_18:                             ;   in Loop: Header=BB122_4 Depth=1
	s_waitcnt vmcnt(0)
	v_add_co_u32 v13, vcc_lo, v1, s20
	v_min_i32_e32 v11, s16, v14
	v_add_co_ci_u32_e32 v14, vcc_lo, 0, v2, vcc_lo
	global_store_b32 v[13:14], v11, off
	s_or_b32 exec_lo, exec_lo, s2
	s_and_saveexec_b32 s2, s4
	s_cbranch_execz .LBB122_3
.LBB122_19:                             ;   in Loop: Header=BB122_4 Depth=1
	s_waitcnt vmcnt(0)
	v_add_co_u32 v11, vcc_lo, v1, s19
	v_min_i32_e32 v13, s16, v12
	v_add_co_ci_u32_e32 v12, vcc_lo, 0, v2, vcc_lo
	global_store_b32 v[11:12], v13, off
	s_branch .LBB122_3
.LBB122_20:
	s_cbranch_execz .LBB122_22
	s_branch .LBB122_25
.LBB122_21:
.LBB122_22:
	v_dual_mov_b32 v2, 0 :: v_dual_lshlrev_b32 v1, 2, v0
	s_mov_b32 s2, 0
	s_mov_b32 s3, exec_lo
	s_delay_alu instid0(VALU_DEP_1)
	v_cmpx_gt_i64_e64 s[6:7], v[1:2]
	s_cbranch_execz .LBB122_25
; %bb.23:
	s_load_b32 s0, s[0:1], 0xdd4
	v_lshlrev_b32_e32 v1, 4, v0
	s_waitcnt lgkmcnt(0)
	s_and_b32 s0, s0, 0xffff
	s_delay_alu instid0(SALU_CYCLE_1) | instskip(SKIP_3) | instid1(VALU_DEP_1)
	s_lshl_b32 s3, s0, 2
	s_add_u32 s1, s8, s10
	s_addc_u32 s4, s9, s11
	v_add_co_u32 v3, s1, s1, v1
	v_add_co_ci_u32_e64 v4, null, s4, 0, s1
	v_add_lshl_u32 v1, v0, s0, 2
	s_delay_alu instid0(VALU_DEP_3) | instskip(NEXT) | instid1(VALU_DEP_3)
	v_add_co_u32 v3, vcc_lo, v3, 8
	v_add_co_ci_u32_e32 v4, vcc_lo, 0, v4, vcc_lo
	s_lshl_b32 s4, s0, 4
	.p2align	6
.LBB122_24:                             ; =>This Inner Loop Header: Depth=1
	global_load_b128 v[5:8], v[3:4], off offset:-8
	v_cmp_le_i64_e32 vcc_lo, s[6:7], v[1:2]
	v_cmp_lt_u64_e64 s0, 0xffff, v[1:2]
	v_add_co_u32 v1, s1, v1, s3
	s_delay_alu instid0(VALU_DEP_1) | instskip(NEXT) | instid1(VALU_DEP_3)
	v_add_co_ci_u32_e64 v2, s1, 0, v2, s1
	s_or_b32 s0, vcc_lo, s0
	s_delay_alu instid0(SALU_CYCLE_1) | instskip(NEXT) | instid1(SALU_CYCLE_1)
	s_and_b32 s0, exec_lo, s0
	s_or_b32 s2, s0, s2
	s_waitcnt vmcnt(0)
	v_min_i32_e32 v5, s16, v5
	v_min_i32_e32 v6, s16, v6
	;; [unrolled: 1-line block ×4, first 2 shown]
	global_store_b128 v[3:4], v[5:8], off offset:-8
	v_add_co_u32 v3, vcc_lo, v3, s4
	v_add_co_ci_u32_e32 v4, vcc_lo, 0, v4, vcc_lo
	s_and_not1_b32 exec_lo, exec_lo, s2
	s_cbranch_execnz .LBB122_24
.LBB122_25:
	s_nop 0
	s_sendmsg sendmsg(MSG_DEALLOC_VGPRS)
	s_endpgm
	.section	.rodata,"a",@progbits
	.p2align	6, 0x0
	.amdhsa_kernel _ZN2at6native12_GLOBAL__N_125multi_tensor_apply_kernelINS1_28TensorListScalarListMetadataIiLi1EEENS1_25BinaryOpScalarListFunctorIiLi1ELi1ELi0EEEJNS0_7minimumIiEEEEEvT_T0_DpT1_
		.amdhsa_group_segment_fixed_size 0
		.amdhsa_private_segment_fixed_size 0
		.amdhsa_kernarg_size 3784
		.amdhsa_user_sgpr_count 15
		.amdhsa_user_sgpr_dispatch_ptr 0
		.amdhsa_user_sgpr_queue_ptr 0
		.amdhsa_user_sgpr_kernarg_segment_ptr 1
		.amdhsa_user_sgpr_dispatch_id 0
		.amdhsa_user_sgpr_private_segment_size 0
		.amdhsa_wavefront_size32 1
		.amdhsa_uses_dynamic_stack 0
		.amdhsa_enable_private_segment 0
		.amdhsa_system_sgpr_workgroup_id_x 1
		.amdhsa_system_sgpr_workgroup_id_y 0
		.amdhsa_system_sgpr_workgroup_id_z 0
		.amdhsa_system_sgpr_workgroup_info 0
		.amdhsa_system_vgpr_workitem_id 0
		.amdhsa_next_free_vgpr 17
		.amdhsa_next_free_sgpr 22
		.amdhsa_reserve_vcc 1
		.amdhsa_float_round_mode_32 0
		.amdhsa_float_round_mode_16_64 0
		.amdhsa_float_denorm_mode_32 3
		.amdhsa_float_denorm_mode_16_64 3
		.amdhsa_dx10_clamp 1
		.amdhsa_ieee_mode 1
		.amdhsa_fp16_overflow 0
		.amdhsa_workgroup_processor_mode 1
		.amdhsa_memory_ordered 1
		.amdhsa_forward_progress 0
		.amdhsa_shared_vgpr_count 0
		.amdhsa_exception_fp_ieee_invalid_op 0
		.amdhsa_exception_fp_denorm_src 0
		.amdhsa_exception_fp_ieee_div_zero 0
		.amdhsa_exception_fp_ieee_overflow 0
		.amdhsa_exception_fp_ieee_underflow 0
		.amdhsa_exception_fp_ieee_inexact 0
		.amdhsa_exception_int_div_zero 0
	.end_amdhsa_kernel
	.section	.text._ZN2at6native12_GLOBAL__N_125multi_tensor_apply_kernelINS1_28TensorListScalarListMetadataIiLi1EEENS1_25BinaryOpScalarListFunctorIiLi1ELi1ELi0EEEJNS0_7minimumIiEEEEEvT_T0_DpT1_,"axG",@progbits,_ZN2at6native12_GLOBAL__N_125multi_tensor_apply_kernelINS1_28TensorListScalarListMetadataIiLi1EEENS1_25BinaryOpScalarListFunctorIiLi1ELi1ELi0EEEJNS0_7minimumIiEEEEEvT_T0_DpT1_,comdat
.Lfunc_end122:
	.size	_ZN2at6native12_GLOBAL__N_125multi_tensor_apply_kernelINS1_28TensorListScalarListMetadataIiLi1EEENS1_25BinaryOpScalarListFunctorIiLi1ELi1ELi0EEEJNS0_7minimumIiEEEEEvT_T0_DpT1_, .Lfunc_end122-_ZN2at6native12_GLOBAL__N_125multi_tensor_apply_kernelINS1_28TensorListScalarListMetadataIiLi1EEENS1_25BinaryOpScalarListFunctorIiLi1ELi1ELi0EEEJNS0_7minimumIiEEEEEvT_T0_DpT1_
                                        ; -- End function
	.section	.AMDGPU.csdata,"",@progbits
; Kernel info:
; codeLenInByte = 1152
; NumSgprs: 24
; NumVgprs: 17
; ScratchSize: 0
; MemoryBound: 0
; FloatMode: 240
; IeeeMode: 1
; LDSByteSize: 0 bytes/workgroup (compile time only)
; SGPRBlocks: 2
; VGPRBlocks: 2
; NumSGPRsForWavesPerEU: 24
; NumVGPRsForWavesPerEU: 17
; Occupancy: 16
; WaveLimiterHint : 0
; COMPUTE_PGM_RSRC2:SCRATCH_EN: 0
; COMPUTE_PGM_RSRC2:USER_SGPR: 15
; COMPUTE_PGM_RSRC2:TRAP_HANDLER: 0
; COMPUTE_PGM_RSRC2:TGID_X_EN: 1
; COMPUTE_PGM_RSRC2:TGID_Y_EN: 0
; COMPUTE_PGM_RSRC2:TGID_Z_EN: 0
; COMPUTE_PGM_RSRC2:TIDIG_COMP_CNT: 0
	.section	.text._ZN2at6native12_GLOBAL__N_125multi_tensor_apply_kernelINS1_28TensorListScalarListMetadataIlLi1EEENS1_25BinaryOpScalarListFunctorIlLi1ELi1ELi0EEEJNS0_7minimumIlEEEEEvT_T0_DpT1_,"axG",@progbits,_ZN2at6native12_GLOBAL__N_125multi_tensor_apply_kernelINS1_28TensorListScalarListMetadataIlLi1EEENS1_25BinaryOpScalarListFunctorIlLi1ELi1ELi0EEEJNS0_7minimumIlEEEEEvT_T0_DpT1_,comdat
	.globl	_ZN2at6native12_GLOBAL__N_125multi_tensor_apply_kernelINS1_28TensorListScalarListMetadataIlLi1EEENS1_25BinaryOpScalarListFunctorIlLi1ELi1ELi0EEEJNS0_7minimumIlEEEEEvT_T0_DpT1_ ; -- Begin function _ZN2at6native12_GLOBAL__N_125multi_tensor_apply_kernelINS1_28TensorListScalarListMetadataIlLi1EEENS1_25BinaryOpScalarListFunctorIlLi1ELi1ELi0EEEJNS0_7minimumIlEEEEEvT_T0_DpT1_
	.p2align	8
	.type	_ZN2at6native12_GLOBAL__N_125multi_tensor_apply_kernelINS1_28TensorListScalarListMetadataIlLi1EEENS1_25BinaryOpScalarListFunctorIlLi1ELi1ELi0EEEJNS0_7minimumIlEEEEEvT_T0_DpT1_,@function
_ZN2at6native12_GLOBAL__N_125multi_tensor_apply_kernelINS1_28TensorListScalarListMetadataIlLi1EEENS1_25BinaryOpScalarListFunctorIlLi1ELi1ELi0EEEJNS0_7minimumIlEEEEEvT_T0_DpT1_: ; @_ZN2at6native12_GLOBAL__N_125multi_tensor_apply_kernelINS1_28TensorListScalarListMetadataIlLi1EEENS1_25BinaryOpScalarListFunctorIlLi1ELi1ELi0EEEJNS0_7minimumIlEEEEEvT_T0_DpT1_
; %bb.0:
	v_mov_b32_e32 v1, s15
	s_add_u32 s2, s0, s15
	s_mul_hi_u32 s3, s15, 3
	s_mul_i32 s15, s15, 3
	s_addc_u32 s4, s1, 0
	global_load_u8 v1, v1, s[0:1] offset:2304
	s_add_u32 s2, s2, s15
	s_addc_u32 s3, s4, s3
	s_mov_b32 s15, 0
	s_load_b32 s2, s[2:3], 0xa40
	s_waitcnt vmcnt(0)
	v_readfirstlane_b32 s5, v1
	s_delay_alu instid0(VALU_DEP_1)
	s_lshl_b32 s3, s5, 3
	s_clause 0x2
	s_load_b64 s[6:7], s[0:1], s3 offset:0x600
	s_load_b64 s[10:11], s[0:1], s3 offset:0x0
	;; [unrolled: 1-line block ×3, first 2 shown]
	s_waitcnt lgkmcnt(0)
	s_ashr_i32 s3, s2, 31
	s_delay_alu instid0(SALU_CYCLE_1)
	s_lshl_b64 s[12:13], s[2:3], 19
	s_lshl_b64 s[2:3], s[2:3], 16
	s_and_b32 s14, s10, 31
	s_sub_u32 s8, s4, s2
	s_subb_u32 s9, s5, s3
	s_and_b32 s2, s4, 3
	s_mov_b32 s3, s15
	s_delay_alu instid0(SALU_CYCLE_1) | instskip(NEXT) | instid1(SALU_CYCLE_1)
	s_or_b64 s[2:3], s[14:15], s[2:3]
	s_cmp_eq_u64 s[2:3], 0
	s_cbranch_scc1 .LBB123_21
; %bb.1:
	v_cmp_lt_i64_e64 s2, s[8:9], 1
	s_delay_alu instid0(VALU_DEP_1)
	s_and_b32 vcc_lo, exec_lo, s2
	s_cbranch_vccnz .LBB123_20
; %bb.2:
	s_load_b32 s2, s[0:1], 0xf54
	v_cmp_gt_u64_e64 s3, 0x10000, s[8:9]
	v_lshlrev_b32_e32 v1, 3, v0
	s_waitcnt lgkmcnt(0)
	s_and_b32 s2, s2, 0xffff
	s_delay_alu instid0(VALU_DEP_2)
	s_and_b32 s3, s3, exec_lo
	v_add_co_u32 v13, s5, v0, s2
	s_cselect_b32 s15, s9, 0
	s_cselect_b32 s14, s8, 0x10000
	s_lshl_b32 s3, s2, 1
	s_lshl_b32 s18, s2, 2
	v_lshlrev_b32_e32 v3, 3, v13
	v_add_co_ci_u32_e64 v14, null, 0, 0, s5
	s_add_u32 s5, s10, s12
	v_add_co_u32 v17, s3, s3, v0
	s_mul_i32 s4, s2, 3
	s_addc_u32 s16, s11, s13
	v_add_co_ci_u32_e64 v18, null, 0, 0, s3
	v_add_co_u32 v1, s3, s5, v1
	v_add_co_u32 v15, s4, s4, v0
	v_add_co_ci_u32_e64 v2, null, s16, 0, s3
	v_add_co_u32 v3, s3, s5, v3
	v_add_co_ci_u32_e64 v16, null, 0, 0, s4
	v_add_co_ci_u32_e64 v4, null, s16, 0, s3
	s_lshl_b32 s19, s2, 5
	s_mul_i32 s20, s2, 24
	s_lshl_b32 s21, s2, 4
	s_mov_b64 s[16:17], 0
	s_branch .LBB123_4
.LBB123_3:                              ;   in Loop: Header=BB123_4 Depth=1
	s_or_b32 exec_lo, exec_lo, s2
	s_add_u32 s16, s16, s18
	s_addc_u32 s17, s17, 0
	v_add_co_u32 v1, vcc_lo, v1, s19
	v_cmp_lt_i64_e64 s2, s[16:17], s[8:9]
	v_cmp_gt_u64_e64 s3, 0x10000, s[16:17]
	v_add_co_ci_u32_e32 v2, vcc_lo, 0, v2, vcc_lo
	v_add_co_u32 v3, vcc_lo, v3, s19
	v_add_co_ci_u32_e32 v4, vcc_lo, 0, v4, vcc_lo
	s_delay_alu instid0(VALU_DEP_4) | instskip(NEXT) | instid1(SALU_CYCLE_1)
	s_and_b32 s2, s2, s3
	s_and_b32 vcc_lo, exec_lo, s2
	s_cbranch_vccz .LBB123_20
.LBB123_4:                              ; =>This Inner Loop Header: Depth=1
	s_waitcnt vmcnt(0)
	v_add_co_u32 v7, s2, v0, s16
	s_delay_alu instid0(VALU_DEP_1) | instskip(SKIP_2) | instid1(VALU_DEP_3)
	v_add_co_ci_u32_e64 v8, null, 0, s17, s2
	v_mov_b32_e32 v5, 0
	v_mov_b32_e32 v6, 0
	v_cmp_gt_u64_e32 vcc_lo, s[14:15], v[7:8]
	s_delay_alu instid0(VALU_DEP_2)
	v_dual_mov_b32 v10, v6 :: v_dual_mov_b32 v9, v5
	s_and_saveexec_b32 s2, vcc_lo
	s_cbranch_execz .LBB123_6
; %bb.5:                                ;   in Loop: Header=BB123_4 Depth=1
	global_load_b64 v[9:10], v[1:2], off
.LBB123_6:                              ;   in Loop: Header=BB123_4 Depth=1
	s_or_b32 exec_lo, exec_lo, s2
	v_add_co_u32 v7, s2, v13, s16
	s_delay_alu instid0(VALU_DEP_1) | instskip(NEXT) | instid1(VALU_DEP_1)
	v_add_co_ci_u32_e64 v8, s2, s17, v14, s2
	v_cmp_gt_u64_e64 s2, s[14:15], v[7:8]
	s_delay_alu instid0(VALU_DEP_1)
	s_and_saveexec_b32 s3, s2
	s_cbranch_execz .LBB123_8
; %bb.7:                                ;   in Loop: Header=BB123_4 Depth=1
	global_load_b64 v[5:6], v[3:4], off
.LBB123_8:                              ;   in Loop: Header=BB123_4 Depth=1
	s_or_b32 exec_lo, exec_lo, s3
	v_add_co_u32 v11, s3, v17, s16
	s_delay_alu instid0(VALU_DEP_1) | instskip(SKIP_2) | instid1(VALU_DEP_3)
	v_add_co_ci_u32_e64 v12, s3, s17, v18, s3
	v_mov_b32_e32 v7, 0
	v_mov_b32_e32 v8, 0
	v_cmp_gt_u64_e64 s3, s[14:15], v[11:12]
	s_delay_alu instid0(VALU_DEP_2) | instskip(NEXT) | instid1(VALU_DEP_2)
	v_dual_mov_b32 v12, v8 :: v_dual_mov_b32 v11, v7
	s_and_saveexec_b32 s5, s3
	s_cbranch_execz .LBB123_10
; %bb.9:                                ;   in Loop: Header=BB123_4 Depth=1
	v_add_co_u32 v11, s4, v1, s21
	s_delay_alu instid0(VALU_DEP_1)
	v_add_co_ci_u32_e64 v12, s4, 0, v2, s4
	global_load_b64 v[11:12], v[11:12], off
.LBB123_10:                             ;   in Loop: Header=BB123_4 Depth=1
	s_or_b32 exec_lo, exec_lo, s5
	v_add_co_u32 v19, s4, v15, s16
	s_delay_alu instid0(VALU_DEP_1) | instskip(NEXT) | instid1(VALU_DEP_1)
	v_add_co_ci_u32_e64 v20, s4, s17, v16, s4
	v_cmp_gt_u64_e64 s4, s[14:15], v[19:20]
	s_delay_alu instid0(VALU_DEP_1)
	s_and_saveexec_b32 s22, s4
	s_cbranch_execnz .LBB123_15
; %bb.11:                               ;   in Loop: Header=BB123_4 Depth=1
	s_or_b32 exec_lo, exec_lo, s22
	s_and_saveexec_b32 s5, vcc_lo
	s_cbranch_execnz .LBB123_16
.LBB123_12:                             ;   in Loop: Header=BB123_4 Depth=1
	s_or_b32 exec_lo, exec_lo, s5
	s_and_saveexec_b32 s5, s2
	s_cbranch_execnz .LBB123_17
.LBB123_13:                             ;   in Loop: Header=BB123_4 Depth=1
	s_or_b32 exec_lo, exec_lo, s5
	s_and_saveexec_b32 s2, s3
	s_cbranch_execnz .LBB123_18
.LBB123_14:                             ;   in Loop: Header=BB123_4 Depth=1
	s_or_b32 exec_lo, exec_lo, s2
	s_and_saveexec_b32 s2, s4
	s_cbranch_execz .LBB123_3
	s_branch .LBB123_19
.LBB123_15:                             ;   in Loop: Header=BB123_4 Depth=1
	v_add_co_u32 v7, s5, v1, s20
	s_delay_alu instid0(VALU_DEP_1)
	v_add_co_ci_u32_e64 v8, s5, 0, v2, s5
	global_load_b64 v[7:8], v[7:8], off
	s_or_b32 exec_lo, exec_lo, s22
	s_and_saveexec_b32 s5, vcc_lo
	s_cbranch_execz .LBB123_12
.LBB123_16:                             ;   in Loop: Header=BB123_4 Depth=1
	s_waitcnt vmcnt(0)
	v_cmp_gt_i64_e32 vcc_lo, s[6:7], v[9:10]
	v_cndmask_b32_e32 v10, s7, v10, vcc_lo
	v_cndmask_b32_e32 v9, s6, v9, vcc_lo
	global_store_b64 v[1:2], v[9:10], off
	s_or_b32 exec_lo, exec_lo, s5
	s_and_saveexec_b32 s5, s2
	s_cbranch_execz .LBB123_13
.LBB123_17:                             ;   in Loop: Header=BB123_4 Depth=1
	s_waitcnt vmcnt(0)
	v_cmp_gt_i64_e32 vcc_lo, s[6:7], v[5:6]
	v_cndmask_b32_e32 v6, s7, v6, vcc_lo
	v_cndmask_b32_e32 v5, s6, v5, vcc_lo
	global_store_b64 v[3:4], v[5:6], off
	s_or_b32 exec_lo, exec_lo, s5
	s_and_saveexec_b32 s2, s3
	s_cbranch_execz .LBB123_14
.LBB123_18:                             ;   in Loop: Header=BB123_4 Depth=1
	s_waitcnt vmcnt(0)
	v_cmp_gt_i64_e32 vcc_lo, s[6:7], v[11:12]
	v_cndmask_b32_e32 v6, s7, v12, vcc_lo
	v_cndmask_b32_e32 v5, s6, v11, vcc_lo
	v_add_co_u32 v9, vcc_lo, v1, s21
	v_add_co_ci_u32_e32 v10, vcc_lo, 0, v2, vcc_lo
	global_store_b64 v[9:10], v[5:6], off
	s_or_b32 exec_lo, exec_lo, s2
	s_and_saveexec_b32 s2, s4
	s_cbranch_execz .LBB123_3
.LBB123_19:                             ;   in Loop: Header=BB123_4 Depth=1
	s_waitcnt vmcnt(0)
	v_cmp_gt_i64_e32 vcc_lo, s[6:7], v[7:8]
	v_cndmask_b32_e32 v6, s7, v8, vcc_lo
	v_cndmask_b32_e32 v5, s6, v7, vcc_lo
	v_add_co_u32 v7, vcc_lo, v1, s20
	v_add_co_ci_u32_e32 v8, vcc_lo, 0, v2, vcc_lo
	global_store_b64 v[7:8], v[5:6], off
	s_branch .LBB123_3
.LBB123_20:
	s_cbranch_execz .LBB123_22
	s_branch .LBB123_25
.LBB123_21:
.LBB123_22:
	v_dual_mov_b32 v2, 0 :: v_dual_lshlrev_b32 v1, 2, v0
	s_mov_b32 s5, 0
	s_mov_b32 s2, exec_lo
	s_delay_alu instid0(VALU_DEP_1)
	v_cmpx_gt_i64_e64 s[8:9], v[1:2]
	s_cbranch_execz .LBB123_25
; %bb.23:
	s_load_b32 s0, s[0:1], 0xf54
	v_lshlrev_b32_e32 v1, 5, v0
	s_waitcnt lgkmcnt(0)
	s_and_b32 s0, s0, 0xffff
	s_delay_alu instid0(SALU_CYCLE_1) | instskip(SKIP_3) | instid1(VALU_DEP_1)
	s_lshl_b32 s14, s0, 2
	s_add_u32 s1, s10, s12
	s_addc_u32 s2, s11, s13
	v_add_co_u32 v3, s1, s1, v1
	v_add_co_ci_u32_e64 v4, null, s2, 0, s1
	v_add_lshl_u32 v1, v0, s0, 2
	s_delay_alu instid0(VALU_DEP_3) | instskip(NEXT) | instid1(VALU_DEP_3)
	v_add_co_u32 v3, vcc_lo, v3, 16
	v_add_co_ci_u32_e32 v4, vcc_lo, 0, v4, vcc_lo
	s_lshl_b32 s10, s0, 5
	s_set_inst_prefetch_distance 0x1
	.p2align	6
.LBB123_24:                             ; =>This Inner Loop Header: Depth=1
	s_clause 0x1
	global_load_b128 v[5:8], v[3:4], off offset:-16
	global_load_b128 v[9:12], v[3:4], off
	v_cmp_le_i64_e32 vcc_lo, s[8:9], v[1:2]
	v_cmp_lt_u64_e64 s0, 0xffff, v[1:2]
	s_delay_alu instid0(VALU_DEP_1) | instskip(NEXT) | instid1(SALU_CYCLE_1)
	s_or_b32 s0, vcc_lo, s0
	s_and_b32 s0, exec_lo, s0
	s_delay_alu instid0(SALU_CYCLE_1)
	s_or_b32 s5, s0, s5
	s_waitcnt vmcnt(1)
	v_cmp_gt_i64_e64 s1, s[6:7], v[5:6]
	v_cmp_gt_i64_e64 s2, s[6:7], v[7:8]
	s_waitcnt vmcnt(0)
	v_cmp_gt_i64_e64 s3, s[6:7], v[9:10]
	v_cmp_gt_i64_e64 s4, s[6:7], v[11:12]
	s_delay_alu instid0(VALU_DEP_4) | instskip(NEXT) | instid1(VALU_DEP_4)
	v_cndmask_b32_e64 v6, s7, v6, s1
	v_cndmask_b32_e64 v8, s7, v8, s2
	;; [unrolled: 1-line block ×8, first 2 shown]
	v_add_co_u32 v1, s1, v1, s14
	s_clause 0x1
	global_store_b128 v[3:4], v[5:8], off offset:-16
	global_store_b128 v[3:4], v[9:12], off
	v_add_co_u32 v3, vcc_lo, v3, s10
	v_add_co_ci_u32_e64 v2, s1, 0, v2, s1
	v_add_co_ci_u32_e32 v4, vcc_lo, 0, v4, vcc_lo
	s_and_not1_b32 exec_lo, exec_lo, s5
	s_cbranch_execnz .LBB123_24
.LBB123_25:
	s_set_inst_prefetch_distance 0x2
	s_nop 0
	s_sendmsg sendmsg(MSG_DEALLOC_VGPRS)
	s_endpgm
	.section	.rodata,"a",@progbits
	.p2align	6, 0x0
	.amdhsa_kernel _ZN2at6native12_GLOBAL__N_125multi_tensor_apply_kernelINS1_28TensorListScalarListMetadataIlLi1EEENS1_25BinaryOpScalarListFunctorIlLi1ELi1ELi0EEEJNS0_7minimumIlEEEEEvT_T0_DpT1_
		.amdhsa_group_segment_fixed_size 0
		.amdhsa_private_segment_fixed_size 0
		.amdhsa_kernarg_size 4168
		.amdhsa_user_sgpr_count 15
		.amdhsa_user_sgpr_dispatch_ptr 0
		.amdhsa_user_sgpr_queue_ptr 0
		.amdhsa_user_sgpr_kernarg_segment_ptr 1
		.amdhsa_user_sgpr_dispatch_id 0
		.amdhsa_user_sgpr_private_segment_size 0
		.amdhsa_wavefront_size32 1
		.amdhsa_uses_dynamic_stack 0
		.amdhsa_enable_private_segment 0
		.amdhsa_system_sgpr_workgroup_id_x 1
		.amdhsa_system_sgpr_workgroup_id_y 0
		.amdhsa_system_sgpr_workgroup_id_z 0
		.amdhsa_system_sgpr_workgroup_info 0
		.amdhsa_system_vgpr_workitem_id 0
		.amdhsa_next_free_vgpr 21
		.amdhsa_next_free_sgpr 23
		.amdhsa_reserve_vcc 1
		.amdhsa_float_round_mode_32 0
		.amdhsa_float_round_mode_16_64 0
		.amdhsa_float_denorm_mode_32 3
		.amdhsa_float_denorm_mode_16_64 3
		.amdhsa_dx10_clamp 1
		.amdhsa_ieee_mode 1
		.amdhsa_fp16_overflow 0
		.amdhsa_workgroup_processor_mode 1
		.amdhsa_memory_ordered 1
		.amdhsa_forward_progress 0
		.amdhsa_shared_vgpr_count 0
		.amdhsa_exception_fp_ieee_invalid_op 0
		.amdhsa_exception_fp_denorm_src 0
		.amdhsa_exception_fp_ieee_div_zero 0
		.amdhsa_exception_fp_ieee_overflow 0
		.amdhsa_exception_fp_ieee_underflow 0
		.amdhsa_exception_fp_ieee_inexact 0
		.amdhsa_exception_int_div_zero 0
	.end_amdhsa_kernel
	.section	.text._ZN2at6native12_GLOBAL__N_125multi_tensor_apply_kernelINS1_28TensorListScalarListMetadataIlLi1EEENS1_25BinaryOpScalarListFunctorIlLi1ELi1ELi0EEEJNS0_7minimumIlEEEEEvT_T0_DpT1_,"axG",@progbits,_ZN2at6native12_GLOBAL__N_125multi_tensor_apply_kernelINS1_28TensorListScalarListMetadataIlLi1EEENS1_25BinaryOpScalarListFunctorIlLi1ELi1ELi0EEEJNS0_7minimumIlEEEEEvT_T0_DpT1_,comdat
.Lfunc_end123:
	.size	_ZN2at6native12_GLOBAL__N_125multi_tensor_apply_kernelINS1_28TensorListScalarListMetadataIlLi1EEENS1_25BinaryOpScalarListFunctorIlLi1ELi1ELi0EEEJNS0_7minimumIlEEEEEvT_T0_DpT1_, .Lfunc_end123-_ZN2at6native12_GLOBAL__N_125multi_tensor_apply_kernelINS1_28TensorListScalarListMetadataIlLi1EEENS1_25BinaryOpScalarListFunctorIlLi1ELi1ELi0EEEJNS0_7minimumIlEEEEEvT_T0_DpT1_
                                        ; -- End function
	.section	.AMDGPU.csdata,"",@progbits
; Kernel info:
; codeLenInByte = 1284
; NumSgprs: 25
; NumVgprs: 21
; ScratchSize: 0
; MemoryBound: 0
; FloatMode: 240
; IeeeMode: 1
; LDSByteSize: 0 bytes/workgroup (compile time only)
; SGPRBlocks: 3
; VGPRBlocks: 2
; NumSGPRsForWavesPerEU: 25
; NumVGPRsForWavesPerEU: 21
; Occupancy: 16
; WaveLimiterHint : 1
; COMPUTE_PGM_RSRC2:SCRATCH_EN: 0
; COMPUTE_PGM_RSRC2:USER_SGPR: 15
; COMPUTE_PGM_RSRC2:TRAP_HANDLER: 0
; COMPUTE_PGM_RSRC2:TGID_X_EN: 1
; COMPUTE_PGM_RSRC2:TGID_Y_EN: 0
; COMPUTE_PGM_RSRC2:TGID_Z_EN: 0
; COMPUTE_PGM_RSRC2:TIDIG_COMP_CNT: 0
	.section	.text._ZN2at6native12_GLOBAL__N_125multi_tensor_apply_kernelINS1_28TensorListScalarListMetadataIsLi1EEENS1_25BinaryOpScalarListFunctorIsLi1ELi1ELi0EEEJNS0_7minimumIsEEEEEvT_T0_DpT1_,"axG",@progbits,_ZN2at6native12_GLOBAL__N_125multi_tensor_apply_kernelINS1_28TensorListScalarListMetadataIsLi1EEENS1_25BinaryOpScalarListFunctorIsLi1ELi1ELi0EEEJNS0_7minimumIsEEEEEvT_T0_DpT1_,comdat
	.globl	_ZN2at6native12_GLOBAL__N_125multi_tensor_apply_kernelINS1_28TensorListScalarListMetadataIsLi1EEENS1_25BinaryOpScalarListFunctorIsLi1ELi1ELi0EEEJNS0_7minimumIsEEEEEvT_T0_DpT1_ ; -- Begin function _ZN2at6native12_GLOBAL__N_125multi_tensor_apply_kernelINS1_28TensorListScalarListMetadataIsLi1EEENS1_25BinaryOpScalarListFunctorIsLi1ELi1ELi0EEEJNS0_7minimumIsEEEEEvT_T0_DpT1_
	.p2align	8
	.type	_ZN2at6native12_GLOBAL__N_125multi_tensor_apply_kernelINS1_28TensorListScalarListMetadataIsLi1EEENS1_25BinaryOpScalarListFunctorIsLi1ELi1ELi0EEEJNS0_7minimumIsEEEEEvT_T0_DpT1_,@function
_ZN2at6native12_GLOBAL__N_125multi_tensor_apply_kernelINS1_28TensorListScalarListMetadataIsLi1EEENS1_25BinaryOpScalarListFunctorIsLi1ELi1ELi0EEEJNS0_7minimumIsEEEEEvT_T0_DpT1_: ; @_ZN2at6native12_GLOBAL__N_125multi_tensor_apply_kernelINS1_28TensorListScalarListMetadataIsLi1EEENS1_25BinaryOpScalarListFunctorIsLi1ELi1ELi0EEEJNS0_7minimumIsEEEEEvT_T0_DpT1_
; %bb.0:
	v_mov_b32_e32 v1, s15
	s_add_u32 s2, s0, s15
	s_mul_i32 s3, s15, 3
	s_mul_hi_u32 s4, s15, 3
	s_addc_u32 s5, s1, 0
	global_load_u8 v1, v1, s[0:1] offset:1728
	s_add_u32 s2, s2, s3
	s_addc_u32 s3, s5, s4
	s_load_b32 s2, s[2:3], 0x800
	s_waitcnt vmcnt(0)
	v_readfirstlane_b32 s3, v1
	v_mul_lo_u32 v2, v1, -6
	v_mul_hi_i32 v3, v1, -6
	s_delay_alu instid0(VALU_DEP_3) | instskip(SKIP_4) | instid1(VALU_DEP_2)
	s_lshl_b32 s6, s3, 3
	s_waitcnt lgkmcnt(0)
	s_ashr_i32 s3, s2, 31
	s_add_u32 s7, s0, s6
	s_addc_u32 s8, s1, 0
	v_add_co_u32 v1, vcc_lo, s7, v2
	s_delay_alu instid0(VALU_DEP_2)
	v_add_co_ci_u32_e32 v2, vcc_lo, s8, v3, vcc_lo
	s_load_b64 s[4:5], s[0:1], s6 offset:0x300
	s_lshl_b64 s[10:11], s[2:3], 17
	s_lshl_b64 s[2:3], s[2:3], 16
	global_load_u16 v5, v[1:2], off offset:1536
	s_load_b64 s[8:9], s[0:1], s6 offset:0x0
	s_waitcnt lgkmcnt(0)
	s_and_b32 s12, s8, 7
	s_sub_u32 s6, s4, s2
	s_subb_u32 s7, s5, s3
	s_and_b32 s2, s4, 3
	s_mov_b32 s3, 0
	s_or_b32 s2, s12, s2
	s_delay_alu instid0(SALU_CYCLE_1)
	s_cmp_eq_u64 s[2:3], 0
	s_cbranch_scc1 .LBB124_21
; %bb.1:
	v_cmp_lt_i64_e64 s2, s[6:7], 1
	s_delay_alu instid0(VALU_DEP_1)
	s_and_b32 vcc_lo, exec_lo, s2
	s_cbranch_vccnz .LBB124_20
; %bb.2:
	s_load_b32 s2, s[0:1], 0xd14
	v_cmp_gt_u64_e64 s3, 0x10000, s[6:7]
	v_lshlrev_b32_e32 v1, 1, v0
	s_waitcnt lgkmcnt(0)
	s_and_b32 s2, s2, 0xffff
	s_delay_alu instid0(VALU_DEP_2)
	s_and_b32 s3, s3, exec_lo
	v_add_co_u32 v6, s5, v0, s2
	s_cselect_b32 s13, s7, 0
	s_cselect_b32 s12, s6, 0x10000
	s_lshl_b32 s3, s2, 1
	s_lshl_b32 s16, s2, 2
	v_lshlrev_b32_e32 v3, 1, v6
	v_add_co_ci_u32_e64 v7, null, 0, 0, s5
	s_add_u32 s5, s8, s10
	v_add_co_u32 v10, s3, s3, v0
	s_mul_i32 s4, s2, 3
	s_addc_u32 s14, s9, s11
	v_add_co_ci_u32_e64 v11, null, 0, 0, s3
	v_add_co_u32 v1, s3, s5, v1
	v_add_co_u32 v8, s4, s4, v0
	v_add_co_ci_u32_e64 v2, null, s14, 0, s3
	v_add_co_u32 v3, s3, s5, v3
	v_add_co_ci_u32_e64 v9, null, 0, 0, s4
	v_add_co_ci_u32_e64 v4, null, s14, 0, s3
	s_lshl_b32 s17, s2, 3
	s_mul_i32 s18, s2, 6
	s_mov_b64 s[14:15], 0
	s_branch .LBB124_4
.LBB124_3:                              ;   in Loop: Header=BB124_4 Depth=1
	s_or_b32 exec_lo, exec_lo, s2
	s_add_u32 s14, s14, s16
	s_addc_u32 s15, s15, 0
	v_add_co_u32 v1, vcc_lo, v1, s17
	v_cmp_lt_i64_e64 s2, s[14:15], s[6:7]
	v_cmp_gt_u64_e64 s3, 0x10000, s[14:15]
	v_add_co_ci_u32_e32 v2, vcc_lo, 0, v2, vcc_lo
	v_add_co_u32 v3, vcc_lo, v3, s17
	v_add_co_ci_u32_e32 v4, vcc_lo, 0, v4, vcc_lo
	s_delay_alu instid0(VALU_DEP_4) | instskip(NEXT) | instid1(SALU_CYCLE_1)
	s_and_b32 s2, s2, s3
	s_and_b32 vcc_lo, exec_lo, s2
	s_cbranch_vccz .LBB124_20
.LBB124_4:                              ; =>This Inner Loop Header: Depth=1
	s_waitcnt vmcnt(0)
	v_add_co_u32 v12, s2, v0, s14
	s_delay_alu instid0(VALU_DEP_1) | instskip(NEXT) | instid1(VALU_DEP_1)
	v_add_co_ci_u32_e64 v13, null, 0, s15, s2
	v_cmp_gt_u64_e32 vcc_lo, s[12:13], v[12:13]
	v_mov_b32_e32 v12, 0
	s_and_saveexec_b32 s2, vcc_lo
	s_cbranch_execz .LBB124_6
; %bb.5:                                ;   in Loop: Header=BB124_4 Depth=1
	global_load_u16 v12, v[1:2], off
.LBB124_6:                              ;   in Loop: Header=BB124_4 Depth=1
	s_or_b32 exec_lo, exec_lo, s2
	v_add_co_u32 v13, s2, v6, s14
	s_delay_alu instid0(VALU_DEP_1) | instskip(NEXT) | instid1(VALU_DEP_1)
	v_add_co_ci_u32_e64 v14, s2, s15, v7, s2
	v_cmp_gt_u64_e64 s2, s[12:13], v[13:14]
	v_mov_b32_e32 v14, 0
	s_delay_alu instid0(VALU_DEP_2)
	s_and_saveexec_b32 s3, s2
	s_cbranch_execz .LBB124_8
; %bb.7:                                ;   in Loop: Header=BB124_4 Depth=1
	global_load_u16 v14, v[3:4], off
.LBB124_8:                              ;   in Loop: Header=BB124_4 Depth=1
	s_or_b32 exec_lo, exec_lo, s3
	v_add_co_u32 v15, s3, v10, s14
	s_delay_alu instid0(VALU_DEP_1) | instskip(SKIP_1) | instid1(VALU_DEP_2)
	v_add_co_ci_u32_e64 v16, s3, s15, v11, s3
	v_mov_b32_e32 v13, 0
	v_cmp_gt_u64_e64 s3, s[12:13], v[15:16]
	v_mov_b32_e32 v15, 0
	s_delay_alu instid0(VALU_DEP_2)
	s_and_saveexec_b32 s5, s3
	s_cbranch_execz .LBB124_10
; %bb.9:                                ;   in Loop: Header=BB124_4 Depth=1
	v_add_co_u32 v15, s4, v1, s16
	s_delay_alu instid0(VALU_DEP_1)
	v_add_co_ci_u32_e64 v16, s4, 0, v2, s4
	global_load_u16 v15, v[15:16], off
.LBB124_10:                             ;   in Loop: Header=BB124_4 Depth=1
	s_or_b32 exec_lo, exec_lo, s5
	v_add_co_u32 v16, s4, v8, s14
	s_delay_alu instid0(VALU_DEP_1) | instskip(NEXT) | instid1(VALU_DEP_1)
	v_add_co_ci_u32_e64 v17, s4, s15, v9, s4
	v_cmp_gt_u64_e64 s4, s[12:13], v[16:17]
	s_delay_alu instid0(VALU_DEP_1)
	s_and_saveexec_b32 s19, s4
	s_cbranch_execnz .LBB124_15
; %bb.11:                               ;   in Loop: Header=BB124_4 Depth=1
	s_or_b32 exec_lo, exec_lo, s19
	s_and_saveexec_b32 s5, vcc_lo
	s_cbranch_execnz .LBB124_16
.LBB124_12:                             ;   in Loop: Header=BB124_4 Depth=1
	s_or_b32 exec_lo, exec_lo, s5
	s_and_saveexec_b32 s5, s2
	s_cbranch_execnz .LBB124_17
.LBB124_13:                             ;   in Loop: Header=BB124_4 Depth=1
	s_or_b32 exec_lo, exec_lo, s5
	s_and_saveexec_b32 s2, s3
	s_cbranch_execnz .LBB124_18
.LBB124_14:                             ;   in Loop: Header=BB124_4 Depth=1
	s_or_b32 exec_lo, exec_lo, s2
	s_and_saveexec_b32 s2, s4
	s_cbranch_execz .LBB124_3
	s_branch .LBB124_19
.LBB124_15:                             ;   in Loop: Header=BB124_4 Depth=1
	v_add_co_u32 v16, s5, v1, s18
	s_delay_alu instid0(VALU_DEP_1)
	v_add_co_ci_u32_e64 v17, s5, 0, v2, s5
	global_load_u16 v13, v[16:17], off
	s_or_b32 exec_lo, exec_lo, s19
	s_and_saveexec_b32 s5, vcc_lo
	s_cbranch_execz .LBB124_12
.LBB124_16:                             ;   in Loop: Header=BB124_4 Depth=1
	s_waitcnt vmcnt(0)
	v_min_i16 v12, v12, v5
	global_store_b16 v[1:2], v12, off
	s_or_b32 exec_lo, exec_lo, s5
	s_and_saveexec_b32 s5, s2
	s_cbranch_execz .LBB124_13
.LBB124_17:                             ;   in Loop: Header=BB124_4 Depth=1
	s_waitcnt vmcnt(0)
	v_min_i16 v12, v14, v5
	global_store_b16 v[3:4], v12, off
	s_or_b32 exec_lo, exec_lo, s5
	s_and_saveexec_b32 s2, s3
	s_cbranch_execz .LBB124_14
.LBB124_18:                             ;   in Loop: Header=BB124_4 Depth=1
	s_waitcnt vmcnt(0)
	v_add_co_u32 v14, vcc_lo, v1, s16
	v_min_i16 v12, v15, v5
	v_add_co_ci_u32_e32 v15, vcc_lo, 0, v2, vcc_lo
	global_store_b16 v[14:15], v12, off
	s_or_b32 exec_lo, exec_lo, s2
	s_and_saveexec_b32 s2, s4
	s_cbranch_execz .LBB124_3
.LBB124_19:                             ;   in Loop: Header=BB124_4 Depth=1
	s_waitcnt vmcnt(0)
	v_add_co_u32 v12, vcc_lo, v1, s18
	v_min_i16 v14, v13, v5
	v_add_co_ci_u32_e32 v13, vcc_lo, 0, v2, vcc_lo
	global_store_b16 v[12:13], v14, off
	s_branch .LBB124_3
.LBB124_20:
	s_cbranch_execz .LBB124_22
	s_branch .LBB124_25
.LBB124_21:
.LBB124_22:
	v_dual_mov_b32 v2, 0 :: v_dual_lshlrev_b32 v1, 2, v0
	s_mov_b32 s2, 0
	s_mov_b32 s3, exec_lo
	s_delay_alu instid0(VALU_DEP_1)
	v_cmpx_gt_i64_e64 s[6:7], v[1:2]
	s_cbranch_execz .LBB124_25
; %bb.23:
	s_load_b32 s0, s[0:1], 0xd14
	v_lshlrev_b32_e32 v1, 3, v0
	s_waitcnt lgkmcnt(0)
	s_and_b32 s0, s0, 0xffff
	s_add_u32 s1, s8, s10
	s_addc_u32 s3, s9, s11
	v_add_co_u32 v3, s1, s1, v1
	s_delay_alu instid0(VALU_DEP_1)
	v_add_co_ci_u32_e64 v4, null, s3, 0, s1
	v_add_lshl_u32 v1, v0, s0, 2
	s_lshl_b32 s3, s0, 3
	s_lshl_b32 s4, s0, 2
	s_set_inst_prefetch_distance 0x1
	.p2align	6
.LBB124_24:                             ; =>This Inner Loop Header: Depth=1
	global_load_b64 v[6:7], v[3:4], off
	v_cmp_le_i64_e32 vcc_lo, s[6:7], v[1:2]
	v_cmp_lt_u64_e64 s0, 0xffff, v[1:2]
	v_add_co_u32 v1, s1, v1, s4
	s_delay_alu instid0(VALU_DEP_1) | instskip(NEXT) | instid1(VALU_DEP_3)
	v_add_co_ci_u32_e64 v2, s1, 0, v2, s1
	s_or_b32 s0, vcc_lo, s0
	s_delay_alu instid0(SALU_CYCLE_1) | instskip(NEXT) | instid1(SALU_CYCLE_1)
	s_and_b32 s0, exec_lo, s0
	s_or_b32 s2, s0, s2
	s_waitcnt vmcnt(0)
	v_lshrrev_b32_e32 v0, 16, v7
	v_lshrrev_b32_e32 v8, 16, v6
	v_min_i16 v7, v7, v5
	v_min_i16 v6, v6, v5
	s_delay_alu instid0(VALU_DEP_4) | instskip(NEXT) | instid1(VALU_DEP_4)
	v_min_i16 v0, v0, v5
	v_min_i16 v8, v8, v5
	s_delay_alu instid0(VALU_DEP_4) | instskip(NEXT) | instid1(VALU_DEP_4)
	v_and_b32_e32 v7, 0xffff, v7
	v_and_b32_e32 v6, 0xffff, v6
	s_delay_alu instid0(VALU_DEP_4) | instskip(NEXT) | instid1(VALU_DEP_4)
	v_lshlrev_b32_e32 v0, 16, v0
	v_lshlrev_b32_e32 v8, 16, v8
	s_delay_alu instid0(VALU_DEP_2) | instskip(NEXT) | instid1(VALU_DEP_2)
	v_or_b32_e32 v7, v0, v7
	v_or_b32_e32 v6, v8, v6
	global_store_b64 v[3:4], v[6:7], off
	v_add_co_u32 v3, vcc_lo, v3, s3
	v_add_co_ci_u32_e32 v4, vcc_lo, 0, v4, vcc_lo
	s_and_not1_b32 exec_lo, exec_lo, s2
	s_cbranch_execnz .LBB124_24
.LBB124_25:
	s_set_inst_prefetch_distance 0x2
	s_nop 0
	s_sendmsg sendmsg(MSG_DEALLOC_VGPRS)
	s_endpgm
	.section	.rodata,"a",@progbits
	.p2align	6, 0x0
	.amdhsa_kernel _ZN2at6native12_GLOBAL__N_125multi_tensor_apply_kernelINS1_28TensorListScalarListMetadataIsLi1EEENS1_25BinaryOpScalarListFunctorIsLi1ELi1ELi0EEEJNS0_7minimumIsEEEEEvT_T0_DpT1_
		.amdhsa_group_segment_fixed_size 0
		.amdhsa_private_segment_fixed_size 0
		.amdhsa_kernarg_size 3592
		.amdhsa_user_sgpr_count 15
		.amdhsa_user_sgpr_dispatch_ptr 0
		.amdhsa_user_sgpr_queue_ptr 0
		.amdhsa_user_sgpr_kernarg_segment_ptr 1
		.amdhsa_user_sgpr_dispatch_id 0
		.amdhsa_user_sgpr_private_segment_size 0
		.amdhsa_wavefront_size32 1
		.amdhsa_uses_dynamic_stack 0
		.amdhsa_enable_private_segment 0
		.amdhsa_system_sgpr_workgroup_id_x 1
		.amdhsa_system_sgpr_workgroup_id_y 0
		.amdhsa_system_sgpr_workgroup_id_z 0
		.amdhsa_system_sgpr_workgroup_info 0
		.amdhsa_system_vgpr_workitem_id 0
		.amdhsa_next_free_vgpr 18
		.amdhsa_next_free_sgpr 20
		.amdhsa_reserve_vcc 1
		.amdhsa_float_round_mode_32 0
		.amdhsa_float_round_mode_16_64 0
		.amdhsa_float_denorm_mode_32 3
		.amdhsa_float_denorm_mode_16_64 3
		.amdhsa_dx10_clamp 1
		.amdhsa_ieee_mode 1
		.amdhsa_fp16_overflow 0
		.amdhsa_workgroup_processor_mode 1
		.amdhsa_memory_ordered 1
		.amdhsa_forward_progress 0
		.amdhsa_shared_vgpr_count 0
		.amdhsa_exception_fp_ieee_invalid_op 0
		.amdhsa_exception_fp_denorm_src 0
		.amdhsa_exception_fp_ieee_div_zero 0
		.amdhsa_exception_fp_ieee_overflow 0
		.amdhsa_exception_fp_ieee_underflow 0
		.amdhsa_exception_fp_ieee_inexact 0
		.amdhsa_exception_int_div_zero 0
	.end_amdhsa_kernel
	.section	.text._ZN2at6native12_GLOBAL__N_125multi_tensor_apply_kernelINS1_28TensorListScalarListMetadataIsLi1EEENS1_25BinaryOpScalarListFunctorIsLi1ELi1ELi0EEEJNS0_7minimumIsEEEEEvT_T0_DpT1_,"axG",@progbits,_ZN2at6native12_GLOBAL__N_125multi_tensor_apply_kernelINS1_28TensorListScalarListMetadataIsLi1EEENS1_25BinaryOpScalarListFunctorIsLi1ELi1ELi0EEEJNS0_7minimumIsEEEEEvT_T0_DpT1_,comdat
.Lfunc_end124:
	.size	_ZN2at6native12_GLOBAL__N_125multi_tensor_apply_kernelINS1_28TensorListScalarListMetadataIsLi1EEENS1_25BinaryOpScalarListFunctorIsLi1ELi1ELi0EEEJNS0_7minimumIsEEEEEvT_T0_DpT1_, .Lfunc_end124-_ZN2at6native12_GLOBAL__N_125multi_tensor_apply_kernelINS1_28TensorListScalarListMetadataIsLi1EEENS1_25BinaryOpScalarListFunctorIsLi1ELi1ELi0EEEJNS0_7minimumIsEEEEEvT_T0_DpT1_
                                        ; -- End function
	.section	.AMDGPU.csdata,"",@progbits
; Kernel info:
; codeLenInByte = 1220
; NumSgprs: 22
; NumVgprs: 18
; ScratchSize: 0
; MemoryBound: 0
; FloatMode: 240
; IeeeMode: 1
; LDSByteSize: 0 bytes/workgroup (compile time only)
; SGPRBlocks: 2
; VGPRBlocks: 2
; NumSGPRsForWavesPerEU: 22
; NumVGPRsForWavesPerEU: 18
; Occupancy: 16
; WaveLimiterHint : 0
; COMPUTE_PGM_RSRC2:SCRATCH_EN: 0
; COMPUTE_PGM_RSRC2:USER_SGPR: 15
; COMPUTE_PGM_RSRC2:TRAP_HANDLER: 0
; COMPUTE_PGM_RSRC2:TGID_X_EN: 1
; COMPUTE_PGM_RSRC2:TGID_Y_EN: 0
; COMPUTE_PGM_RSRC2:TGID_Z_EN: 0
; COMPUTE_PGM_RSRC2:TIDIG_COMP_CNT: 0
	.section	.text._ZN2at6native12_GLOBAL__N_125multi_tensor_apply_kernelINS1_28TensorListScalarListMetadataIdLi1EEENS1_25BinaryOpScalarListFunctorIdLi1ELi1ELi0EEEJNS0_7minimumIdEEEEEvT_T0_DpT1_,"axG",@progbits,_ZN2at6native12_GLOBAL__N_125multi_tensor_apply_kernelINS1_28TensorListScalarListMetadataIdLi1EEENS1_25BinaryOpScalarListFunctorIdLi1ELi1ELi0EEEJNS0_7minimumIdEEEEEvT_T0_DpT1_,comdat
	.globl	_ZN2at6native12_GLOBAL__N_125multi_tensor_apply_kernelINS1_28TensorListScalarListMetadataIdLi1EEENS1_25BinaryOpScalarListFunctorIdLi1ELi1ELi0EEEJNS0_7minimumIdEEEEEvT_T0_DpT1_ ; -- Begin function _ZN2at6native12_GLOBAL__N_125multi_tensor_apply_kernelINS1_28TensorListScalarListMetadataIdLi1EEENS1_25BinaryOpScalarListFunctorIdLi1ELi1ELi0EEEJNS0_7minimumIdEEEEEvT_T0_DpT1_
	.p2align	8
	.type	_ZN2at6native12_GLOBAL__N_125multi_tensor_apply_kernelINS1_28TensorListScalarListMetadataIdLi1EEENS1_25BinaryOpScalarListFunctorIdLi1ELi1ELi0EEEJNS0_7minimumIdEEEEEvT_T0_DpT1_,@function
_ZN2at6native12_GLOBAL__N_125multi_tensor_apply_kernelINS1_28TensorListScalarListMetadataIdLi1EEENS1_25BinaryOpScalarListFunctorIdLi1ELi1ELi0EEEJNS0_7minimumIdEEEEEvT_T0_DpT1_: ; @_ZN2at6native12_GLOBAL__N_125multi_tensor_apply_kernelINS1_28TensorListScalarListMetadataIdLi1EEENS1_25BinaryOpScalarListFunctorIdLi1ELi1ELi0EEEJNS0_7minimumIdEEEEEvT_T0_DpT1_
; %bb.0:
	v_mov_b32_e32 v1, s15
	s_add_u32 s2, s0, s15
	s_mul_hi_u32 s3, s15, 3
	s_mul_i32 s15, s15, 3
	s_addc_u32 s4, s1, 0
	global_load_u8 v1, v1, s[0:1] offset:2304
	s_add_u32 s2, s2, s15
	s_addc_u32 s3, s4, s3
	s_mov_b32 s15, 0
	s_load_b32 s2, s[2:3], 0xa40
	s_waitcnt vmcnt(0)
	v_readfirstlane_b32 s5, v1
	s_delay_alu instid0(VALU_DEP_1)
	s_lshl_b32 s3, s5, 3
	s_clause 0x2
	s_load_b64 s[10:11], s[0:1], s3 offset:0x600
	s_load_b64 s[6:7], s[0:1], s3 offset:0x0
	;; [unrolled: 1-line block ×3, first 2 shown]
	s_waitcnt lgkmcnt(0)
	s_ashr_i32 s3, s2, 31
	s_delay_alu instid0(SALU_CYCLE_1)
	s_lshl_b64 s[8:9], s[2:3], 19
	s_lshl_b64 s[2:3], s[2:3], 16
	s_and_b32 s14, s6, 31
	s_sub_u32 s12, s4, s2
	s_subb_u32 s13, s5, s3
	s_and_b32 s2, s4, 3
	s_mov_b32 s3, s15
	s_delay_alu instid0(SALU_CYCLE_1) | instskip(NEXT) | instid1(SALU_CYCLE_1)
	s_or_b64 s[2:3], s[14:15], s[2:3]
	s_cmp_eq_u64 s[2:3], 0
	s_cbranch_scc1 .LBB125_21
; %bb.1:
	v_cmp_lt_i64_e64 s2, s[12:13], 1
	s_delay_alu instid0(VALU_DEP_1)
	s_and_b32 vcc_lo, exec_lo, s2
	s_cbranch_vccnz .LBB125_20
; %bb.2:
	s_load_b32 s2, s[0:1], 0xf54
	v_cmp_gt_u64_e64 s3, 0x10000, s[12:13]
	v_lshlrev_b32_e32 v1, 3, v0
	s_waitcnt lgkmcnt(0)
	s_and_b32 s2, s2, 0xffff
	s_delay_alu instid0(VALU_DEP_2)
	s_and_b32 s3, s3, exec_lo
	v_add_co_u32 v13, s5, v0, s2
	s_cselect_b32 s15, s13, 0
	s_cselect_b32 s14, s12, 0x10000
	s_lshl_b32 s3, s2, 1
	s_lshl_b32 s18, s2, 2
	v_lshlrev_b32_e32 v3, 3, v13
	v_add_co_ci_u32_e64 v14, null, 0, 0, s5
	s_add_u32 s5, s6, s8
	v_add_co_u32 v17, s3, s3, v0
	s_mul_i32 s4, s2, 3
	s_addc_u32 s16, s7, s9
	v_add_co_ci_u32_e64 v18, null, 0, 0, s3
	v_add_co_u32 v1, s3, s5, v1
	v_add_co_u32 v15, s4, s4, v0
	v_add_co_ci_u32_e64 v2, null, s16, 0, s3
	v_add_co_u32 v3, s3, s5, v3
	v_add_co_ci_u32_e64 v16, null, 0, 0, s4
	v_add_co_ci_u32_e64 v4, null, s16, 0, s3
	s_lshl_b32 s19, s2, 5
	s_mul_i32 s20, s2, 24
	s_lshl_b32 s21, s2, 4
	s_mov_b64 s[16:17], 0
	s_branch .LBB125_4
.LBB125_3:                              ;   in Loop: Header=BB125_4 Depth=1
	s_or_b32 exec_lo, exec_lo, s3
	s_add_u32 s16, s16, s18
	s_addc_u32 s17, s17, 0
	v_add_co_u32 v1, vcc_lo, v1, s19
	v_cmp_lt_i64_e64 s2, s[16:17], s[12:13]
	v_cmp_gt_u64_e64 s3, 0x10000, s[16:17]
	v_add_co_ci_u32_e32 v2, vcc_lo, 0, v2, vcc_lo
	v_add_co_u32 v3, vcc_lo, v3, s19
	v_add_co_ci_u32_e32 v4, vcc_lo, 0, v4, vcc_lo
	s_delay_alu instid0(VALU_DEP_4) | instskip(NEXT) | instid1(SALU_CYCLE_1)
	s_and_b32 s2, s2, s3
	s_and_b32 vcc_lo, exec_lo, s2
	s_cbranch_vccz .LBB125_20
.LBB125_4:                              ; =>This Inner Loop Header: Depth=1
	s_waitcnt vmcnt(0)
	v_add_co_u32 v7, s2, v0, s16
	s_delay_alu instid0(VALU_DEP_1) | instskip(SKIP_2) | instid1(VALU_DEP_3)
	v_add_co_ci_u32_e64 v8, null, 0, s17, s2
	v_mov_b32_e32 v5, 0
	v_mov_b32_e32 v6, 0
	v_cmp_gt_u64_e32 vcc_lo, s[14:15], v[7:8]
	s_delay_alu instid0(VALU_DEP_2)
	v_dual_mov_b32 v10, v6 :: v_dual_mov_b32 v9, v5
	s_and_saveexec_b32 s2, vcc_lo
	s_cbranch_execz .LBB125_6
; %bb.5:                                ;   in Loop: Header=BB125_4 Depth=1
	global_load_b64 v[9:10], v[1:2], off
.LBB125_6:                              ;   in Loop: Header=BB125_4 Depth=1
	s_or_b32 exec_lo, exec_lo, s2
	v_add_co_u32 v7, s2, v13, s16
	s_delay_alu instid0(VALU_DEP_1) | instskip(NEXT) | instid1(VALU_DEP_1)
	v_add_co_ci_u32_e64 v8, s2, s17, v14, s2
	v_cmp_gt_u64_e64 s2, s[14:15], v[7:8]
	s_delay_alu instid0(VALU_DEP_1)
	s_and_saveexec_b32 s3, s2
	s_cbranch_execz .LBB125_8
; %bb.7:                                ;   in Loop: Header=BB125_4 Depth=1
	global_load_b64 v[5:6], v[3:4], off
.LBB125_8:                              ;   in Loop: Header=BB125_4 Depth=1
	s_or_b32 exec_lo, exec_lo, s3
	v_add_co_u32 v11, s3, v17, s16
	s_delay_alu instid0(VALU_DEP_1) | instskip(SKIP_2) | instid1(VALU_DEP_3)
	v_add_co_ci_u32_e64 v12, s3, s17, v18, s3
	v_mov_b32_e32 v7, 0
	v_mov_b32_e32 v8, 0
	v_cmp_gt_u64_e64 s3, s[14:15], v[11:12]
	s_delay_alu instid0(VALU_DEP_2) | instskip(NEXT) | instid1(VALU_DEP_2)
	v_dual_mov_b32 v12, v8 :: v_dual_mov_b32 v11, v7
	s_and_saveexec_b32 s5, s3
	s_cbranch_execz .LBB125_10
; %bb.9:                                ;   in Loop: Header=BB125_4 Depth=1
	v_add_co_u32 v11, s4, v1, s21
	s_delay_alu instid0(VALU_DEP_1)
	v_add_co_ci_u32_e64 v12, s4, 0, v2, s4
	global_load_b64 v[11:12], v[11:12], off
.LBB125_10:                             ;   in Loop: Header=BB125_4 Depth=1
	s_or_b32 exec_lo, exec_lo, s5
	v_add_co_u32 v19, s4, v15, s16
	s_delay_alu instid0(VALU_DEP_1) | instskip(NEXT) | instid1(VALU_DEP_1)
	v_add_co_ci_u32_e64 v20, s4, s17, v16, s4
	v_cmp_gt_u64_e64 s4, s[14:15], v[19:20]
	s_delay_alu instid0(VALU_DEP_1)
	s_and_saveexec_b32 s22, s4
	s_cbranch_execnz .LBB125_15
; %bb.11:                               ;   in Loop: Header=BB125_4 Depth=1
	s_or_b32 exec_lo, exec_lo, s22
	s_and_saveexec_b32 s22, vcc_lo
	s_cbranch_execnz .LBB125_16
.LBB125_12:                             ;   in Loop: Header=BB125_4 Depth=1
	s_or_b32 exec_lo, exec_lo, s22
	s_and_saveexec_b32 s5, s2
	s_cbranch_execnz .LBB125_17
.LBB125_13:                             ;   in Loop: Header=BB125_4 Depth=1
	s_or_b32 exec_lo, exec_lo, s5
	s_and_saveexec_b32 s5, s3
	s_cbranch_execnz .LBB125_18
.LBB125_14:                             ;   in Loop: Header=BB125_4 Depth=1
	s_or_b32 exec_lo, exec_lo, s5
	s_and_saveexec_b32 s3, s4
	s_cbranch_execz .LBB125_3
	s_branch .LBB125_19
.LBB125_15:                             ;   in Loop: Header=BB125_4 Depth=1
	v_add_co_u32 v7, s5, v1, s20
	s_delay_alu instid0(VALU_DEP_1)
	v_add_co_ci_u32_e64 v8, s5, 0, v2, s5
	global_load_b64 v[7:8], v[7:8], off
	s_or_b32 exec_lo, exec_lo, s22
	s_and_saveexec_b32 s22, vcc_lo
	s_cbranch_execz .LBB125_12
.LBB125_16:                             ;   in Loop: Header=BB125_4 Depth=1
	s_waitcnt vmcnt(0)
	v_cmp_u_f64_e32 vcc_lo, v[9:10], v[9:10]
	v_cmp_gt_f64_e64 s5, s[10:11], v[9:10]
	s_delay_alu instid0(VALU_DEP_1)
	s_or_b32 vcc_lo, vcc_lo, s5
	v_cndmask_b32_e32 v10, s11, v10, vcc_lo
	v_cndmask_b32_e32 v9, s10, v9, vcc_lo
	global_store_b64 v[1:2], v[9:10], off
	s_or_b32 exec_lo, exec_lo, s22
	s_and_saveexec_b32 s5, s2
	s_cbranch_execz .LBB125_13
.LBB125_17:                             ;   in Loop: Header=BB125_4 Depth=1
	s_waitcnt vmcnt(0)
	v_cmp_u_f64_e32 vcc_lo, v[5:6], v[5:6]
	v_cmp_gt_f64_e64 s2, s[10:11], v[5:6]
	s_delay_alu instid0(VALU_DEP_1)
	s_or_b32 vcc_lo, vcc_lo, s2
	v_cndmask_b32_e32 v6, s11, v6, vcc_lo
	v_cndmask_b32_e32 v5, s10, v5, vcc_lo
	global_store_b64 v[3:4], v[5:6], off
	s_or_b32 exec_lo, exec_lo, s5
	s_and_saveexec_b32 s5, s3
	s_cbranch_execz .LBB125_14
.LBB125_18:                             ;   in Loop: Header=BB125_4 Depth=1
	s_waitcnt vmcnt(0)
	v_cmp_u_f64_e32 vcc_lo, v[11:12], v[11:12]
	v_cmp_gt_f64_e64 s2, s[10:11], v[11:12]
	s_delay_alu instid0(VALU_DEP_1)
	s_or_b32 vcc_lo, vcc_lo, s2
	v_cndmask_b32_e32 v6, s11, v12, vcc_lo
	v_cndmask_b32_e32 v5, s10, v11, vcc_lo
	v_add_co_u32 v9, vcc_lo, v1, s21
	v_add_co_ci_u32_e32 v10, vcc_lo, 0, v2, vcc_lo
	global_store_b64 v[9:10], v[5:6], off
	s_or_b32 exec_lo, exec_lo, s5
	s_and_saveexec_b32 s3, s4
	s_cbranch_execz .LBB125_3
.LBB125_19:                             ;   in Loop: Header=BB125_4 Depth=1
	s_waitcnt vmcnt(0)
	v_cmp_u_f64_e32 vcc_lo, v[7:8], v[7:8]
	v_cmp_gt_f64_e64 s2, s[10:11], v[7:8]
	s_delay_alu instid0(VALU_DEP_1)
	s_or_b32 vcc_lo, vcc_lo, s2
	v_cndmask_b32_e32 v6, s11, v8, vcc_lo
	v_cndmask_b32_e32 v5, s10, v7, vcc_lo
	v_add_co_u32 v7, vcc_lo, v1, s20
	v_add_co_ci_u32_e32 v8, vcc_lo, 0, v2, vcc_lo
	global_store_b64 v[7:8], v[5:6], off
	s_branch .LBB125_3
.LBB125_20:
	s_cbranch_execz .LBB125_22
	s_branch .LBB125_25
.LBB125_21:
.LBB125_22:
	v_dual_mov_b32 v2, 0 :: v_dual_lshlrev_b32 v1, 2, v0
	s_mov_b32 s14, 0
	s_mov_b32 s2, exec_lo
	s_delay_alu instid0(VALU_DEP_1)
	v_cmpx_gt_i64_e64 s[12:13], v[1:2]
	s_cbranch_execz .LBB125_25
; %bb.23:
	s_load_b32 s0, s[0:1], 0xf54
	v_lshlrev_b32_e32 v1, 5, v0
	s_waitcnt lgkmcnt(0)
	s_and_b32 s0, s0, 0xffff
	s_delay_alu instid0(SALU_CYCLE_1) | instskip(SKIP_3) | instid1(VALU_DEP_1)
	s_lshl_b32 s15, s0, 2
	s_add_u32 s1, s6, s8
	s_addc_u32 s2, s7, s9
	v_add_co_u32 v3, s1, s1, v1
	v_add_co_ci_u32_e64 v4, null, s2, 0, s1
	v_add_lshl_u32 v1, v0, s0, 2
	s_delay_alu instid0(VALU_DEP_3) | instskip(NEXT) | instid1(VALU_DEP_3)
	v_add_co_u32 v3, vcc_lo, v3, 16
	v_add_co_ci_u32_e32 v4, vcc_lo, 0, v4, vcc_lo
	s_lshl_b32 s9, s0, 5
.LBB125_24:                             ; =>This Inner Loop Header: Depth=1
	s_clause 0x1
	global_load_b128 v[5:8], v[3:4], off offset:-16
	global_load_b128 v[9:12], v[3:4], off
	v_cmp_le_i64_e64 s7, s[12:13], v[1:2]
	v_cmp_lt_u64_e64 s8, 0xffff, v[1:2]
	s_waitcnt vmcnt(1)
	v_cmp_u_f64_e32 vcc_lo, v[5:6], v[5:6]
	v_cmp_gt_f64_e64 s0, s[10:11], v[5:6]
	v_cmp_u_f64_e64 s1, v[7:8], v[7:8]
	v_cmp_gt_f64_e64 s2, s[10:11], v[7:8]
	s_waitcnt vmcnt(0)
	v_cmp_u_f64_e64 s3, v[9:10], v[9:10]
	v_cmp_gt_f64_e64 s4, s[10:11], v[9:10]
	v_cmp_u_f64_e64 s5, v[11:12], v[11:12]
	v_cmp_gt_f64_e64 s6, s[10:11], v[11:12]
	s_or_b32 vcc_lo, vcc_lo, s0
	s_or_b32 s0, s1, s2
	v_cndmask_b32_e32 v6, s11, v6, vcc_lo
	s_delay_alu instid0(VALU_DEP_4) | instskip(SKIP_1) | instid1(VALU_DEP_3)
	s_or_b32 s1, s3, s4
	v_cndmask_b32_e64 v8, s11, v8, s0
	s_or_b32 s2, s5, s6
	v_cndmask_b32_e32 v5, s10, v5, vcc_lo
	v_cndmask_b32_e64 v7, s10, v7, s0
	v_cndmask_b32_e64 v10, s11, v10, s1
	;; [unrolled: 1-line block ×5, first 2 shown]
	v_add_co_u32 v1, vcc_lo, v1, s15
	v_add_co_ci_u32_e32 v2, vcc_lo, 0, v2, vcc_lo
	s_clause 0x1
	global_store_b128 v[3:4], v[5:8], off offset:-16
	global_store_b128 v[3:4], v[9:12], off
	v_add_co_u32 v3, vcc_lo, v3, s9
	s_or_b32 s0, s7, s8
	v_add_co_ci_u32_e32 v4, vcc_lo, 0, v4, vcc_lo
	s_and_b32 s0, exec_lo, s0
	s_delay_alu instid0(SALU_CYCLE_1) | instskip(NEXT) | instid1(SALU_CYCLE_1)
	s_or_b32 s14, s0, s14
	s_and_not1_b32 exec_lo, exec_lo, s14
	s_cbranch_execnz .LBB125_24
.LBB125_25:
	s_nop 0
	s_sendmsg sendmsg(MSG_DEALLOC_VGPRS)
	s_endpgm
	.section	.rodata,"a",@progbits
	.p2align	6, 0x0
	.amdhsa_kernel _ZN2at6native12_GLOBAL__N_125multi_tensor_apply_kernelINS1_28TensorListScalarListMetadataIdLi1EEENS1_25BinaryOpScalarListFunctorIdLi1ELi1ELi0EEEJNS0_7minimumIdEEEEEvT_T0_DpT1_
		.amdhsa_group_segment_fixed_size 0
		.amdhsa_private_segment_fixed_size 0
		.amdhsa_kernarg_size 4168
		.amdhsa_user_sgpr_count 15
		.amdhsa_user_sgpr_dispatch_ptr 0
		.amdhsa_user_sgpr_queue_ptr 0
		.amdhsa_user_sgpr_kernarg_segment_ptr 1
		.amdhsa_user_sgpr_dispatch_id 0
		.amdhsa_user_sgpr_private_segment_size 0
		.amdhsa_wavefront_size32 1
		.amdhsa_uses_dynamic_stack 0
		.amdhsa_enable_private_segment 0
		.amdhsa_system_sgpr_workgroup_id_x 1
		.amdhsa_system_sgpr_workgroup_id_y 0
		.amdhsa_system_sgpr_workgroup_id_z 0
		.amdhsa_system_sgpr_workgroup_info 0
		.amdhsa_system_vgpr_workitem_id 0
		.amdhsa_next_free_vgpr 21
		.amdhsa_next_free_sgpr 23
		.amdhsa_reserve_vcc 1
		.amdhsa_float_round_mode_32 0
		.amdhsa_float_round_mode_16_64 0
		.amdhsa_float_denorm_mode_32 3
		.amdhsa_float_denorm_mode_16_64 3
		.amdhsa_dx10_clamp 1
		.amdhsa_ieee_mode 1
		.amdhsa_fp16_overflow 0
		.amdhsa_workgroup_processor_mode 1
		.amdhsa_memory_ordered 1
		.amdhsa_forward_progress 0
		.amdhsa_shared_vgpr_count 0
		.amdhsa_exception_fp_ieee_invalid_op 0
		.amdhsa_exception_fp_denorm_src 0
		.amdhsa_exception_fp_ieee_div_zero 0
		.amdhsa_exception_fp_ieee_overflow 0
		.amdhsa_exception_fp_ieee_underflow 0
		.amdhsa_exception_fp_ieee_inexact 0
		.amdhsa_exception_int_div_zero 0
	.end_amdhsa_kernel
	.section	.text._ZN2at6native12_GLOBAL__N_125multi_tensor_apply_kernelINS1_28TensorListScalarListMetadataIdLi1EEENS1_25BinaryOpScalarListFunctorIdLi1ELi1ELi0EEEJNS0_7minimumIdEEEEEvT_T0_DpT1_,"axG",@progbits,_ZN2at6native12_GLOBAL__N_125multi_tensor_apply_kernelINS1_28TensorListScalarListMetadataIdLi1EEENS1_25BinaryOpScalarListFunctorIdLi1ELi1ELi0EEEJNS0_7minimumIdEEEEEvT_T0_DpT1_,comdat
.Lfunc_end125:
	.size	_ZN2at6native12_GLOBAL__N_125multi_tensor_apply_kernelINS1_28TensorListScalarListMetadataIdLi1EEENS1_25BinaryOpScalarListFunctorIdLi1ELi1ELi0EEEJNS0_7minimumIdEEEEEvT_T0_DpT1_, .Lfunc_end125-_ZN2at6native12_GLOBAL__N_125multi_tensor_apply_kernelINS1_28TensorListScalarListMetadataIdLi1EEENS1_25BinaryOpScalarListFunctorIdLi1ELi1ELi0EEEJNS0_7minimumIdEEEEEvT_T0_DpT1_
                                        ; -- End function
	.section	.AMDGPU.csdata,"",@progbits
; Kernel info:
; codeLenInByte = 1372
; NumSgprs: 25
; NumVgprs: 21
; ScratchSize: 0
; MemoryBound: 0
; FloatMode: 240
; IeeeMode: 1
; LDSByteSize: 0 bytes/workgroup (compile time only)
; SGPRBlocks: 3
; VGPRBlocks: 2
; NumSGPRsForWavesPerEU: 25
; NumVGPRsForWavesPerEU: 21
; Occupancy: 16
; WaveLimiterHint : 1
; COMPUTE_PGM_RSRC2:SCRATCH_EN: 0
; COMPUTE_PGM_RSRC2:USER_SGPR: 15
; COMPUTE_PGM_RSRC2:TRAP_HANDLER: 0
; COMPUTE_PGM_RSRC2:TGID_X_EN: 1
; COMPUTE_PGM_RSRC2:TGID_Y_EN: 0
; COMPUTE_PGM_RSRC2:TGID_Z_EN: 0
; COMPUTE_PGM_RSRC2:TIDIG_COMP_CNT: 0
	.section	.text._ZN2at6native12_GLOBAL__N_125multi_tensor_apply_kernelINS1_28TensorListScalarListMetadataIfLi1EEENS1_25BinaryOpScalarListFunctorIfLi1ELi1ELi0EEEJNS0_7minimumIfEEEEEvT_T0_DpT1_,"axG",@progbits,_ZN2at6native12_GLOBAL__N_125multi_tensor_apply_kernelINS1_28TensorListScalarListMetadataIfLi1EEENS1_25BinaryOpScalarListFunctorIfLi1ELi1ELi0EEEJNS0_7minimumIfEEEEEvT_T0_DpT1_,comdat
	.globl	_ZN2at6native12_GLOBAL__N_125multi_tensor_apply_kernelINS1_28TensorListScalarListMetadataIfLi1EEENS1_25BinaryOpScalarListFunctorIfLi1ELi1ELi0EEEJNS0_7minimumIfEEEEEvT_T0_DpT1_ ; -- Begin function _ZN2at6native12_GLOBAL__N_125multi_tensor_apply_kernelINS1_28TensorListScalarListMetadataIfLi1EEENS1_25BinaryOpScalarListFunctorIfLi1ELi1ELi0EEEJNS0_7minimumIfEEEEEvT_T0_DpT1_
	.p2align	8
	.type	_ZN2at6native12_GLOBAL__N_125multi_tensor_apply_kernelINS1_28TensorListScalarListMetadataIfLi1EEENS1_25BinaryOpScalarListFunctorIfLi1ELi1ELi0EEEJNS0_7minimumIfEEEEEvT_T0_DpT1_,@function
_ZN2at6native12_GLOBAL__N_125multi_tensor_apply_kernelINS1_28TensorListScalarListMetadataIfLi1EEENS1_25BinaryOpScalarListFunctorIfLi1ELi1ELi0EEEJNS0_7minimumIfEEEEEvT_T0_DpT1_: ; @_ZN2at6native12_GLOBAL__N_125multi_tensor_apply_kernelINS1_28TensorListScalarListMetadataIfLi1EEENS1_25BinaryOpScalarListFunctorIfLi1ELi1ELi0EEEJNS0_7minimumIfEEEEEvT_T0_DpT1_
; %bb.0:
	v_mov_b32_e32 v1, s15
	s_add_u32 s2, s0, s15
	s_mul_i32 s3, s15, 3
	s_mul_hi_u32 s4, s15, 3
	s_addc_u32 s5, s1, 0
	global_load_u8 v1, v1, s[0:1] offset:1920
	s_add_u32 s2, s2, s3
	s_addc_u32 s3, s5, s4
	s_load_b32 s2, s[2:3], 0x8c0
	s_waitcnt vmcnt(0)
	v_readfirstlane_b32 s3, v1
	v_lshlrev_b32_e32 v1, 2, v1
	s_delay_alu instid0(VALU_DEP_2)
	s_lshl_b32 s8, s3, 3
	s_waitcnt lgkmcnt(0)
	s_ashr_i32 s3, s2, 31
	s_clause 0x1
	s_load_b64 s[4:5], s[0:1], s8 offset:0x300
	s_load_b64 s[6:7], s[0:1], s8 offset:0x0
	s_add_u32 s8, s0, s8
	s_addc_u32 s9, s1, 0
	v_sub_co_u32 v1, s8, s8, v1
	s_delay_alu instid0(VALU_DEP_1) | instskip(NEXT) | instid1(VALU_DEP_2)
	v_sub_co_ci_u32_e64 v2, null, s9, 0, s8
	v_readfirstlane_b32 s8, v1
	s_delay_alu instid0(VALU_DEP_2)
	v_readfirstlane_b32 s9, v2
	s_load_b32 s16, s[8:9], 0x600
	s_lshl_b64 s[8:9], s[2:3], 18
	s_lshl_b64 s[2:3], s[2:3], 16
	s_waitcnt lgkmcnt(0)
	s_and_b32 s12, s6, 15
	s_sub_u32 s10, s4, s2
	s_subb_u32 s11, s5, s3
	s_and_b32 s2, s4, 3
	s_mov_b32 s3, 0
	s_or_b32 s2, s12, s2
	s_delay_alu instid0(SALU_CYCLE_1)
	s_cmp_eq_u64 s[2:3], 0
	s_cbranch_scc1 .LBB126_21
; %bb.1:
	v_cmp_lt_i64_e64 s2, s[10:11], 1
	s_delay_alu instid0(VALU_DEP_1)
	s_and_b32 vcc_lo, exec_lo, s2
	s_cbranch_vccnz .LBB126_20
; %bb.2:
	s_load_b32 s2, s[0:1], 0xdd4
	v_cmp_gt_u64_e64 s3, 0x10000, s[10:11]
	v_lshlrev_b32_e32 v1, 2, v0
	s_waitcnt lgkmcnt(0)
	s_and_b32 s2, s2, 0xffff
	s_delay_alu instid0(VALU_DEP_2)
	s_and_b32 s3, s3, exec_lo
	v_add_co_u32 v5, s5, v0, s2
	s_cselect_b32 s13, s11, 0
	s_cselect_b32 s12, s10, 0x10000
	s_lshl_b32 s3, s2, 1
	s_lshl_b32 s17, s2, 2
	v_lshlrev_b32_e32 v3, 2, v5
	v_add_co_ci_u32_e64 v6, null, 0, 0, s5
	s_add_u32 s5, s6, s8
	v_add_co_u32 v9, s3, s3, v0
	s_mul_i32 s4, s2, 3
	s_addc_u32 s14, s7, s9
	v_add_co_ci_u32_e64 v10, null, 0, 0, s3
	v_add_co_u32 v1, s3, s5, v1
	v_add_co_u32 v7, s4, s4, v0
	v_add_co_ci_u32_e64 v2, null, s14, 0, s3
	v_add_co_u32 v3, s3, s5, v3
	v_add_co_ci_u32_e64 v8, null, 0, 0, s4
	v_add_co_ci_u32_e64 v4, null, s14, 0, s3
	s_lshl_b32 s18, s2, 4
	s_mul_i32 s19, s2, 12
	s_lshl_b32 s20, s2, 3
	s_mov_b64 s[14:15], 0
	s_branch .LBB126_4
.LBB126_3:                              ;   in Loop: Header=BB126_4 Depth=1
	s_or_b32 exec_lo, exec_lo, s3
	s_add_u32 s14, s14, s17
	s_addc_u32 s15, s15, 0
	v_add_co_u32 v1, vcc_lo, v1, s18
	v_cmp_lt_i64_e64 s2, s[14:15], s[10:11]
	v_cmp_gt_u64_e64 s3, 0x10000, s[14:15]
	v_add_co_ci_u32_e32 v2, vcc_lo, 0, v2, vcc_lo
	v_add_co_u32 v3, vcc_lo, v3, s18
	v_add_co_ci_u32_e32 v4, vcc_lo, 0, v4, vcc_lo
	s_delay_alu instid0(VALU_DEP_4) | instskip(NEXT) | instid1(SALU_CYCLE_1)
	s_and_b32 s2, s2, s3
	s_and_b32 vcc_lo, exec_lo, s2
	s_cbranch_vccz .LBB126_20
.LBB126_4:                              ; =>This Inner Loop Header: Depth=1
	s_waitcnt vmcnt(0)
	v_add_co_u32 v11, s2, v0, s14
	s_delay_alu instid0(VALU_DEP_1) | instskip(NEXT) | instid1(VALU_DEP_1)
	v_add_co_ci_u32_e64 v12, null, 0, s15, s2
	v_cmp_gt_u64_e32 vcc_lo, s[12:13], v[11:12]
	v_mov_b32_e32 v12, 0
	s_and_saveexec_b32 s2, vcc_lo
	s_cbranch_execz .LBB126_6
; %bb.5:                                ;   in Loop: Header=BB126_4 Depth=1
	global_load_b32 v12, v[1:2], off
.LBB126_6:                              ;   in Loop: Header=BB126_4 Depth=1
	s_or_b32 exec_lo, exec_lo, s2
	v_add_co_u32 v13, s2, v5, s14
	s_delay_alu instid0(VALU_DEP_1) | instskip(NEXT) | instid1(VALU_DEP_1)
	v_add_co_ci_u32_e64 v14, s2, s15, v6, s2
	v_cmp_gt_u64_e64 s2, s[12:13], v[13:14]
	v_mov_b32_e32 v13, 0
	s_delay_alu instid0(VALU_DEP_2)
	s_and_saveexec_b32 s3, s2
	s_cbranch_execz .LBB126_8
; %bb.7:                                ;   in Loop: Header=BB126_4 Depth=1
	global_load_b32 v13, v[3:4], off
.LBB126_8:                              ;   in Loop: Header=BB126_4 Depth=1
	s_or_b32 exec_lo, exec_lo, s3
	v_add_co_u32 v14, s3, v9, s14
	s_delay_alu instid0(VALU_DEP_1) | instskip(SKIP_1) | instid1(VALU_DEP_2)
	v_add_co_ci_u32_e64 v15, s3, s15, v10, s3
	v_mov_b32_e32 v11, 0
	v_cmp_gt_u64_e64 s3, s[12:13], v[14:15]
	v_mov_b32_e32 v14, 0
	s_delay_alu instid0(VALU_DEP_2)
	s_and_saveexec_b32 s5, s3
	s_cbranch_execz .LBB126_10
; %bb.9:                                ;   in Loop: Header=BB126_4 Depth=1
	v_add_co_u32 v14, s4, v1, s20
	s_delay_alu instid0(VALU_DEP_1)
	v_add_co_ci_u32_e64 v15, s4, 0, v2, s4
	global_load_b32 v14, v[14:15], off
.LBB126_10:                             ;   in Loop: Header=BB126_4 Depth=1
	s_or_b32 exec_lo, exec_lo, s5
	v_add_co_u32 v15, s4, v7, s14
	s_delay_alu instid0(VALU_DEP_1) | instskip(NEXT) | instid1(VALU_DEP_1)
	v_add_co_ci_u32_e64 v16, s4, s15, v8, s4
	v_cmp_gt_u64_e64 s4, s[12:13], v[15:16]
	s_delay_alu instid0(VALU_DEP_1)
	s_and_saveexec_b32 s21, s4
	s_cbranch_execnz .LBB126_15
; %bb.11:                               ;   in Loop: Header=BB126_4 Depth=1
	s_or_b32 exec_lo, exec_lo, s21
	s_and_saveexec_b32 s21, vcc_lo
	s_cbranch_execnz .LBB126_16
.LBB126_12:                             ;   in Loop: Header=BB126_4 Depth=1
	s_or_b32 exec_lo, exec_lo, s21
	s_and_saveexec_b32 s5, s2
	s_cbranch_execnz .LBB126_17
.LBB126_13:                             ;   in Loop: Header=BB126_4 Depth=1
	s_or_b32 exec_lo, exec_lo, s5
	s_and_saveexec_b32 s5, s3
	s_cbranch_execnz .LBB126_18
.LBB126_14:                             ;   in Loop: Header=BB126_4 Depth=1
	s_or_b32 exec_lo, exec_lo, s5
	s_and_saveexec_b32 s3, s4
	s_cbranch_execz .LBB126_3
	s_branch .LBB126_19
.LBB126_15:                             ;   in Loop: Header=BB126_4 Depth=1
	v_add_co_u32 v15, s5, v1, s19
	s_delay_alu instid0(VALU_DEP_1)
	v_add_co_ci_u32_e64 v16, s5, 0, v2, s5
	global_load_b32 v11, v[15:16], off
	s_or_b32 exec_lo, exec_lo, s21
	s_and_saveexec_b32 s21, vcc_lo
	s_cbranch_execz .LBB126_12
.LBB126_16:                             ;   in Loop: Header=BB126_4 Depth=1
	s_waitcnt vmcnt(0)
	v_cmp_u_f32_e32 vcc_lo, v12, v12
	v_cmp_gt_f32_e64 s5, s16, v12
	s_delay_alu instid0(VALU_DEP_1)
	s_or_b32 vcc_lo, vcc_lo, s5
	v_cndmask_b32_e32 v12, s16, v12, vcc_lo
	global_store_b32 v[1:2], v12, off
	s_or_b32 exec_lo, exec_lo, s21
	s_and_saveexec_b32 s5, s2
	s_cbranch_execz .LBB126_13
.LBB126_17:                             ;   in Loop: Header=BB126_4 Depth=1
	s_waitcnt vmcnt(0)
	v_cmp_u_f32_e32 vcc_lo, v13, v13
	v_cmp_gt_f32_e64 s2, s16, v13
	s_delay_alu instid0(VALU_DEP_1)
	s_or_b32 vcc_lo, vcc_lo, s2
	v_cndmask_b32_e32 v12, s16, v13, vcc_lo
	global_store_b32 v[3:4], v12, off
	s_or_b32 exec_lo, exec_lo, s5
	s_and_saveexec_b32 s5, s3
	s_cbranch_execz .LBB126_14
.LBB126_18:                             ;   in Loop: Header=BB126_4 Depth=1
	s_waitcnt vmcnt(0)
	v_cmp_u_f32_e32 vcc_lo, v14, v14
	v_cmp_gt_f32_e64 s2, s16, v14
	s_delay_alu instid0(VALU_DEP_1)
	s_or_b32 vcc_lo, vcc_lo, s2
	v_cndmask_b32_e32 v14, s16, v14, vcc_lo
	v_add_co_u32 v12, vcc_lo, v1, s20
	v_add_co_ci_u32_e32 v13, vcc_lo, 0, v2, vcc_lo
	global_store_b32 v[12:13], v14, off
	s_or_b32 exec_lo, exec_lo, s5
	s_and_saveexec_b32 s3, s4
	s_cbranch_execz .LBB126_3
.LBB126_19:                             ;   in Loop: Header=BB126_4 Depth=1
	s_waitcnt vmcnt(0)
	v_cmp_u_f32_e32 vcc_lo, v11, v11
	v_cmp_gt_f32_e64 s2, s16, v11
	s_delay_alu instid0(VALU_DEP_1)
	s_or_b32 vcc_lo, vcc_lo, s2
	v_cndmask_b32_e32 v13, s16, v11, vcc_lo
	v_add_co_u32 v11, vcc_lo, v1, s19
	v_add_co_ci_u32_e32 v12, vcc_lo, 0, v2, vcc_lo
	global_store_b32 v[11:12], v13, off
	s_branch .LBB126_3
.LBB126_20:
	s_cbranch_execz .LBB126_22
	s_branch .LBB126_25
.LBB126_21:
.LBB126_22:
	v_dual_mov_b32 v2, 0 :: v_dual_lshlrev_b32 v1, 2, v0
	s_mov_b32 s12, 0
	s_mov_b32 s2, exec_lo
	s_delay_alu instid0(VALU_DEP_1)
	v_cmpx_gt_i64_e64 s[10:11], v[1:2]
	s_cbranch_execz .LBB126_25
; %bb.23:
	s_load_b32 s0, s[0:1], 0xdd4
	v_lshlrev_b32_e32 v1, 4, v0
	s_waitcnt lgkmcnt(0)
	s_and_b32 s0, s0, 0xffff
	s_delay_alu instid0(SALU_CYCLE_1) | instskip(SKIP_3) | instid1(VALU_DEP_1)
	s_lshl_b32 s13, s0, 2
	s_add_u32 s1, s6, s8
	s_addc_u32 s2, s7, s9
	v_add_co_u32 v3, s1, s1, v1
	v_add_co_ci_u32_e64 v4, null, s2, 0, s1
	v_add_lshl_u32 v1, v0, s0, 2
	s_delay_alu instid0(VALU_DEP_3) | instskip(NEXT) | instid1(VALU_DEP_3)
	v_add_co_u32 v3, vcc_lo, v3, 8
	v_add_co_ci_u32_e32 v4, vcc_lo, 0, v4, vcc_lo
	s_lshl_b32 s9, s0, 4
	s_set_inst_prefetch_distance 0x1
	.p2align	6
.LBB126_24:                             ; =>This Inner Loop Header: Depth=1
	global_load_b128 v[5:8], v[3:4], off offset:-8
	v_cmp_le_i64_e32 vcc_lo, s[10:11], v[1:2]
	v_cmp_lt_u64_e64 s0, 0xffff, v[1:2]
	s_delay_alu instid0(VALU_DEP_1)
	s_or_b32 s0, vcc_lo, s0
	s_waitcnt vmcnt(0)
	v_cmp_u_f32_e64 s1, v5, v5
	v_cmp_gt_f32_e64 s2, s16, v5
	v_cmp_u_f32_e64 s3, v6, v6
	v_cmp_gt_f32_e64 s4, s16, v6
	;; [unrolled: 2-line block ×3, first 2 shown]
	s_or_b32 s1, s1, s2
	v_cmp_u_f32_e64 s7, v8, v8
	v_cmp_gt_f32_e64 s8, s16, v8
	v_cndmask_b32_e64 v5, s16, v5, s1
	s_or_b32 s1, s3, s4
	s_delay_alu instid0(SALU_CYCLE_1) | instskip(SKIP_1) | instid1(SALU_CYCLE_1)
	v_cndmask_b32_e64 v6, s16, v6, s1
	s_or_b32 s1, s5, s6
	v_cndmask_b32_e64 v7, s16, v7, s1
	s_or_b32 s1, s7, s8
	s_and_b32 s0, exec_lo, s0
	v_cndmask_b32_e64 v8, s16, v8, s1
	v_add_co_u32 v1, s1, v1, s13
	s_delay_alu instid0(VALU_DEP_1) | instskip(SKIP_4) | instid1(SALU_CYCLE_1)
	v_add_co_ci_u32_e64 v2, s1, 0, v2, s1
	global_store_b128 v[3:4], v[5:8], off offset:-8
	v_add_co_u32 v3, vcc_lo, v3, s9
	v_add_co_ci_u32_e32 v4, vcc_lo, 0, v4, vcc_lo
	s_or_b32 s12, s0, s12
	s_and_not1_b32 exec_lo, exec_lo, s12
	s_cbranch_execnz .LBB126_24
.LBB126_25:
	s_set_inst_prefetch_distance 0x2
	s_nop 0
	s_sendmsg sendmsg(MSG_DEALLOC_VGPRS)
	s_endpgm
	.section	.rodata,"a",@progbits
	.p2align	6, 0x0
	.amdhsa_kernel _ZN2at6native12_GLOBAL__N_125multi_tensor_apply_kernelINS1_28TensorListScalarListMetadataIfLi1EEENS1_25BinaryOpScalarListFunctorIfLi1ELi1ELi0EEEJNS0_7minimumIfEEEEEvT_T0_DpT1_
		.amdhsa_group_segment_fixed_size 0
		.amdhsa_private_segment_fixed_size 0
		.amdhsa_kernarg_size 3784
		.amdhsa_user_sgpr_count 15
		.amdhsa_user_sgpr_dispatch_ptr 0
		.amdhsa_user_sgpr_queue_ptr 0
		.amdhsa_user_sgpr_kernarg_segment_ptr 1
		.amdhsa_user_sgpr_dispatch_id 0
		.amdhsa_user_sgpr_private_segment_size 0
		.amdhsa_wavefront_size32 1
		.amdhsa_uses_dynamic_stack 0
		.amdhsa_enable_private_segment 0
		.amdhsa_system_sgpr_workgroup_id_x 1
		.amdhsa_system_sgpr_workgroup_id_y 0
		.amdhsa_system_sgpr_workgroup_id_z 0
		.amdhsa_system_sgpr_workgroup_info 0
		.amdhsa_system_vgpr_workitem_id 0
		.amdhsa_next_free_vgpr 17
		.amdhsa_next_free_sgpr 22
		.amdhsa_reserve_vcc 1
		.amdhsa_float_round_mode_32 0
		.amdhsa_float_round_mode_16_64 0
		.amdhsa_float_denorm_mode_32 3
		.amdhsa_float_denorm_mode_16_64 3
		.amdhsa_dx10_clamp 1
		.amdhsa_ieee_mode 1
		.amdhsa_fp16_overflow 0
		.amdhsa_workgroup_processor_mode 1
		.amdhsa_memory_ordered 1
		.amdhsa_forward_progress 0
		.amdhsa_shared_vgpr_count 0
		.amdhsa_exception_fp_ieee_invalid_op 0
		.amdhsa_exception_fp_denorm_src 0
		.amdhsa_exception_fp_ieee_div_zero 0
		.amdhsa_exception_fp_ieee_overflow 0
		.amdhsa_exception_fp_ieee_underflow 0
		.amdhsa_exception_fp_ieee_inexact 0
		.amdhsa_exception_int_div_zero 0
	.end_amdhsa_kernel
	.section	.text._ZN2at6native12_GLOBAL__N_125multi_tensor_apply_kernelINS1_28TensorListScalarListMetadataIfLi1EEENS1_25BinaryOpScalarListFunctorIfLi1ELi1ELi0EEEJNS0_7minimumIfEEEEEvT_T0_DpT1_,"axG",@progbits,_ZN2at6native12_GLOBAL__N_125multi_tensor_apply_kernelINS1_28TensorListScalarListMetadataIfLi1EEENS1_25BinaryOpScalarListFunctorIfLi1ELi1ELi0EEEJNS0_7minimumIfEEEEEvT_T0_DpT1_,comdat
.Lfunc_end126:
	.size	_ZN2at6native12_GLOBAL__N_125multi_tensor_apply_kernelINS1_28TensorListScalarListMetadataIfLi1EEENS1_25BinaryOpScalarListFunctorIfLi1ELi1ELi0EEEJNS0_7minimumIfEEEEEvT_T0_DpT1_, .Lfunc_end126-_ZN2at6native12_GLOBAL__N_125multi_tensor_apply_kernelINS1_28TensorListScalarListMetadataIfLi1EEENS1_25BinaryOpScalarListFunctorIfLi1ELi1ELi0EEEJNS0_7minimumIfEEEEEvT_T0_DpT1_
                                        ; -- End function
	.section	.AMDGPU.csdata,"",@progbits
; Kernel info:
; codeLenInByte = 1340
; NumSgprs: 24
; NumVgprs: 17
; ScratchSize: 0
; MemoryBound: 0
; FloatMode: 240
; IeeeMode: 1
; LDSByteSize: 0 bytes/workgroup (compile time only)
; SGPRBlocks: 2
; VGPRBlocks: 2
; NumSGPRsForWavesPerEU: 24
; NumVGPRsForWavesPerEU: 17
; Occupancy: 16
; WaveLimiterHint : 0
; COMPUTE_PGM_RSRC2:SCRATCH_EN: 0
; COMPUTE_PGM_RSRC2:USER_SGPR: 15
; COMPUTE_PGM_RSRC2:TRAP_HANDLER: 0
; COMPUTE_PGM_RSRC2:TGID_X_EN: 1
; COMPUTE_PGM_RSRC2:TGID_Y_EN: 0
; COMPUTE_PGM_RSRC2:TGID_Z_EN: 0
; COMPUTE_PGM_RSRC2:TIDIG_COMP_CNT: 0
	.section	.text._ZN2at6native12_GLOBAL__N_125multi_tensor_apply_kernelINS1_28TensorListScalarListMetadataIfLi1EEENS1_25BinaryOpScalarListFunctorIN3c104HalfELi1ELi1ELi0EEEJNS0_7minimumIfEEEEEvT_T0_DpT1_,"axG",@progbits,_ZN2at6native12_GLOBAL__N_125multi_tensor_apply_kernelINS1_28TensorListScalarListMetadataIfLi1EEENS1_25BinaryOpScalarListFunctorIN3c104HalfELi1ELi1ELi0EEEJNS0_7minimumIfEEEEEvT_T0_DpT1_,comdat
	.globl	_ZN2at6native12_GLOBAL__N_125multi_tensor_apply_kernelINS1_28TensorListScalarListMetadataIfLi1EEENS1_25BinaryOpScalarListFunctorIN3c104HalfELi1ELi1ELi0EEEJNS0_7minimumIfEEEEEvT_T0_DpT1_ ; -- Begin function _ZN2at6native12_GLOBAL__N_125multi_tensor_apply_kernelINS1_28TensorListScalarListMetadataIfLi1EEENS1_25BinaryOpScalarListFunctorIN3c104HalfELi1ELi1ELi0EEEJNS0_7minimumIfEEEEEvT_T0_DpT1_
	.p2align	8
	.type	_ZN2at6native12_GLOBAL__N_125multi_tensor_apply_kernelINS1_28TensorListScalarListMetadataIfLi1EEENS1_25BinaryOpScalarListFunctorIN3c104HalfELi1ELi1ELi0EEEJNS0_7minimumIfEEEEEvT_T0_DpT1_,@function
_ZN2at6native12_GLOBAL__N_125multi_tensor_apply_kernelINS1_28TensorListScalarListMetadataIfLi1EEENS1_25BinaryOpScalarListFunctorIN3c104HalfELi1ELi1ELi0EEEJNS0_7minimumIfEEEEEvT_T0_DpT1_: ; @_ZN2at6native12_GLOBAL__N_125multi_tensor_apply_kernelINS1_28TensorListScalarListMetadataIfLi1EEENS1_25BinaryOpScalarListFunctorIN3c104HalfELi1ELi1ELi0EEEJNS0_7minimumIfEEEEEvT_T0_DpT1_
; %bb.0:
	v_mov_b32_e32 v1, s15
	s_add_u32 s2, s0, s15
	s_mul_i32 s3, s15, 3
	s_mul_hi_u32 s4, s15, 3
	s_addc_u32 s5, s1, 0
	global_load_u8 v1, v1, s[0:1] offset:1920
	s_add_u32 s2, s2, s3
	s_addc_u32 s3, s5, s4
	s_load_b32 s2, s[2:3], 0x8c0
	s_waitcnt vmcnt(0)
	v_readfirstlane_b32 s3, v1
	v_lshlrev_b32_e32 v1, 2, v1
	s_delay_alu instid0(VALU_DEP_2)
	s_lshl_b32 s8, s3, 3
	s_waitcnt lgkmcnt(0)
	s_ashr_i32 s3, s2, 31
	s_clause 0x1
	s_load_b64 s[4:5], s[0:1], s8 offset:0x300
	s_load_b64 s[6:7], s[0:1], s8 offset:0x0
	s_add_u32 s8, s0, s8
	s_addc_u32 s9, s1, 0
	v_sub_co_u32 v1, s8, s8, v1
	s_delay_alu instid0(VALU_DEP_1) | instskip(SKIP_1) | instid1(VALU_DEP_2)
	v_sub_co_ci_u32_e64 v2, null, s9, 0, s8
	s_lshl_b64 s[10:11], s[2:3], 17
	v_readfirstlane_b32 s8, v1
	s_lshl_b64 s[2:3], s[2:3], 16
	s_delay_alu instid0(VALU_DEP_2)
	v_readfirstlane_b32 s9, v2
	s_load_b32 s16, s[8:9], 0x600
	s_waitcnt lgkmcnt(0)
	s_and_b32 s12, s6, 7
	s_sub_u32 s8, s4, s2
	s_subb_u32 s9, s5, s3
	s_and_b32 s2, s4, 3
	s_mov_b32 s3, 0
	s_or_b32 s2, s12, s2
	s_delay_alu instid0(SALU_CYCLE_1)
	s_cmp_eq_u64 s[2:3], 0
	s_cbranch_scc1 .LBB127_21
; %bb.1:
	v_cmp_lt_i64_e64 s2, s[8:9], 1
	s_delay_alu instid0(VALU_DEP_1)
	s_and_b32 vcc_lo, exec_lo, s2
	s_cbranch_vccnz .LBB127_20
; %bb.2:
	s_load_b32 s2, s[0:1], 0xdd4
	v_cmp_gt_u64_e64 s3, 0x10000, s[8:9]
	v_lshlrev_b32_e32 v1, 1, v0
	v_cvt_f16_f32_e32 v5, s16
	s_waitcnt lgkmcnt(0)
	s_and_b32 s2, s2, 0xffff
	s_delay_alu instid0(VALU_DEP_3)
	s_and_b32 s3, s3, exec_lo
	v_add_co_u32 v6, s5, v0, s2
	s_cselect_b32 s13, s9, 0
	s_cselect_b32 s12, s8, 0x10000
	s_lshl_b32 s3, s2, 1
	s_lshl_b32 s17, s2, 2
	v_lshlrev_b32_e32 v3, 1, v6
	v_add_co_ci_u32_e64 v7, null, 0, 0, s5
	s_add_u32 s5, s6, s10
	v_add_co_u32 v10, s3, s3, v0
	s_mul_i32 s4, s2, 3
	s_addc_u32 s14, s7, s11
	v_add_co_ci_u32_e64 v11, null, 0, 0, s3
	v_add_co_u32 v1, s3, s5, v1
	v_add_co_u32 v8, s4, s4, v0
	v_add_co_ci_u32_e64 v2, null, s14, 0, s3
	v_add_co_u32 v3, s3, s5, v3
	v_add_co_ci_u32_e64 v9, null, 0, 0, s4
	v_add_co_ci_u32_e64 v4, null, s14, 0, s3
	s_lshl_b32 s18, s2, 3
	s_mul_i32 s19, s2, 6
	s_mov_b64 s[14:15], 0
	s_branch .LBB127_4
.LBB127_3:                              ;   in Loop: Header=BB127_4 Depth=1
	s_or_b32 exec_lo, exec_lo, s3
	s_add_u32 s14, s14, s17
	s_addc_u32 s15, s15, 0
	v_add_co_u32 v1, vcc_lo, v1, s18
	v_cmp_lt_i64_e64 s2, s[14:15], s[8:9]
	v_cmp_gt_u64_e64 s3, 0x10000, s[14:15]
	v_add_co_ci_u32_e32 v2, vcc_lo, 0, v2, vcc_lo
	v_add_co_u32 v3, vcc_lo, v3, s18
	v_add_co_ci_u32_e32 v4, vcc_lo, 0, v4, vcc_lo
	s_delay_alu instid0(VALU_DEP_4) | instskip(NEXT) | instid1(SALU_CYCLE_1)
	s_and_b32 s2, s2, s3
	s_and_b32 vcc_lo, exec_lo, s2
	s_cbranch_vccz .LBB127_20
.LBB127_4:                              ; =>This Inner Loop Header: Depth=1
	s_waitcnt vmcnt(0)
	v_add_co_u32 v12, s2, v0, s14
	s_delay_alu instid0(VALU_DEP_1) | instskip(NEXT) | instid1(VALU_DEP_1)
	v_add_co_ci_u32_e64 v13, null, 0, s15, s2
	v_cmp_gt_u64_e32 vcc_lo, s[12:13], v[12:13]
	v_mov_b32_e32 v13, 0
	s_and_saveexec_b32 s2, vcc_lo
	s_cbranch_execz .LBB127_6
; %bb.5:                                ;   in Loop: Header=BB127_4 Depth=1
	global_load_u16 v13, v[1:2], off
.LBB127_6:                              ;   in Loop: Header=BB127_4 Depth=1
	s_or_b32 exec_lo, exec_lo, s2
	v_add_co_u32 v14, s2, v6, s14
	s_delay_alu instid0(VALU_DEP_1) | instskip(NEXT) | instid1(VALU_DEP_1)
	v_add_co_ci_u32_e64 v15, s2, s15, v7, s2
	v_cmp_gt_u64_e64 s2, s[12:13], v[14:15]
	v_mov_b32_e32 v14, 0
	s_delay_alu instid0(VALU_DEP_2)
	s_and_saveexec_b32 s3, s2
	s_cbranch_execz .LBB127_8
; %bb.7:                                ;   in Loop: Header=BB127_4 Depth=1
	global_load_u16 v14, v[3:4], off
.LBB127_8:                              ;   in Loop: Header=BB127_4 Depth=1
	s_or_b32 exec_lo, exec_lo, s3
	v_add_co_u32 v15, s3, v10, s14
	s_delay_alu instid0(VALU_DEP_1) | instskip(SKIP_1) | instid1(VALU_DEP_2)
	v_add_co_ci_u32_e64 v16, s3, s15, v11, s3
	v_mov_b32_e32 v12, 0
	v_cmp_gt_u64_e64 s3, s[12:13], v[15:16]
	v_mov_b32_e32 v15, 0
	s_delay_alu instid0(VALU_DEP_2)
	s_and_saveexec_b32 s5, s3
	s_cbranch_execz .LBB127_10
; %bb.9:                                ;   in Loop: Header=BB127_4 Depth=1
	v_add_co_u32 v15, s4, v1, s17
	s_delay_alu instid0(VALU_DEP_1)
	v_add_co_ci_u32_e64 v16, s4, 0, v2, s4
	global_load_u16 v15, v[15:16], off
.LBB127_10:                             ;   in Loop: Header=BB127_4 Depth=1
	s_or_b32 exec_lo, exec_lo, s5
	v_add_co_u32 v16, s4, v8, s14
	s_delay_alu instid0(VALU_DEP_1) | instskip(NEXT) | instid1(VALU_DEP_1)
	v_add_co_ci_u32_e64 v17, s4, s15, v9, s4
	v_cmp_gt_u64_e64 s4, s[12:13], v[16:17]
	s_delay_alu instid0(VALU_DEP_1)
	s_and_saveexec_b32 s20, s4
	s_cbranch_execnz .LBB127_15
; %bb.11:                               ;   in Loop: Header=BB127_4 Depth=1
	s_or_b32 exec_lo, exec_lo, s20
	s_and_saveexec_b32 s20, vcc_lo
	s_cbranch_execnz .LBB127_16
.LBB127_12:                             ;   in Loop: Header=BB127_4 Depth=1
	s_or_b32 exec_lo, exec_lo, s20
	s_and_saveexec_b32 s5, s2
	s_cbranch_execnz .LBB127_17
.LBB127_13:                             ;   in Loop: Header=BB127_4 Depth=1
	s_or_b32 exec_lo, exec_lo, s5
	s_and_saveexec_b32 s5, s3
	s_cbranch_execnz .LBB127_18
.LBB127_14:                             ;   in Loop: Header=BB127_4 Depth=1
	s_or_b32 exec_lo, exec_lo, s5
	s_and_saveexec_b32 s3, s4
	s_cbranch_execz .LBB127_3
	s_branch .LBB127_19
.LBB127_15:                             ;   in Loop: Header=BB127_4 Depth=1
	v_add_co_u32 v16, s5, v1, s19
	s_delay_alu instid0(VALU_DEP_1)
	v_add_co_ci_u32_e64 v17, s5, 0, v2, s5
	global_load_u16 v12, v[16:17], off
	s_or_b32 exec_lo, exec_lo, s20
	s_and_saveexec_b32 s20, vcc_lo
	s_cbranch_execz .LBB127_12
.LBB127_16:                             ;   in Loop: Header=BB127_4 Depth=1
	s_waitcnt vmcnt(0)
	v_cvt_f32_f16_e32 v16, v13
	v_cmp_u_f16_e32 vcc_lo, v13, v13
	s_delay_alu instid0(VALU_DEP_2) | instskip(NEXT) | instid1(VALU_DEP_1)
	v_cmp_gt_f32_e64 s5, s16, v16
	s_or_b32 vcc_lo, vcc_lo, s5
	v_cndmask_b32_e32 v13, v5, v13, vcc_lo
	global_store_b16 v[1:2], v13, off
	s_or_b32 exec_lo, exec_lo, s20
	s_and_saveexec_b32 s5, s2
	s_cbranch_execz .LBB127_13
.LBB127_17:                             ;   in Loop: Header=BB127_4 Depth=1
	s_waitcnt vmcnt(0)
	v_cvt_f32_f16_e32 v13, v14
	v_cmp_u_f16_e32 vcc_lo, v14, v14
	s_delay_alu instid0(VALU_DEP_2) | instskip(NEXT) | instid1(VALU_DEP_1)
	v_cmp_gt_f32_e64 s2, s16, v13
	s_or_b32 vcc_lo, vcc_lo, s2
	v_cndmask_b32_e32 v13, v5, v14, vcc_lo
	global_store_b16 v[3:4], v13, off
	s_or_b32 exec_lo, exec_lo, s5
	s_and_saveexec_b32 s5, s3
	s_cbranch_execz .LBB127_14
.LBB127_18:                             ;   in Loop: Header=BB127_4 Depth=1
	s_waitcnt vmcnt(0)
	v_cvt_f32_f16_e32 v13, v15
	v_cmp_u_f16_e32 vcc_lo, v15, v15
	s_delay_alu instid0(VALU_DEP_2) | instskip(NEXT) | instid1(VALU_DEP_1)
	v_cmp_gt_f32_e64 s2, s16, v13
	s_or_b32 vcc_lo, vcc_lo, s2
	v_cndmask_b32_e32 v15, v5, v15, vcc_lo
	v_add_co_u32 v13, vcc_lo, v1, s17
	v_add_co_ci_u32_e32 v14, vcc_lo, 0, v2, vcc_lo
	global_store_b16 v[13:14], v15, off
	s_or_b32 exec_lo, exec_lo, s5
	s_and_saveexec_b32 s3, s4
	s_cbranch_execz .LBB127_3
.LBB127_19:                             ;   in Loop: Header=BB127_4 Depth=1
	s_waitcnt vmcnt(0)
	v_cvt_f32_f16_e32 v13, v12
	v_cmp_u_f16_e32 vcc_lo, v12, v12
	s_delay_alu instid0(VALU_DEP_2) | instskip(NEXT) | instid1(VALU_DEP_1)
	v_cmp_gt_f32_e64 s2, s16, v13
	s_or_b32 vcc_lo, vcc_lo, s2
	v_cndmask_b32_e32 v14, v5, v12, vcc_lo
	v_add_co_u32 v12, vcc_lo, v1, s19
	v_add_co_ci_u32_e32 v13, vcc_lo, 0, v2, vcc_lo
	global_store_b16 v[12:13], v14, off
	s_branch .LBB127_3
.LBB127_20:
	s_cbranch_execz .LBB127_22
	s_branch .LBB127_25
.LBB127_21:
.LBB127_22:
	v_dual_mov_b32 v2, 0 :: v_dual_lshlrev_b32 v1, 2, v0
	s_mov_b32 s12, 0
	s_mov_b32 s2, exec_lo
	s_delay_alu instid0(VALU_DEP_1)
	v_cmpx_gt_i64_e64 s[8:9], v[1:2]
	s_cbranch_execz .LBB127_25
; %bb.23:
	s_load_b32 s0, s[0:1], 0xdd4
	v_lshlrev_b32_e32 v3, 3, v0
	v_cvt_f16_f32_e32 v1, s16
	s_delay_alu instid0(VALU_DEP_1)
	v_pack_b32_f16 v5, v1, v1
	s_waitcnt lgkmcnt(0)
	s_and_b32 s0, s0, 0xffff
	s_add_u32 s1, s6, s10
	s_addc_u32 s2, s7, s11
	v_add_co_u32 v3, s1, s1, v3
	s_delay_alu instid0(VALU_DEP_1) | instskip(SKIP_1) | instid1(VALU_DEP_3)
	v_add_co_ci_u32_e64 v4, null, s2, 0, s1
	v_add_lshl_u32 v1, v0, s0, 2
	v_add_co_u32 v3, vcc_lo, v3, 4
	s_delay_alu instid0(VALU_DEP_3)
	v_add_co_ci_u32_e32 v4, vcc_lo, 0, v4, vcc_lo
	v_lshrrev_b32_e32 v0, 16, v5
	s_mov_b32 s7, s16
	s_lshl_b32 s10, s0, 3
	s_lshl_b32 s11, s0, 2
.LBB127_24:                             ; =>This Inner Loop Header: Depth=1
	global_load_b64 v[6:7], v[3:4], off offset:-4
	s_waitcnt vmcnt(0)
	v_lshrrev_b32_e32 v10, 16, v7
	v_cvt_f32_f16_e32 v9, v6
	v_lshrrev_b32_e32 v8, 16, v6
	v_cvt_f32_f16_e32 v11, v7
	v_cmp_u_f16_e32 vcc_lo, v6, v6
	v_cvt_f32_f16_e32 v13, v10
	v_cmp_gt_f32_e64 s2, s16, v9
	v_cvt_f32_f16_e32 v12, v8
	v_cmp_u_f16_e64 s0, v7, v7
	v_cmp_gt_f32_e64 s4, s16, v11
	v_cmp_u_f16_e64 s3, v10, v10
	v_cmp_gt_f32_e64 s6, s7, v13
	s_or_b32 vcc_lo, vcc_lo, s2
	v_cmp_u_f16_e64 s1, v8, v8
	v_cmp_gt_f32_e64 s5, s7, v12
	v_cndmask_b32_e32 v6, v5, v6, vcc_lo
	s_or_b32 vcc_lo, s0, s4
	v_cmp_lt_u64_e64 s0, 0xffff, v[1:2]
	v_cndmask_b32_e32 v7, v5, v7, vcc_lo
	s_or_b32 vcc_lo, s3, s6
	v_cndmask_b32_e32 v9, v0, v10, vcc_lo
	s_or_b32 vcc_lo, s1, s5
	v_cndmask_b32_e32 v8, v0, v8, vcc_lo
	v_cmp_le_i64_e32 vcc_lo, s[8:9], v[1:2]
	s_delay_alu instid0(VALU_DEP_3) | instskip(SKIP_1) | instid1(VALU_DEP_4)
	v_perm_b32 v7, v9, v7, 0x5040100
	v_add_co_u32 v1, s1, v1, s11
	v_perm_b32 v6, v8, v6, 0x5040100
	v_add_co_ci_u32_e64 v2, s1, 0, v2, s1
	s_or_b32 s0, vcc_lo, s0
	global_store_b64 v[3:4], v[6:7], off offset:-4
	v_add_co_u32 v3, vcc_lo, v3, s10
	v_add_co_ci_u32_e32 v4, vcc_lo, 0, v4, vcc_lo
	s_and_b32 s0, exec_lo, s0
	s_delay_alu instid0(SALU_CYCLE_1) | instskip(NEXT) | instid1(SALU_CYCLE_1)
	s_or_b32 s12, s0, s12
	s_and_not1_b32 exec_lo, exec_lo, s12
	s_cbranch_execnz .LBB127_24
.LBB127_25:
	s_nop 0
	s_sendmsg sendmsg(MSG_DEALLOC_VGPRS)
	s_endpgm
	.section	.rodata,"a",@progbits
	.p2align	6, 0x0
	.amdhsa_kernel _ZN2at6native12_GLOBAL__N_125multi_tensor_apply_kernelINS1_28TensorListScalarListMetadataIfLi1EEENS1_25BinaryOpScalarListFunctorIN3c104HalfELi1ELi1ELi0EEEJNS0_7minimumIfEEEEEvT_T0_DpT1_
		.amdhsa_group_segment_fixed_size 0
		.amdhsa_private_segment_fixed_size 0
		.amdhsa_kernarg_size 3784
		.amdhsa_user_sgpr_count 15
		.amdhsa_user_sgpr_dispatch_ptr 0
		.amdhsa_user_sgpr_queue_ptr 0
		.amdhsa_user_sgpr_kernarg_segment_ptr 1
		.amdhsa_user_sgpr_dispatch_id 0
		.amdhsa_user_sgpr_private_segment_size 0
		.amdhsa_wavefront_size32 1
		.amdhsa_uses_dynamic_stack 0
		.amdhsa_enable_private_segment 0
		.amdhsa_system_sgpr_workgroup_id_x 1
		.amdhsa_system_sgpr_workgroup_id_y 0
		.amdhsa_system_sgpr_workgroup_id_z 0
		.amdhsa_system_sgpr_workgroup_info 0
		.amdhsa_system_vgpr_workitem_id 0
		.amdhsa_next_free_vgpr 18
		.amdhsa_next_free_sgpr 21
		.amdhsa_reserve_vcc 1
		.amdhsa_float_round_mode_32 0
		.amdhsa_float_round_mode_16_64 0
		.amdhsa_float_denorm_mode_32 3
		.amdhsa_float_denorm_mode_16_64 3
		.amdhsa_dx10_clamp 1
		.amdhsa_ieee_mode 1
		.amdhsa_fp16_overflow 0
		.amdhsa_workgroup_processor_mode 1
		.amdhsa_memory_ordered 1
		.amdhsa_forward_progress 0
		.amdhsa_shared_vgpr_count 0
		.amdhsa_exception_fp_ieee_invalid_op 0
		.amdhsa_exception_fp_denorm_src 0
		.amdhsa_exception_fp_ieee_div_zero 0
		.amdhsa_exception_fp_ieee_overflow 0
		.amdhsa_exception_fp_ieee_underflow 0
		.amdhsa_exception_fp_ieee_inexact 0
		.amdhsa_exception_int_div_zero 0
	.end_amdhsa_kernel
	.section	.text._ZN2at6native12_GLOBAL__N_125multi_tensor_apply_kernelINS1_28TensorListScalarListMetadataIfLi1EEENS1_25BinaryOpScalarListFunctorIN3c104HalfELi1ELi1ELi0EEEJNS0_7minimumIfEEEEEvT_T0_DpT1_,"axG",@progbits,_ZN2at6native12_GLOBAL__N_125multi_tensor_apply_kernelINS1_28TensorListScalarListMetadataIfLi1EEENS1_25BinaryOpScalarListFunctorIN3c104HalfELi1ELi1ELi0EEEJNS0_7minimumIfEEEEEvT_T0_DpT1_,comdat
.Lfunc_end127:
	.size	_ZN2at6native12_GLOBAL__N_125multi_tensor_apply_kernelINS1_28TensorListScalarListMetadataIfLi1EEENS1_25BinaryOpScalarListFunctorIN3c104HalfELi1ELi1ELi0EEEJNS0_7minimumIfEEEEEvT_T0_DpT1_, .Lfunc_end127-_ZN2at6native12_GLOBAL__N_125multi_tensor_apply_kernelINS1_28TensorListScalarListMetadataIfLi1EEENS1_25BinaryOpScalarListFunctorIN3c104HalfELi1ELi1ELi0EEEJNS0_7minimumIfEEEEEvT_T0_DpT1_
                                        ; -- End function
	.section	.AMDGPU.csdata,"",@progbits
; Kernel info:
; codeLenInByte = 1396
; NumSgprs: 23
; NumVgprs: 18
; ScratchSize: 0
; MemoryBound: 0
; FloatMode: 240
; IeeeMode: 1
; LDSByteSize: 0 bytes/workgroup (compile time only)
; SGPRBlocks: 2
; VGPRBlocks: 2
; NumSGPRsForWavesPerEU: 23
; NumVGPRsForWavesPerEU: 18
; Occupancy: 16
; WaveLimiterHint : 0
; COMPUTE_PGM_RSRC2:SCRATCH_EN: 0
; COMPUTE_PGM_RSRC2:USER_SGPR: 15
; COMPUTE_PGM_RSRC2:TRAP_HANDLER: 0
; COMPUTE_PGM_RSRC2:TGID_X_EN: 1
; COMPUTE_PGM_RSRC2:TGID_Y_EN: 0
; COMPUTE_PGM_RSRC2:TGID_Z_EN: 0
; COMPUTE_PGM_RSRC2:TIDIG_COMP_CNT: 0
	.section	.text._ZN2at6native12_GLOBAL__N_125multi_tensor_apply_kernelINS1_28TensorListScalarListMetadataIfLi1EEENS1_25BinaryOpScalarListFunctorIN3c108BFloat16ELi1ELi1ELi0EEEJNS0_7minimumIfEEEEEvT_T0_DpT1_,"axG",@progbits,_ZN2at6native12_GLOBAL__N_125multi_tensor_apply_kernelINS1_28TensorListScalarListMetadataIfLi1EEENS1_25BinaryOpScalarListFunctorIN3c108BFloat16ELi1ELi1ELi0EEEJNS0_7minimumIfEEEEEvT_T0_DpT1_,comdat
	.globl	_ZN2at6native12_GLOBAL__N_125multi_tensor_apply_kernelINS1_28TensorListScalarListMetadataIfLi1EEENS1_25BinaryOpScalarListFunctorIN3c108BFloat16ELi1ELi1ELi0EEEJNS0_7minimumIfEEEEEvT_T0_DpT1_ ; -- Begin function _ZN2at6native12_GLOBAL__N_125multi_tensor_apply_kernelINS1_28TensorListScalarListMetadataIfLi1EEENS1_25BinaryOpScalarListFunctorIN3c108BFloat16ELi1ELi1ELi0EEEJNS0_7minimumIfEEEEEvT_T0_DpT1_
	.p2align	8
	.type	_ZN2at6native12_GLOBAL__N_125multi_tensor_apply_kernelINS1_28TensorListScalarListMetadataIfLi1EEENS1_25BinaryOpScalarListFunctorIN3c108BFloat16ELi1ELi1ELi0EEEJNS0_7minimumIfEEEEEvT_T0_DpT1_,@function
_ZN2at6native12_GLOBAL__N_125multi_tensor_apply_kernelINS1_28TensorListScalarListMetadataIfLi1EEENS1_25BinaryOpScalarListFunctorIN3c108BFloat16ELi1ELi1ELi0EEEJNS0_7minimumIfEEEEEvT_T0_DpT1_: ; @_ZN2at6native12_GLOBAL__N_125multi_tensor_apply_kernelINS1_28TensorListScalarListMetadataIfLi1EEENS1_25BinaryOpScalarListFunctorIN3c108BFloat16ELi1ELi1ELi0EEEJNS0_7minimumIfEEEEEvT_T0_DpT1_
; %bb.0:
	v_mov_b32_e32 v1, s15
	s_add_u32 s2, s0, s15
	s_mul_i32 s3, s15, 3
	s_mul_hi_u32 s4, s15, 3
	s_addc_u32 s5, s1, 0
	global_load_u8 v1, v1, s[0:1] offset:1920
	s_add_u32 s2, s2, s3
	s_addc_u32 s3, s5, s4
	s_load_b32 s2, s[2:3], 0x8c0
	s_waitcnt vmcnt(0)
	v_readfirstlane_b32 s3, v1
	v_lshlrev_b32_e32 v1, 2, v1
	s_delay_alu instid0(VALU_DEP_2)
	s_lshl_b32 s6, s3, 3
	s_waitcnt lgkmcnt(0)
	s_ashr_i32 s3, s2, 31
	s_clause 0x1
	s_load_b64 s[4:5], s[0:1], s6 offset:0x300
	s_load_b64 s[8:9], s[0:1], s6 offset:0x0
	s_add_u32 s6, s0, s6
	s_addc_u32 s7, s1, 0
	v_sub_co_u32 v1, s6, s6, v1
	s_delay_alu instid0(VALU_DEP_1) | instskip(SKIP_1) | instid1(VALU_DEP_2)
	v_sub_co_ci_u32_e64 v2, null, s7, 0, s6
	s_lshl_b64 s[10:11], s[2:3], 17
	v_readfirstlane_b32 s6, v1
	s_lshl_b64 s[2:3], s[2:3], 16
	s_delay_alu instid0(VALU_DEP_2)
	v_readfirstlane_b32 s7, v2
	s_load_b32 s16, s[6:7], 0x600
	s_waitcnt lgkmcnt(0)
	s_and_b32 s12, s8, 7
	s_sub_u32 s6, s4, s2
	s_subb_u32 s7, s5, s3
	s_and_b32 s2, s4, 3
	s_mov_b32 s3, 0
	s_or_b32 s2, s12, s2
	s_delay_alu instid0(SALU_CYCLE_1)
	s_cmp_eq_u64 s[2:3], 0
	s_cbranch_scc1 .LBB128_21
; %bb.1:
	v_cmp_lt_i64_e64 s2, s[6:7], 1
	s_delay_alu instid0(VALU_DEP_1)
	s_and_b32 vcc_lo, exec_lo, s2
	s_cbranch_vccnz .LBB128_20
; %bb.2:
	s_load_b32 s2, s[0:1], 0xdd4
	v_cmp_gt_u64_e64 s3, 0x10000, s[6:7]
	v_lshlrev_b32_e32 v1, 1, v0
	s_waitcnt lgkmcnt(0)
	s_and_b32 s2, s2, 0xffff
	s_delay_alu instid0(VALU_DEP_2)
	s_and_b32 s3, s3, exec_lo
	v_add_co_u32 v5, s5, v0, s2
	s_cselect_b32 s13, s7, 0
	s_cselect_b32 s12, s6, 0x10000
	s_lshl_b32 s3, s2, 1
	s_lshl_b32 s17, s2, 2
	v_lshlrev_b32_e32 v3, 1, v5
	v_add_co_ci_u32_e64 v6, null, 0, 0, s5
	s_add_u32 s5, s8, s10
	v_add_co_u32 v9, s3, s3, v0
	s_mul_i32 s4, s2, 3
	s_addc_u32 s14, s9, s11
	v_add_co_ci_u32_e64 v10, null, 0, 0, s3
	v_add_co_u32 v1, s3, s5, v1
	v_add_co_u32 v7, s4, s4, v0
	v_add_co_ci_u32_e64 v2, null, s14, 0, s3
	v_add_co_u32 v3, s3, s5, v3
	v_add_co_ci_u32_e64 v8, null, 0, 0, s4
	v_add_co_ci_u32_e64 v4, null, s14, 0, s3
	s_lshl_b32 s18, s2, 3
	s_mul_i32 s19, s2, 6
	s_mov_b64 s[14:15], 0
	s_branch .LBB128_4
.LBB128_3:                              ;   in Loop: Header=BB128_4 Depth=1
	s_or_b32 exec_lo, exec_lo, s3
	s_add_u32 s14, s14, s17
	s_addc_u32 s15, s15, 0
	v_add_co_u32 v1, vcc_lo, v1, s18
	v_cmp_lt_i64_e64 s2, s[14:15], s[6:7]
	v_cmp_gt_u64_e64 s3, 0x10000, s[14:15]
	v_add_co_ci_u32_e32 v2, vcc_lo, 0, v2, vcc_lo
	v_add_co_u32 v3, vcc_lo, v3, s18
	v_add_co_ci_u32_e32 v4, vcc_lo, 0, v4, vcc_lo
	s_delay_alu instid0(VALU_DEP_4) | instskip(NEXT) | instid1(SALU_CYCLE_1)
	s_and_b32 s2, s2, s3
	s_and_b32 vcc_lo, exec_lo, s2
	s_cbranch_vccz .LBB128_20
.LBB128_4:                              ; =>This Inner Loop Header: Depth=1
	s_waitcnt vmcnt(0)
	v_add_co_u32 v11, s2, v0, s14
	s_delay_alu instid0(VALU_DEP_1) | instskip(SKIP_1) | instid1(VALU_DEP_2)
	v_add_co_ci_u32_e64 v12, null, 0, s15, s2
	v_mov_b32_e32 v13, 0
	v_cmp_gt_u64_e64 s4, s[12:13], v[11:12]
	s_delay_alu instid0(VALU_DEP_1)
	s_and_saveexec_b32 s2, s4
	s_cbranch_execz .LBB128_6
; %bb.5:                                ;   in Loop: Header=BB128_4 Depth=1
	global_load_u16 v13, v[1:2], off
.LBB128_6:                              ;   in Loop: Header=BB128_4 Depth=1
	s_or_b32 exec_lo, exec_lo, s2
	v_add_co_u32 v11, vcc_lo, v5, s14
	v_add_co_ci_u32_e32 v12, vcc_lo, s15, v6, vcc_lo
	s_delay_alu instid0(VALU_DEP_1) | instskip(SKIP_1) | instid1(VALU_DEP_2)
	v_cmp_gt_u64_e64 s3, s[12:13], v[11:12]
	v_mov_b32_e32 v12, 0
	s_and_saveexec_b32 s2, s3
	s_cbranch_execz .LBB128_8
; %bb.7:                                ;   in Loop: Header=BB128_4 Depth=1
	global_load_u16 v12, v[3:4], off
.LBB128_8:                              ;   in Loop: Header=BB128_4 Depth=1
	s_or_b32 exec_lo, exec_lo, s2
	v_add_co_u32 v14, vcc_lo, v9, s14
	v_add_co_ci_u32_e32 v15, vcc_lo, s15, v10, vcc_lo
	v_mov_b32_e32 v11, 0
	s_delay_alu instid0(VALU_DEP_2) | instskip(SKIP_1) | instid1(VALU_DEP_2)
	v_cmp_gt_u64_e64 s2, s[12:13], v[14:15]
	v_mov_b32_e32 v14, 0
	s_and_saveexec_b32 s5, s2
	s_cbranch_execz .LBB128_10
; %bb.9:                                ;   in Loop: Header=BB128_4 Depth=1
	v_add_co_u32 v14, vcc_lo, v1, s17
	v_add_co_ci_u32_e32 v15, vcc_lo, 0, v2, vcc_lo
	global_load_u16 v14, v[14:15], off
.LBB128_10:                             ;   in Loop: Header=BB128_4 Depth=1
	s_or_b32 exec_lo, exec_lo, s5
	v_add_co_u32 v15, vcc_lo, v7, s14
	v_add_co_ci_u32_e32 v16, vcc_lo, s15, v8, vcc_lo
	s_delay_alu instid0(VALU_DEP_1)
	v_cmp_gt_u64_e32 vcc_lo, s[12:13], v[15:16]
	s_and_saveexec_b32 s20, vcc_lo
	s_cbranch_execnz .LBB128_15
; %bb.11:                               ;   in Loop: Header=BB128_4 Depth=1
	s_or_b32 exec_lo, exec_lo, s20
	s_and_saveexec_b32 s20, s4
	s_cbranch_execnz .LBB128_16
.LBB128_12:                             ;   in Loop: Header=BB128_4 Depth=1
	s_or_b32 exec_lo, exec_lo, s20
	s_and_saveexec_b32 s5, s3
	s_cbranch_execnz .LBB128_17
.LBB128_13:                             ;   in Loop: Header=BB128_4 Depth=1
	s_or_b32 exec_lo, exec_lo, s5
	s_and_saveexec_b32 s4, s2
	s_cbranch_execnz .LBB128_18
.LBB128_14:                             ;   in Loop: Header=BB128_4 Depth=1
	s_or_b32 exec_lo, exec_lo, s4
	s_and_saveexec_b32 s3, vcc_lo
	s_cbranch_execz .LBB128_3
	s_branch .LBB128_19
.LBB128_15:                             ;   in Loop: Header=BB128_4 Depth=1
	v_add_co_u32 v15, s5, v1, s19
	s_delay_alu instid0(VALU_DEP_1)
	v_add_co_ci_u32_e64 v16, s5, 0, v2, s5
	global_load_u16 v11, v[15:16], off
	s_or_b32 exec_lo, exec_lo, s20
	s_and_saveexec_b32 s20, s4
	s_cbranch_execz .LBB128_12
.LBB128_16:                             ;   in Loop: Header=BB128_4 Depth=1
	s_waitcnt vmcnt(0)
	v_lshlrev_b32_e32 v13, 16, v13
	s_delay_alu instid0(VALU_DEP_1) | instskip(SKIP_1) | instid1(VALU_DEP_1)
	v_cmp_u_f32_e64 s4, v13, v13
	v_cmp_gt_f32_e64 s5, s16, v13
	s_or_b32 s4, s4, s5
	s_delay_alu instid0(SALU_CYCLE_1) | instskip(NEXT) | instid1(VALU_DEP_1)
	v_cndmask_b32_e64 v13, s16, v13, s4
	v_bfe_u32 v15, v13, 16, 1
	v_cmp_o_f32_e64 s4, v13, v13
	s_delay_alu instid0(VALU_DEP_2) | instskip(NEXT) | instid1(VALU_DEP_1)
	v_add3_u32 v15, v13, v15, 0x7fff
	v_lshrrev_b32_e32 v15, 16, v15
	s_delay_alu instid0(VALU_DEP_1)
	v_cndmask_b32_e64 v13, 0x7fc0, v15, s4
	global_store_b16 v[1:2], v13, off
	s_or_b32 exec_lo, exec_lo, s20
	s_and_saveexec_b32 s5, s3
	s_cbranch_execz .LBB128_13
.LBB128_17:                             ;   in Loop: Header=BB128_4 Depth=1
	s_waitcnt vmcnt(0)
	v_lshlrev_b32_e32 v12, 16, v12
	s_delay_alu instid0(VALU_DEP_1) | instskip(SKIP_1) | instid1(VALU_DEP_1)
	v_cmp_u_f32_e64 s3, v12, v12
	v_cmp_gt_f32_e64 s4, s16, v12
	s_or_b32 s3, s3, s4
	s_delay_alu instid0(SALU_CYCLE_1) | instskip(NEXT) | instid1(VALU_DEP_1)
	v_cndmask_b32_e64 v12, s16, v12, s3
	v_bfe_u32 v13, v12, 16, 1
	v_cmp_o_f32_e64 s3, v12, v12
	s_delay_alu instid0(VALU_DEP_2) | instskip(NEXT) | instid1(VALU_DEP_1)
	v_add3_u32 v13, v12, v13, 0x7fff
	v_lshrrev_b32_e32 v13, 16, v13
	s_delay_alu instid0(VALU_DEP_1)
	v_cndmask_b32_e64 v12, 0x7fc0, v13, s3
	global_store_b16 v[3:4], v12, off
	s_or_b32 exec_lo, exec_lo, s5
	s_and_saveexec_b32 s4, s2
	s_cbranch_execz .LBB128_14
.LBB128_18:                             ;   in Loop: Header=BB128_4 Depth=1
	s_waitcnt vmcnt(0)
	v_lshlrev_b32_e32 v12, 16, v14
	s_delay_alu instid0(VALU_DEP_1) | instskip(SKIP_1) | instid1(VALU_DEP_1)
	v_cmp_u_f32_e64 s2, v12, v12
	v_cmp_gt_f32_e64 s3, s16, v12
	s_or_b32 s2, s2, s3
	s_delay_alu instid0(SALU_CYCLE_1) | instskip(NEXT) | instid1(VALU_DEP_1)
	v_cndmask_b32_e64 v12, s16, v12, s2
	v_bfe_u32 v13, v12, 16, 1
	v_cmp_o_f32_e64 s2, v12, v12
	s_delay_alu instid0(VALU_DEP_2) | instskip(NEXT) | instid1(VALU_DEP_1)
	v_add3_u32 v13, v12, v13, 0x7fff
	v_lshrrev_b32_e32 v13, 16, v13
	s_delay_alu instid0(VALU_DEP_1) | instskip(SKIP_1) | instid1(VALU_DEP_1)
	v_cndmask_b32_e64 v14, 0x7fc0, v13, s2
	v_add_co_u32 v12, s2, v1, s17
	v_add_co_ci_u32_e64 v13, s2, 0, v2, s2
	global_store_b16 v[12:13], v14, off
	s_or_b32 exec_lo, exec_lo, s4
	s_and_saveexec_b32 s3, vcc_lo
	s_cbranch_execz .LBB128_3
.LBB128_19:                             ;   in Loop: Header=BB128_4 Depth=1
	s_waitcnt vmcnt(0)
	v_lshlrev_b32_e32 v11, 16, v11
	s_delay_alu instid0(VALU_DEP_1) | instskip(SKIP_1) | instid1(VALU_DEP_1)
	v_cmp_u_f32_e32 vcc_lo, v11, v11
	v_cmp_gt_f32_e64 s2, s16, v11
	s_or_b32 vcc_lo, vcc_lo, s2
	v_cndmask_b32_e32 v11, s16, v11, vcc_lo
	s_delay_alu instid0(VALU_DEP_1) | instskip(SKIP_1) | instid1(VALU_DEP_2)
	v_bfe_u32 v12, v11, 16, 1
	v_cmp_o_f32_e32 vcc_lo, v11, v11
	v_add3_u32 v12, v11, v12, 0x7fff
	s_delay_alu instid0(VALU_DEP_1) | instskip(NEXT) | instid1(VALU_DEP_1)
	v_lshrrev_b32_e32 v12, 16, v12
	v_cndmask_b32_e32 v13, 0x7fc0, v12, vcc_lo
	v_add_co_u32 v11, vcc_lo, v1, s19
	v_add_co_ci_u32_e32 v12, vcc_lo, 0, v2, vcc_lo
	global_store_b16 v[11:12], v13, off
	s_branch .LBB128_3
.LBB128_20:
	s_cbranch_execz .LBB128_22
	s_branch .LBB128_25
.LBB128_21:
.LBB128_22:
	v_dual_mov_b32 v2, 0 :: v_dual_lshlrev_b32 v1, 2, v0
	s_mov_b32 s5, 0
	s_mov_b32 s2, exec_lo
	s_delay_alu instid0(VALU_DEP_1)
	v_cmpx_gt_i64_e64 s[6:7], v[1:2]
	s_cbranch_execz .LBB128_25
; %bb.23:
	s_load_b32 s0, s[0:1], 0xdd4
	v_lshlrev_b32_e32 v1, 3, v0
	s_waitcnt lgkmcnt(0)
	s_and_b32 s0, s0, 0xffff
	s_add_u32 s1, s8, s10
	s_addc_u32 s2, s9, s11
	v_add_co_u32 v3, s1, s1, v1
	s_delay_alu instid0(VALU_DEP_1)
	v_add_co_ci_u32_e64 v4, null, s2, 0, s1
	v_add_lshl_u32 v1, v0, s0, 2
	s_lshl_b32 s8, s0, 3
	s_lshl_b32 s9, s0, 2
.LBB128_24:                             ; =>This Inner Loop Header: Depth=1
	global_load_b64 v[5:6], v[3:4], off
	s_waitcnt vmcnt(0)
	v_and_b32_e32 v7, 0xffff0000, v5
	s_delay_alu instid0(VALU_DEP_1) | instskip(SKIP_1) | instid1(VALU_DEP_1)
	v_cmp_u_f32_e64 s1, v7, v7
	v_cmp_gt_f32_e64 s2, s16, v7
	s_or_b32 s1, s1, s2
	s_delay_alu instid0(SALU_CYCLE_1) | instskip(NEXT) | instid1(VALU_DEP_1)
	v_cndmask_b32_e64 v7, s16, v7, s1
	v_bfe_u32 v8, v7, 16, 1
	s_delay_alu instid0(VALU_DEP_1) | instskip(NEXT) | instid1(VALU_DEP_1)
	v_add3_u32 v8, v7, v8, 0x7fff
	v_and_b32_e32 v8, 0xffff0000, v8
	v_lshlrev_b32_e32 v0, 16, v5
	v_alignbit_b32 v5, v6, v5, 16
	v_and_b32_e32 v6, 0xffff0000, v6
	s_delay_alu instid0(VALU_DEP_3) | instskip(SKIP_1) | instid1(VALU_DEP_4)
	v_cmp_u_f32_e32 vcc_lo, v0, v0
	v_cmp_gt_f32_e64 s0, s16, v0
	v_and_b32_e32 v5, 0xffff0000, v5
	s_delay_alu instid0(VALU_DEP_4) | instskip(SKIP_1) | instid1(VALU_DEP_4)
	v_cmp_u_f32_e64 s3, v6, v6
	v_cmp_gt_f32_e64 s4, s16, v6
	s_or_b32 vcc_lo, vcc_lo, s0
	s_delay_alu instid0(VALU_DEP_3) | instskip(SKIP_3) | instid1(SALU_CYCLE_1)
	v_cmp_gt_f32_e64 s0, s16, v5
	v_cndmask_b32_e32 v0, s16, v0, vcc_lo
	v_cmp_u_f32_e32 vcc_lo, v5, v5
	s_or_b32 s1, s3, s4
	v_cndmask_b32_e64 v6, s16, v6, s1
	s_delay_alu instid0(VALU_DEP_3)
	v_bfe_u32 v9, v0, 16, 1
	s_or_b32 vcc_lo, vcc_lo, s0
	v_cmp_lt_u64_e64 s0, 0xffff, v[1:2]
	v_cndmask_b32_e32 v5, s16, v5, vcc_lo
	v_bfe_u32 v10, v6, 16, 1
	v_add3_u32 v9, v0, v9, 0x7fff
	v_cmp_o_f32_e32 vcc_lo, v7, v7
	s_delay_alu instid0(VALU_DEP_4) | instskip(NEXT) | instid1(VALU_DEP_4)
	v_bfe_u32 v11, v5, 16, 1
	v_add3_u32 v10, v6, v10, 0x7fff
	s_delay_alu instid0(VALU_DEP_4)
	v_lshrrev_b32_e32 v9, 16, v9
	v_cndmask_b32_e32 v7, 0x7fc00000, v8, vcc_lo
	v_cmp_o_f32_e32 vcc_lo, v0, v0
	v_add3_u32 v11, v5, v11, 0x7fff
	v_and_b32_e32 v10, 0xffff0000, v10
	v_cndmask_b32_e32 v0, 0x7fc0, v9, vcc_lo
	v_cmp_o_f32_e32 vcc_lo, v6, v6
	s_delay_alu instid0(VALU_DEP_4) | instskip(NEXT) | instid1(VALU_DEP_3)
	v_lshrrev_b32_e32 v11, 16, v11
	v_or_b32_e32 v0, v0, v7
	v_cndmask_b32_e32 v6, 0x7fc00000, v10, vcc_lo
	v_cmp_o_f32_e32 vcc_lo, v5, v5
	s_delay_alu instid0(VALU_DEP_4) | instskip(SKIP_2) | instid1(VALU_DEP_1)
	v_cndmask_b32_e32 v5, 0x7fc0, v11, vcc_lo
	v_cmp_le_i64_e32 vcc_lo, s[6:7], v[1:2]
	v_add_co_u32 v1, s1, v1, s9
	v_add_co_ci_u32_e64 v2, s1, 0, v2, s1
	s_delay_alu instid0(VALU_DEP_4) | instskip(SKIP_2) | instid1(SALU_CYCLE_1)
	v_or3_b32 v6, 0, v5, v6
	v_or3_b32 v5, v0, 0, 0
	s_or_b32 s0, vcc_lo, s0
	s_and_b32 s0, exec_lo, s0
	global_store_b64 v[3:4], v[5:6], off
	v_add_co_u32 v3, vcc_lo, v3, s8
	v_add_co_ci_u32_e32 v4, vcc_lo, 0, v4, vcc_lo
	s_or_b32 s5, s0, s5
	s_delay_alu instid0(SALU_CYCLE_1)
	s_and_not1_b32 exec_lo, exec_lo, s5
	s_cbranch_execnz .LBB128_24
.LBB128_25:
	s_nop 0
	s_sendmsg sendmsg(MSG_DEALLOC_VGPRS)
	s_endpgm
	.section	.rodata,"a",@progbits
	.p2align	6, 0x0
	.amdhsa_kernel _ZN2at6native12_GLOBAL__N_125multi_tensor_apply_kernelINS1_28TensorListScalarListMetadataIfLi1EEENS1_25BinaryOpScalarListFunctorIN3c108BFloat16ELi1ELi1ELi0EEEJNS0_7minimumIfEEEEEvT_T0_DpT1_
		.amdhsa_group_segment_fixed_size 0
		.amdhsa_private_segment_fixed_size 0
		.amdhsa_kernarg_size 3784
		.amdhsa_user_sgpr_count 15
		.amdhsa_user_sgpr_dispatch_ptr 0
		.amdhsa_user_sgpr_queue_ptr 0
		.amdhsa_user_sgpr_kernarg_segment_ptr 1
		.amdhsa_user_sgpr_dispatch_id 0
		.amdhsa_user_sgpr_private_segment_size 0
		.amdhsa_wavefront_size32 1
		.amdhsa_uses_dynamic_stack 0
		.amdhsa_enable_private_segment 0
		.amdhsa_system_sgpr_workgroup_id_x 1
		.amdhsa_system_sgpr_workgroup_id_y 0
		.amdhsa_system_sgpr_workgroup_id_z 0
		.amdhsa_system_sgpr_workgroup_info 0
		.amdhsa_system_vgpr_workitem_id 0
		.amdhsa_next_free_vgpr 17
		.amdhsa_next_free_sgpr 21
		.amdhsa_reserve_vcc 1
		.amdhsa_float_round_mode_32 0
		.amdhsa_float_round_mode_16_64 0
		.amdhsa_float_denorm_mode_32 3
		.amdhsa_float_denorm_mode_16_64 3
		.amdhsa_dx10_clamp 1
		.amdhsa_ieee_mode 1
		.amdhsa_fp16_overflow 0
		.amdhsa_workgroup_processor_mode 1
		.amdhsa_memory_ordered 1
		.amdhsa_forward_progress 0
		.amdhsa_shared_vgpr_count 0
		.amdhsa_exception_fp_ieee_invalid_op 0
		.amdhsa_exception_fp_denorm_src 0
		.amdhsa_exception_fp_ieee_div_zero 0
		.amdhsa_exception_fp_ieee_overflow 0
		.amdhsa_exception_fp_ieee_underflow 0
		.amdhsa_exception_fp_ieee_inexact 0
		.amdhsa_exception_int_div_zero 0
	.end_amdhsa_kernel
	.section	.text._ZN2at6native12_GLOBAL__N_125multi_tensor_apply_kernelINS1_28TensorListScalarListMetadataIfLi1EEENS1_25BinaryOpScalarListFunctorIN3c108BFloat16ELi1ELi1ELi0EEEJNS0_7minimumIfEEEEEvT_T0_DpT1_,"axG",@progbits,_ZN2at6native12_GLOBAL__N_125multi_tensor_apply_kernelINS1_28TensorListScalarListMetadataIfLi1EEENS1_25BinaryOpScalarListFunctorIN3c108BFloat16ELi1ELi1ELi0EEEJNS0_7minimumIfEEEEEvT_T0_DpT1_,comdat
.Lfunc_end128:
	.size	_ZN2at6native12_GLOBAL__N_125multi_tensor_apply_kernelINS1_28TensorListScalarListMetadataIfLi1EEENS1_25BinaryOpScalarListFunctorIN3c108BFloat16ELi1ELi1ELi0EEEJNS0_7minimumIfEEEEEvT_T0_DpT1_, .Lfunc_end128-_ZN2at6native12_GLOBAL__N_125multi_tensor_apply_kernelINS1_28TensorListScalarListMetadataIfLi1EEENS1_25BinaryOpScalarListFunctorIN3c108BFloat16ELi1ELi1ELi0EEEJNS0_7minimumIfEEEEEvT_T0_DpT1_
                                        ; -- End function
	.section	.AMDGPU.csdata,"",@progbits
; Kernel info:
; codeLenInByte = 1772
; NumSgprs: 23
; NumVgprs: 17
; ScratchSize: 0
; MemoryBound: 0
; FloatMode: 240
; IeeeMode: 1
; LDSByteSize: 0 bytes/workgroup (compile time only)
; SGPRBlocks: 2
; VGPRBlocks: 2
; NumSGPRsForWavesPerEU: 23
; NumVGPRsForWavesPerEU: 17
; Occupancy: 16
; WaveLimiterHint : 0
; COMPUTE_PGM_RSRC2:SCRATCH_EN: 0
; COMPUTE_PGM_RSRC2:USER_SGPR: 15
; COMPUTE_PGM_RSRC2:TRAP_HANDLER: 0
; COMPUTE_PGM_RSRC2:TGID_X_EN: 1
; COMPUTE_PGM_RSRC2:TGID_Y_EN: 0
; COMPUTE_PGM_RSRC2:TGID_Z_EN: 0
; COMPUTE_PGM_RSRC2:TIDIG_COMP_CNT: 0
	.section	.text._ZN2at6native12_GLOBAL__N_125multi_tensor_apply_kernelINS1_28TensorListScalarListMetadataIhLi2EEENS1_25BinaryOpScalarListFunctorIhLi2ELi1ELi1EEEJNS0_7minimumIhEEEEEvT_T0_DpT1_,"axG",@progbits,_ZN2at6native12_GLOBAL__N_125multi_tensor_apply_kernelINS1_28TensorListScalarListMetadataIhLi2EEENS1_25BinaryOpScalarListFunctorIhLi2ELi1ELi1EEEJNS0_7minimumIhEEEEEvT_T0_DpT1_,comdat
	.globl	_ZN2at6native12_GLOBAL__N_125multi_tensor_apply_kernelINS1_28TensorListScalarListMetadataIhLi2EEENS1_25BinaryOpScalarListFunctorIhLi2ELi1ELi1EEEJNS0_7minimumIhEEEEEvT_T0_DpT1_ ; -- Begin function _ZN2at6native12_GLOBAL__N_125multi_tensor_apply_kernelINS1_28TensorListScalarListMetadataIhLi2EEENS1_25BinaryOpScalarListFunctorIhLi2ELi1ELi1EEEJNS0_7minimumIhEEEEEvT_T0_DpT1_
	.p2align	8
	.type	_ZN2at6native12_GLOBAL__N_125multi_tensor_apply_kernelINS1_28TensorListScalarListMetadataIhLi2EEENS1_25BinaryOpScalarListFunctorIhLi2ELi1ELi1EEEJNS0_7minimumIhEEEEEvT_T0_DpT1_,@function
_ZN2at6native12_GLOBAL__N_125multi_tensor_apply_kernelINS1_28TensorListScalarListMetadataIhLi2EEENS1_25BinaryOpScalarListFunctorIhLi2ELi1ELi1EEEJNS0_7minimumIhEEEEEvT_T0_DpT1_: ; @_ZN2at6native12_GLOBAL__N_125multi_tensor_apply_kernelINS1_28TensorListScalarListMetadataIhLi2EEENS1_25BinaryOpScalarListFunctorIhLi2ELi1ELi1EEEJNS0_7minimumIhEEEEEvT_T0_DpT1_
; %bb.0:
	v_mov_b32_e32 v1, s15
	s_mul_i32 s4, s15, 3
	s_mul_hi_u32 s5, s15, 3
	global_load_u8 v3, v1, s[0:1] offset:1600
	s_waitcnt vmcnt(0)
	v_add_co_u32 v1, s2, s0, v3
	s_delay_alu instid0(VALU_DEP_1)
	v_add_co_ci_u32_e64 v2, null, s1, 0, s2
	s_add_u32 s2, s0, s15
	s_addc_u32 s3, s1, 0
	s_add_u32 s2, s2, s4
	global_load_u8 v2, v[1:2], off offset:1536
	s_addc_u32 s3, s3, s5
	v_readfirstlane_b32 s4, v3
	s_load_b32 s6, s[2:3], 0x780
	s_delay_alu instid0(VALU_DEP_1)
	s_lshl_b32 s7, s4, 3
	s_clause 0x2
	s_load_b64 s[4:5], s[0:1], s7 offset:0x0
	s_load_b64 s[2:3], s[0:1], s7 offset:0x200
	;; [unrolled: 1-line block ×3, first 2 shown]
	s_waitcnt lgkmcnt(0)
	s_ashr_i32 s7, s6, 31
	s_delay_alu instid0(SALU_CYCLE_1) | instskip(NEXT) | instid1(SALU_CYCLE_1)
	s_lshl_b64 s[12:13], s[6:7], 16
	s_add_u32 s6, s4, s12
	s_addc_u32 s7, s5, s13
	s_add_u32 s14, s2, s12
	s_addc_u32 s15, s3, s13
	s_or_b64 s[10:11], s[8:9], s[6:7]
	s_delay_alu instid0(SALU_CYCLE_1) | instskip(NEXT) | instid1(SALU_CYCLE_1)
	s_or_b32 s10, s14, s10
	s_and_b32 s10, s10, 3
	s_sub_u32 s8, s8, s12
	s_subb_u32 s9, s9, s13
	s_cmp_eq_u32 s10, 0
	s_mov_b32 s10, -1
	s_cbranch_scc1 .LBB129_21
; %bb.1:
	v_cmp_lt_i64_e64 s10, s[8:9], 1
	s_delay_alu instid0(VALU_DEP_1)
	s_and_b32 vcc_lo, exec_lo, s10
	s_cbranch_vccnz .LBB129_20
; %bb.2:
	s_load_b32 s10, s[0:1], 0xc94
	v_add_co_u32 v16, s11, s12, v0
	s_delay_alu instid0(VALU_DEP_1) | instskip(SKIP_1) | instid1(VALU_DEP_3)
	v_add_co_ci_u32_e64 v17, null, s13, 0, s11
	v_cmp_gt_u64_e64 s11, 0x10000, s[8:9]
	v_add_co_u32 v1, vcc_lo, s4, v16
	s_delay_alu instid0(VALU_DEP_3)
	v_add_co_ci_u32_e32 v3, vcc_lo, s5, v17, vcc_lo
	v_add_co_u32 v4, vcc_lo, s2, v16
	v_add_co_ci_u32_e32 v5, vcc_lo, s3, v17, vcc_lo
	s_waitcnt vmcnt(0)
	v_and_b32_e32 v24, 0xff, v2
	s_waitcnt lgkmcnt(0)
	s_and_b32 s17, s10, 0xffff
	s_and_b32 s10, s11, exec_lo
	s_mul_i32 s19, s17, 3
	s_cselect_b32 s11, s9, 0
	s_cselect_b32 s10, s8, 0x10000
	s_lshl_b32 s18, s17, 1
	s_lshl_b32 s16, s17, 2
	s_add_u32 s20, s12, s19
	s_addc_u32 s21, s13, 0
	v_add_co_u32 v8, s20, s20, v0
	s_delay_alu instid0(VALU_DEP_1) | instskip(SKIP_1) | instid1(VALU_DEP_2)
	v_add_co_ci_u32_e64 v9, null, s21, 0, s20
	s_add_u32 s12, s12, s18
	v_add_co_u32 v6, vcc_lo, s4, v8
	s_addc_u32 s13, s13, 0
	v_add_co_u32 v14, s12, s12, v0
	v_add_co_ci_u32_e32 v7, vcc_lo, s5, v9, vcc_lo
	v_add_co_u32 v8, vcc_lo, s2, v8
	v_add_co_ci_u32_e64 v15, null, s13, 0, s12
	v_add_co_ci_u32_e32 v9, vcc_lo, s3, v9, vcc_lo
	v_add_co_u32 v12, vcc_lo, s4, v14
	s_delay_alu instid0(VALU_DEP_3)
	v_add_co_ci_u32_e32 v13, vcc_lo, s5, v15, vcc_lo
	v_add_co_u32 v14, vcc_lo, s2, v14
	v_add_co_ci_u32_e32 v15, vcc_lo, s3, v15, vcc_lo
	v_add_co_u32 v20, vcc_lo, v16, s17
	v_add_co_ci_u32_e32 v21, vcc_lo, 0, v17, vcc_lo
	v_add_co_u32 v10, s12, s19, v0
	s_delay_alu instid0(VALU_DEP_3) | instskip(NEXT) | instid1(VALU_DEP_3)
	v_add_co_u32 v18, vcc_lo, s4, v20
	v_add_co_ci_u32_e32 v19, vcc_lo, s5, v21, vcc_lo
	v_add_co_ci_u32_e64 v11, null, 0, 0, s12
	v_add_co_u32 v16, s12, s18, v0
	v_add_co_u32 v20, vcc_lo, s2, v20
	v_add_co_u32 v22, s2, v0, s17
	v_add_co_ci_u32_e64 v17, null, 0, 0, s12
	v_add_co_ci_u32_e32 v21, vcc_lo, s3, v21, vcc_lo
	v_add_co_ci_u32_e64 v23, null, 0, 0, s2
	s_mov_b64 s[12:13], 0
	s_branch .LBB129_4
.LBB129_3:                              ;   in Loop: Header=BB129_4 Depth=1
	s_or_b32 exec_lo, exec_lo, s2
	s_add_u32 s12, s12, s16
	s_addc_u32 s13, s13, 0
	s_delay_alu instid0(SALU_CYCLE_1) | instskip(SKIP_1) | instid1(VALU_DEP_1)
	v_cmp_lt_i64_e64 s2, s[12:13], s[8:9]
	v_cmp_gt_u64_e64 s3, 0x10000, s[12:13]
	s_and_b32 s2, s2, s3
	s_delay_alu instid0(SALU_CYCLE_1)
	s_and_b32 vcc_lo, exec_lo, s2
	s_cbranch_vccz .LBB129_20
.LBB129_4:                              ; =>This Inner Loop Header: Depth=1
	s_waitcnt vmcnt(0)
	v_add_co_u32 v25, s2, v0, s12
	s_delay_alu instid0(VALU_DEP_1) | instskip(NEXT) | instid1(VALU_DEP_1)
	v_add_co_ci_u32_e64 v26, null, 0, s13, s2
	v_cmp_gt_u64_e32 vcc_lo, s[10:11], v[25:26]
	v_mov_b32_e32 v26, 0
	s_and_saveexec_b32 s3, vcc_lo
	s_cbranch_execz .LBB129_6
; %bb.5:                                ;   in Loop: Header=BB129_4 Depth=1
	v_add_co_u32 v25, s2, v1, s12
	s_delay_alu instid0(VALU_DEP_1)
	v_add_co_ci_u32_e64 v26, s2, s13, v3, s2
	global_load_u8 v26, v[25:26], off
.LBB129_6:                              ;   in Loop: Header=BB129_4 Depth=1
	s_or_b32 exec_lo, exec_lo, s3
	v_add_co_u32 v27, s2, v22, s12
	s_delay_alu instid0(VALU_DEP_1) | instskip(NEXT) | instid1(VALU_DEP_1)
	v_add_co_ci_u32_e64 v28, s2, s13, v23, s2
	v_cmp_gt_u64_e64 s2, s[10:11], v[27:28]
	v_mov_b32_e32 v27, 0
	s_delay_alu instid0(VALU_DEP_2)
	s_and_saveexec_b32 s4, s2
	s_cbranch_execz .LBB129_8
; %bb.7:                                ;   in Loop: Header=BB129_4 Depth=1
	v_add_co_u32 v27, s3, v18, s12
	s_delay_alu instid0(VALU_DEP_1)
	v_add_co_ci_u32_e64 v28, s3, s13, v19, s3
	global_load_u8 v27, v[27:28], off
.LBB129_8:                              ;   in Loop: Header=BB129_4 Depth=1
	s_or_b32 exec_lo, exec_lo, s4
	v_add_co_u32 v28, s3, v16, s12
	s_delay_alu instid0(VALU_DEP_1) | instskip(SKIP_1) | instid1(VALU_DEP_2)
	v_add_co_ci_u32_e64 v29, s3, s13, v17, s3
	v_mov_b32_e32 v25, 0
	v_cmp_gt_u64_e64 s3, s[10:11], v[28:29]
	v_mov_b32_e32 v28, 0
	s_delay_alu instid0(VALU_DEP_2)
	s_and_saveexec_b32 s5, s3
	s_cbranch_execz .LBB129_10
; %bb.9:                                ;   in Loop: Header=BB129_4 Depth=1
	v_add_co_u32 v28, s4, v12, s12
	s_delay_alu instid0(VALU_DEP_1)
	v_add_co_ci_u32_e64 v29, s4, s13, v13, s4
	global_load_u8 v28, v[28:29], off
.LBB129_10:                             ;   in Loop: Header=BB129_4 Depth=1
	s_or_b32 exec_lo, exec_lo, s5
	v_add_co_u32 v29, s4, v10, s12
	s_delay_alu instid0(VALU_DEP_1) | instskip(NEXT) | instid1(VALU_DEP_1)
	v_add_co_ci_u32_e64 v30, s4, s13, v11, s4
	v_cmp_gt_u64_e64 s4, s[10:11], v[29:30]
	s_delay_alu instid0(VALU_DEP_1)
	s_and_saveexec_b32 s17, s4
	s_cbranch_execnz .LBB129_15
; %bb.11:                               ;   in Loop: Header=BB129_4 Depth=1
	s_or_b32 exec_lo, exec_lo, s17
	s_and_saveexec_b32 s5, vcc_lo
	s_cbranch_execnz .LBB129_16
.LBB129_12:                             ;   in Loop: Header=BB129_4 Depth=1
	s_or_b32 exec_lo, exec_lo, s5
	s_and_saveexec_b32 s5, s2
	s_cbranch_execnz .LBB129_17
.LBB129_13:                             ;   in Loop: Header=BB129_4 Depth=1
	s_or_b32 exec_lo, exec_lo, s5
	s_and_saveexec_b32 s2, s3
	s_cbranch_execnz .LBB129_18
.LBB129_14:                             ;   in Loop: Header=BB129_4 Depth=1
	s_or_b32 exec_lo, exec_lo, s2
	s_and_saveexec_b32 s2, s4
	s_cbranch_execz .LBB129_3
	s_branch .LBB129_19
.LBB129_15:                             ;   in Loop: Header=BB129_4 Depth=1
	v_add_co_u32 v29, s5, v6, s12
	s_delay_alu instid0(VALU_DEP_1)
	v_add_co_ci_u32_e64 v30, s5, s13, v7, s5
	global_load_u8 v25, v[29:30], off
	s_or_b32 exec_lo, exec_lo, s17
	s_and_saveexec_b32 s5, vcc_lo
	s_cbranch_execz .LBB129_12
.LBB129_16:                             ;   in Loop: Header=BB129_4 Depth=1
	s_waitcnt vmcnt(0)
	v_and_b32_e32 v26, 0xff, v26
	v_add_co_u32 v29, vcc_lo, v4, s12
	v_add_co_ci_u32_e32 v30, vcc_lo, s13, v5, vcc_lo
	s_delay_alu instid0(VALU_DEP_3)
	v_min_u16 v26, v26, v24
	global_store_b8 v[29:30], v26, off
	s_or_b32 exec_lo, exec_lo, s5
	s_and_saveexec_b32 s5, s2
	s_cbranch_execz .LBB129_13
.LBB129_17:                             ;   in Loop: Header=BB129_4 Depth=1
	s_waitcnt vmcnt(0)
	v_and_b32_e32 v26, 0xff, v27
	s_delay_alu instid0(VALU_DEP_1)
	v_min_u16 v29, v26, v24
	v_add_co_u32 v26, vcc_lo, v20, s12
	v_add_co_ci_u32_e32 v27, vcc_lo, s13, v21, vcc_lo
	global_store_b8 v[26:27], v29, off
	s_or_b32 exec_lo, exec_lo, s5
	s_and_saveexec_b32 s2, s3
	s_cbranch_execz .LBB129_14
.LBB129_18:                             ;   in Loop: Header=BB129_4 Depth=1
	s_waitcnt vmcnt(0)
	v_and_b32_e32 v26, 0xff, v28
	s_delay_alu instid0(VALU_DEP_1)
	v_min_u16 v28, v26, v24
	v_add_co_u32 v26, vcc_lo, v14, s12
	v_add_co_ci_u32_e32 v27, vcc_lo, s13, v15, vcc_lo
	global_store_b8 v[26:27], v28, off
	s_or_b32 exec_lo, exec_lo, s2
	s_and_saveexec_b32 s2, s4
	s_cbranch_execz .LBB129_3
.LBB129_19:                             ;   in Loop: Header=BB129_4 Depth=1
	s_waitcnt vmcnt(0)
	v_and_b32_e32 v25, 0xff, v25
	s_delay_alu instid0(VALU_DEP_1)
	v_min_u16 v27, v25, v24
	v_add_co_u32 v25, vcc_lo, v8, s12
	v_add_co_ci_u32_e32 v26, vcc_lo, s13, v9, vcc_lo
	global_store_b8 v[25:26], v27, off
	s_branch .LBB129_3
.LBB129_20:
	s_mov_b32 s10, 0
.LBB129_21:
	s_delay_alu instid0(SALU_CYCLE_1)
	s_and_not1_b32 vcc_lo, exec_lo, s10
	s_cbranch_vccnz .LBB129_25
; %bb.22:
	v_dual_mov_b32 v1, 0 :: v_dual_lshlrev_b32 v0, 2, v0
	s_mov_b32 s2, exec_lo
	s_delay_alu instid0(VALU_DEP_1)
	v_cmpx_gt_i64_e64 s[8:9], v[0:1]
	s_cbranch_execz .LBB129_25
; %bb.23:
	s_load_b32 s0, s[0:1], 0xc94
	s_waitcnt vmcnt(0)
	v_and_b32_e32 v2, 0xff, v2
	s_mov_b32 s2, 0
	s_waitcnt lgkmcnt(0)
	s_and_b32 s0, s0, 0xffff
	s_delay_alu instid0(SALU_CYCLE_1)
	s_lshl_b32 s1, s0, 2
.LBB129_24:                             ; =>This Inner Loop Header: Depth=1
	v_add_co_u32 v3, vcc_lo, s6, v0
	v_add_co_ci_u32_e32 v4, vcc_lo, s7, v1, vcc_lo
	global_load_b32 v5, v[3:4], off
	v_add_co_u32 v3, vcc_lo, s14, v0
	v_add_co_ci_u32_e32 v4, vcc_lo, s15, v1, vcc_lo
	v_add_co_u32 v0, vcc_lo, s1, v0
	v_add_co_ci_u32_e32 v1, vcc_lo, 0, v1, vcc_lo
	s_delay_alu instid0(VALU_DEP_1) | instskip(SKIP_1) | instid1(VALU_DEP_1)
	v_cmp_le_i64_e32 vcc_lo, s[8:9], v[0:1]
	v_cmp_lt_u64_e64 s0, 0xffff, v[0:1]
	s_or_b32 s0, vcc_lo, s0
	s_delay_alu instid0(SALU_CYCLE_1) | instskip(NEXT) | instid1(SALU_CYCLE_1)
	s_and_b32 s0, exec_lo, s0
	s_or_b32 s2, s0, s2
	s_waitcnt vmcnt(0)
	v_lshrrev_b32_e32 v6, 8, v5
	v_lshrrev_b32_e32 v7, 16, v5
	v_and_b32_e32 v8, 0xff, v5
	v_lshrrev_b32_e32 v5, 24, v5
	s_delay_alu instid0(VALU_DEP_4) | instskip(NEXT) | instid1(VALU_DEP_4)
	v_and_b32_e32 v6, 0xff, v6
	v_and_b32_e32 v7, 0xff, v7
	s_delay_alu instid0(VALU_DEP_4) | instskip(NEXT) | instid1(VALU_DEP_4)
	v_min_u16 v8, v8, v2
	v_min_u16 v5, v5, v2
	s_delay_alu instid0(VALU_DEP_4) | instskip(NEXT) | instid1(VALU_DEP_4)
	v_min_u16 v6, v6, v2
	v_min_u16 v7, v7, v2
	s_delay_alu instid0(VALU_DEP_4) | instskip(NEXT) | instid1(VALU_DEP_3)
	v_and_b32_e32 v8, 0xffff, v8
	v_and_b32_e32 v6, 0xffff, v6
	s_delay_alu instid0(VALU_DEP_3) | instskip(NEXT) | instid1(VALU_DEP_2)
	v_lshlrev_b32_e32 v7, 16, v7
	v_lshlrev_b32_e32 v6, 8, v6
	s_delay_alu instid0(VALU_DEP_2) | instskip(NEXT) | instid1(VALU_DEP_1)
	v_lshl_or_b32 v5, v5, 24, v7
	v_or3_b32 v5, v5, v6, v8
	global_store_b32 v[3:4], v5, off
	s_and_not1_b32 exec_lo, exec_lo, s2
	s_cbranch_execnz .LBB129_24
.LBB129_25:
	s_nop 0
	s_sendmsg sendmsg(MSG_DEALLOC_VGPRS)
	s_endpgm
	.section	.rodata,"a",@progbits
	.p2align	6, 0x0
	.amdhsa_kernel _ZN2at6native12_GLOBAL__N_125multi_tensor_apply_kernelINS1_28TensorListScalarListMetadataIhLi2EEENS1_25BinaryOpScalarListFunctorIhLi2ELi1ELi1EEEJNS0_7minimumIhEEEEEvT_T0_DpT1_
		.amdhsa_group_segment_fixed_size 0
		.amdhsa_private_segment_fixed_size 0
		.amdhsa_kernarg_size 3464
		.amdhsa_user_sgpr_count 15
		.amdhsa_user_sgpr_dispatch_ptr 0
		.amdhsa_user_sgpr_queue_ptr 0
		.amdhsa_user_sgpr_kernarg_segment_ptr 1
		.amdhsa_user_sgpr_dispatch_id 0
		.amdhsa_user_sgpr_private_segment_size 0
		.amdhsa_wavefront_size32 1
		.amdhsa_uses_dynamic_stack 0
		.amdhsa_enable_private_segment 0
		.amdhsa_system_sgpr_workgroup_id_x 1
		.amdhsa_system_sgpr_workgroup_id_y 0
		.amdhsa_system_sgpr_workgroup_id_z 0
		.amdhsa_system_sgpr_workgroup_info 0
		.amdhsa_system_vgpr_workitem_id 0
		.amdhsa_next_free_vgpr 31
		.amdhsa_next_free_sgpr 22
		.amdhsa_reserve_vcc 1
		.amdhsa_float_round_mode_32 0
		.amdhsa_float_round_mode_16_64 0
		.amdhsa_float_denorm_mode_32 3
		.amdhsa_float_denorm_mode_16_64 3
		.amdhsa_dx10_clamp 1
		.amdhsa_ieee_mode 1
		.amdhsa_fp16_overflow 0
		.amdhsa_workgroup_processor_mode 1
		.amdhsa_memory_ordered 1
		.amdhsa_forward_progress 0
		.amdhsa_shared_vgpr_count 0
		.amdhsa_exception_fp_ieee_invalid_op 0
		.amdhsa_exception_fp_denorm_src 0
		.amdhsa_exception_fp_ieee_div_zero 0
		.amdhsa_exception_fp_ieee_overflow 0
		.amdhsa_exception_fp_ieee_underflow 0
		.amdhsa_exception_fp_ieee_inexact 0
		.amdhsa_exception_int_div_zero 0
	.end_amdhsa_kernel
	.section	.text._ZN2at6native12_GLOBAL__N_125multi_tensor_apply_kernelINS1_28TensorListScalarListMetadataIhLi2EEENS1_25BinaryOpScalarListFunctorIhLi2ELi1ELi1EEEJNS0_7minimumIhEEEEEvT_T0_DpT1_,"axG",@progbits,_ZN2at6native12_GLOBAL__N_125multi_tensor_apply_kernelINS1_28TensorListScalarListMetadataIhLi2EEENS1_25BinaryOpScalarListFunctorIhLi2ELi1ELi1EEEJNS0_7minimumIhEEEEEvT_T0_DpT1_,comdat
.Lfunc_end129:
	.size	_ZN2at6native12_GLOBAL__N_125multi_tensor_apply_kernelINS1_28TensorListScalarListMetadataIhLi2EEENS1_25BinaryOpScalarListFunctorIhLi2ELi1ELi1EEEJNS0_7minimumIhEEEEEvT_T0_DpT1_, .Lfunc_end129-_ZN2at6native12_GLOBAL__N_125multi_tensor_apply_kernelINS1_28TensorListScalarListMetadataIhLi2EEENS1_25BinaryOpScalarListFunctorIhLi2ELi1ELi1EEEJNS0_7minimumIhEEEEEvT_T0_DpT1_
                                        ; -- End function
	.section	.AMDGPU.csdata,"",@progbits
; Kernel info:
; codeLenInByte = 1484
; NumSgprs: 24
; NumVgprs: 31
; ScratchSize: 0
; MemoryBound: 0
; FloatMode: 240
; IeeeMode: 1
; LDSByteSize: 0 bytes/workgroup (compile time only)
; SGPRBlocks: 2
; VGPRBlocks: 3
; NumSGPRsForWavesPerEU: 24
; NumVGPRsForWavesPerEU: 31
; Occupancy: 16
; WaveLimiterHint : 0
; COMPUTE_PGM_RSRC2:SCRATCH_EN: 0
; COMPUTE_PGM_RSRC2:USER_SGPR: 15
; COMPUTE_PGM_RSRC2:TRAP_HANDLER: 0
; COMPUTE_PGM_RSRC2:TGID_X_EN: 1
; COMPUTE_PGM_RSRC2:TGID_Y_EN: 0
; COMPUTE_PGM_RSRC2:TGID_Z_EN: 0
; COMPUTE_PGM_RSRC2:TIDIG_COMP_CNT: 0
	.section	.text._ZN2at6native12_GLOBAL__N_125multi_tensor_apply_kernelINS1_28TensorListScalarListMetadataIaLi2EEENS1_25BinaryOpScalarListFunctorIaLi2ELi1ELi1EEEJNS0_7minimumIaEEEEEvT_T0_DpT1_,"axG",@progbits,_ZN2at6native12_GLOBAL__N_125multi_tensor_apply_kernelINS1_28TensorListScalarListMetadataIaLi2EEENS1_25BinaryOpScalarListFunctorIaLi2ELi1ELi1EEEJNS0_7minimumIaEEEEEvT_T0_DpT1_,comdat
	.globl	_ZN2at6native12_GLOBAL__N_125multi_tensor_apply_kernelINS1_28TensorListScalarListMetadataIaLi2EEENS1_25BinaryOpScalarListFunctorIaLi2ELi1ELi1EEEJNS0_7minimumIaEEEEEvT_T0_DpT1_ ; -- Begin function _ZN2at6native12_GLOBAL__N_125multi_tensor_apply_kernelINS1_28TensorListScalarListMetadataIaLi2EEENS1_25BinaryOpScalarListFunctorIaLi2ELi1ELi1EEEJNS0_7minimumIaEEEEEvT_T0_DpT1_
	.p2align	8
	.type	_ZN2at6native12_GLOBAL__N_125multi_tensor_apply_kernelINS1_28TensorListScalarListMetadataIaLi2EEENS1_25BinaryOpScalarListFunctorIaLi2ELi1ELi1EEEJNS0_7minimumIaEEEEEvT_T0_DpT1_,@function
_ZN2at6native12_GLOBAL__N_125multi_tensor_apply_kernelINS1_28TensorListScalarListMetadataIaLi2EEENS1_25BinaryOpScalarListFunctorIaLi2ELi1ELi1EEEJNS0_7minimumIaEEEEEvT_T0_DpT1_: ; @_ZN2at6native12_GLOBAL__N_125multi_tensor_apply_kernelINS1_28TensorListScalarListMetadataIaLi2EEENS1_25BinaryOpScalarListFunctorIaLi2ELi1ELi1EEEJNS0_7minimumIaEEEEEvT_T0_DpT1_
; %bb.0:
	v_mov_b32_e32 v1, s15
	s_mul_hi_u32 s3, s15, 3
	global_load_u8 v3, v1, s[0:1] offset:1600
	s_waitcnt vmcnt(0)
	v_add_co_u32 v1, s2, s0, v3
	s_delay_alu instid0(VALU_DEP_1)
	v_add_co_ci_u32_e64 v2, null, s1, 0, s2
	s_add_u32 s2, s0, s15
	s_mul_i32 s15, s15, 3
	s_addc_u32 s4, s1, 0
	global_load_u8 v1, v[1:2], off offset:1536
	s_add_u32 s2, s2, s15
	s_addc_u32 s3, s4, s3
	v_readfirstlane_b32 s5, v3
	s_load_b32 s6, s[2:3], 0x780
	s_delay_alu instid0(VALU_DEP_1)
	s_lshl_b32 s7, s5, 3
	s_clause 0x2
	s_load_b64 s[4:5], s[0:1], s7 offset:0x0
	s_load_b64 s[2:3], s[0:1], s7 offset:0x200
	s_load_b64 s[8:9], s[0:1], s7 offset:0x400
	s_waitcnt lgkmcnt(0)
	s_ashr_i32 s7, s6, 31
	s_delay_alu instid0(SALU_CYCLE_1) | instskip(NEXT) | instid1(SALU_CYCLE_1)
	s_lshl_b64 s[12:13], s[6:7], 16
	s_add_u32 s6, s4, s12
	s_addc_u32 s7, s5, s13
	s_add_u32 s14, s2, s12
	s_addc_u32 s15, s3, s13
	s_or_b64 s[10:11], s[8:9], s[6:7]
	s_delay_alu instid0(SALU_CYCLE_1) | instskip(NEXT) | instid1(SALU_CYCLE_1)
	s_or_b32 s10, s14, s10
	s_and_b32 s10, s10, 3
	s_sub_u32 s8, s8, s12
	s_subb_u32 s9, s9, s13
	s_cmp_eq_u32 s10, 0
	s_mov_b32 s10, -1
	s_waitcnt vmcnt(0)
	v_readfirstlane_b32 s16, v1
	s_cbranch_scc1 .LBB130_21
; %bb.1:
	v_cmp_lt_i64_e64 s10, s[8:9], 1
	s_delay_alu instid0(VALU_DEP_1)
	s_and_b32 vcc_lo, exec_lo, s10
	s_cbranch_vccnz .LBB130_20
; %bb.2:
	s_load_b32 s10, s[0:1], 0xc94
	v_add_co_u32 v15, s11, s12, v0
	s_delay_alu instid0(VALU_DEP_1) | instskip(SKIP_1) | instid1(VALU_DEP_3)
	v_add_co_ci_u32_e64 v16, null, s13, 0, s11
	v_cmp_gt_u64_e64 s11, 0x10000, s[8:9]
	v_add_co_u32 v1, vcc_lo, s4, v15
	s_delay_alu instid0(VALU_DEP_3)
	v_add_co_ci_u32_e32 v2, vcc_lo, s5, v16, vcc_lo
	v_add_co_u32 v3, vcc_lo, s2, v15
	v_add_co_ci_u32_e32 v4, vcc_lo, s3, v16, vcc_lo
	s_waitcnt lgkmcnt(0)
	s_and_b32 s18, s10, 0xffff
	s_and_b32 s10, s11, exec_lo
	s_mul_i32 s20, s18, 3
	s_cselect_b32 s11, s9, 0
	s_cselect_b32 s10, s8, 0x10000
	s_lshl_b32 s19, s18, 1
	s_lshl_b32 s17, s18, 2
	s_add_u32 s21, s12, s20
	s_addc_u32 s22, s13, 0
	v_add_co_u32 v7, s21, s21, v0
	s_delay_alu instid0(VALU_DEP_1) | instskip(SKIP_1) | instid1(VALU_DEP_2)
	v_add_co_ci_u32_e64 v8, null, s22, 0, s21
	s_add_u32 s12, s12, s19
	v_add_co_u32 v5, vcc_lo, s4, v7
	s_addc_u32 s13, s13, 0
	v_add_co_u32 v13, s12, s12, v0
	v_add_co_ci_u32_e32 v6, vcc_lo, s5, v8, vcc_lo
	v_add_co_u32 v7, vcc_lo, s2, v7
	v_add_co_ci_u32_e64 v14, null, s13, 0, s12
	v_add_co_ci_u32_e32 v8, vcc_lo, s3, v8, vcc_lo
	v_add_co_u32 v11, vcc_lo, s4, v13
	s_delay_alu instid0(VALU_DEP_3)
	v_add_co_ci_u32_e32 v12, vcc_lo, s5, v14, vcc_lo
	v_add_co_u32 v13, vcc_lo, s2, v13
	v_add_co_ci_u32_e32 v14, vcc_lo, s3, v14, vcc_lo
	v_add_co_u32 v19, vcc_lo, v15, s18
	v_add_co_ci_u32_e32 v20, vcc_lo, 0, v16, vcc_lo
	v_add_co_u32 v9, s12, s20, v0
	s_delay_alu instid0(VALU_DEP_3) | instskip(NEXT) | instid1(VALU_DEP_3)
	v_add_co_u32 v17, vcc_lo, s4, v19
	v_add_co_ci_u32_e32 v18, vcc_lo, s5, v20, vcc_lo
	v_add_co_ci_u32_e64 v10, null, 0, 0, s12
	v_add_co_u32 v15, s12, s19, v0
	v_add_co_u32 v19, vcc_lo, s2, v19
	v_add_co_u32 v21, s2, v0, s18
	v_add_co_ci_u32_e64 v16, null, 0, 0, s12
	v_add_co_ci_u32_e32 v20, vcc_lo, s3, v20, vcc_lo
	v_add_co_ci_u32_e64 v22, null, 0, 0, s2
	s_mov_b64 s[12:13], 0
	s_bfe_i32 s18, s16, 0x80000
	s_branch .LBB130_4
.LBB130_3:                              ;   in Loop: Header=BB130_4 Depth=1
	s_or_b32 exec_lo, exec_lo, s2
	s_add_u32 s12, s12, s17
	s_addc_u32 s13, s13, 0
	s_delay_alu instid0(SALU_CYCLE_1) | instskip(SKIP_1) | instid1(VALU_DEP_1)
	v_cmp_lt_i64_e64 s2, s[12:13], s[8:9]
	v_cmp_gt_u64_e64 s3, 0x10000, s[12:13]
	s_and_b32 s2, s2, s3
	s_delay_alu instid0(SALU_CYCLE_1)
	s_and_b32 vcc_lo, exec_lo, s2
	s_cbranch_vccz .LBB130_20
.LBB130_4:                              ; =>This Inner Loop Header: Depth=1
	s_waitcnt vmcnt(0)
	v_add_co_u32 v23, s2, v0, s12
	s_delay_alu instid0(VALU_DEP_1) | instskip(NEXT) | instid1(VALU_DEP_1)
	v_add_co_ci_u32_e64 v24, null, 0, s13, s2
	v_cmp_gt_u64_e32 vcc_lo, s[10:11], v[23:24]
	v_mov_b32_e32 v24, 0
	s_and_saveexec_b32 s3, vcc_lo
	s_cbranch_execz .LBB130_6
; %bb.5:                                ;   in Loop: Header=BB130_4 Depth=1
	v_add_co_u32 v23, s2, v1, s12
	s_delay_alu instid0(VALU_DEP_1)
	v_add_co_ci_u32_e64 v24, s2, s13, v2, s2
	global_load_u8 v24, v[23:24], off
.LBB130_6:                              ;   in Loop: Header=BB130_4 Depth=1
	s_or_b32 exec_lo, exec_lo, s3
	v_add_co_u32 v25, s2, v21, s12
	s_delay_alu instid0(VALU_DEP_1) | instskip(NEXT) | instid1(VALU_DEP_1)
	v_add_co_ci_u32_e64 v26, s2, s13, v22, s2
	v_cmp_gt_u64_e64 s2, s[10:11], v[25:26]
	v_mov_b32_e32 v25, 0
	s_delay_alu instid0(VALU_DEP_2)
	s_and_saveexec_b32 s4, s2
	s_cbranch_execz .LBB130_8
; %bb.7:                                ;   in Loop: Header=BB130_4 Depth=1
	v_add_co_u32 v25, s3, v17, s12
	s_delay_alu instid0(VALU_DEP_1)
	v_add_co_ci_u32_e64 v26, s3, s13, v18, s3
	global_load_u8 v25, v[25:26], off
.LBB130_8:                              ;   in Loop: Header=BB130_4 Depth=1
	s_or_b32 exec_lo, exec_lo, s4
	v_add_co_u32 v26, s3, v15, s12
	s_delay_alu instid0(VALU_DEP_1) | instskip(SKIP_1) | instid1(VALU_DEP_2)
	v_add_co_ci_u32_e64 v27, s3, s13, v16, s3
	v_mov_b32_e32 v23, 0
	v_cmp_gt_u64_e64 s3, s[10:11], v[26:27]
	v_mov_b32_e32 v26, 0
	s_delay_alu instid0(VALU_DEP_2)
	s_and_saveexec_b32 s5, s3
	s_cbranch_execz .LBB130_10
; %bb.9:                                ;   in Loop: Header=BB130_4 Depth=1
	v_add_co_u32 v26, s4, v11, s12
	s_delay_alu instid0(VALU_DEP_1)
	v_add_co_ci_u32_e64 v27, s4, s13, v12, s4
	global_load_u8 v26, v[26:27], off
.LBB130_10:                             ;   in Loop: Header=BB130_4 Depth=1
	s_or_b32 exec_lo, exec_lo, s5
	v_add_co_u32 v27, s4, v9, s12
	s_delay_alu instid0(VALU_DEP_1) | instskip(NEXT) | instid1(VALU_DEP_1)
	v_add_co_ci_u32_e64 v28, s4, s13, v10, s4
	v_cmp_gt_u64_e64 s4, s[10:11], v[27:28]
	s_delay_alu instid0(VALU_DEP_1)
	s_and_saveexec_b32 s19, s4
	s_cbranch_execnz .LBB130_15
; %bb.11:                               ;   in Loop: Header=BB130_4 Depth=1
	s_or_b32 exec_lo, exec_lo, s19
	s_and_saveexec_b32 s5, vcc_lo
	s_cbranch_execnz .LBB130_16
.LBB130_12:                             ;   in Loop: Header=BB130_4 Depth=1
	s_or_b32 exec_lo, exec_lo, s5
	s_and_saveexec_b32 s5, s2
	s_cbranch_execnz .LBB130_17
.LBB130_13:                             ;   in Loop: Header=BB130_4 Depth=1
	s_or_b32 exec_lo, exec_lo, s5
	s_and_saveexec_b32 s2, s3
	s_cbranch_execnz .LBB130_18
.LBB130_14:                             ;   in Loop: Header=BB130_4 Depth=1
	s_or_b32 exec_lo, exec_lo, s2
	s_and_saveexec_b32 s2, s4
	s_cbranch_execz .LBB130_3
	s_branch .LBB130_19
.LBB130_15:                             ;   in Loop: Header=BB130_4 Depth=1
	v_add_co_u32 v27, s5, v5, s12
	s_delay_alu instid0(VALU_DEP_1)
	v_add_co_ci_u32_e64 v28, s5, s13, v6, s5
	global_load_u8 v23, v[27:28], off
	s_or_b32 exec_lo, exec_lo, s19
	s_and_saveexec_b32 s5, vcc_lo
	s_cbranch_execz .LBB130_12
.LBB130_16:                             ;   in Loop: Header=BB130_4 Depth=1
	s_waitcnt vmcnt(0)
	v_bfe_i32 v24, v24, 0, 8
	v_add_co_u32 v27, vcc_lo, v3, s12
	v_add_co_ci_u32_e32 v28, vcc_lo, s13, v4, vcc_lo
	s_delay_alu instid0(VALU_DEP_3)
	v_min_i16 v24, v24, s18
	global_store_b8 v[27:28], v24, off
	s_or_b32 exec_lo, exec_lo, s5
	s_and_saveexec_b32 s5, s2
	s_cbranch_execz .LBB130_13
.LBB130_17:                             ;   in Loop: Header=BB130_4 Depth=1
	s_waitcnt vmcnt(0)
	v_bfe_i32 v24, v25, 0, 8
	s_delay_alu instid0(VALU_DEP_1)
	v_min_i16 v27, v24, s18
	v_add_co_u32 v24, vcc_lo, v19, s12
	v_add_co_ci_u32_e32 v25, vcc_lo, s13, v20, vcc_lo
	global_store_b8 v[24:25], v27, off
	s_or_b32 exec_lo, exec_lo, s5
	s_and_saveexec_b32 s2, s3
	s_cbranch_execz .LBB130_14
.LBB130_18:                             ;   in Loop: Header=BB130_4 Depth=1
	s_waitcnt vmcnt(0)
	v_bfe_i32 v24, v26, 0, 8
	s_delay_alu instid0(VALU_DEP_1)
	v_min_i16 v26, v24, s18
	v_add_co_u32 v24, vcc_lo, v13, s12
	v_add_co_ci_u32_e32 v25, vcc_lo, s13, v14, vcc_lo
	global_store_b8 v[24:25], v26, off
	s_or_b32 exec_lo, exec_lo, s2
	s_and_saveexec_b32 s2, s4
	s_cbranch_execz .LBB130_3
.LBB130_19:                             ;   in Loop: Header=BB130_4 Depth=1
	s_waitcnt vmcnt(0)
	v_bfe_i32 v23, v23, 0, 8
	s_delay_alu instid0(VALU_DEP_1)
	v_min_i16 v25, v23, s18
	v_add_co_u32 v23, vcc_lo, v7, s12
	v_add_co_ci_u32_e32 v24, vcc_lo, s13, v8, vcc_lo
	global_store_b8 v[23:24], v25, off
	s_branch .LBB130_3
.LBB130_20:
	s_mov_b32 s10, 0
.LBB130_21:
	s_delay_alu instid0(SALU_CYCLE_1)
	s_and_not1_b32 vcc_lo, exec_lo, s10
	s_cbranch_vccnz .LBB130_25
; %bb.22:
	v_dual_mov_b32 v1, 0 :: v_dual_lshlrev_b32 v0, 2, v0
	s_mov_b32 s2, exec_lo
	s_delay_alu instid0(VALU_DEP_1)
	v_cmpx_gt_i64_e64 s[8:9], v[0:1]
	s_cbranch_execz .LBB130_25
; %bb.23:
	s_load_b32 s0, s[0:1], 0xc94
	s_mov_b32 s1, 0
	s_bfe_i32 s3, s16, 0x80000
	s_waitcnt lgkmcnt(0)
	s_and_b32 s0, s0, 0xffff
	s_delay_alu instid0(SALU_CYCLE_1)
	s_lshl_b32 s2, s0, 2
.LBB130_24:                             ; =>This Inner Loop Header: Depth=1
	v_add_co_u32 v2, vcc_lo, s6, v0
	v_add_co_ci_u32_e32 v3, vcc_lo, s7, v1, vcc_lo
	global_load_b32 v4, v[2:3], off
	v_add_co_u32 v2, vcc_lo, s14, v0
	v_add_co_ci_u32_e32 v3, vcc_lo, s15, v1, vcc_lo
	v_add_co_u32 v0, vcc_lo, s2, v0
	v_add_co_ci_u32_e32 v1, vcc_lo, 0, v1, vcc_lo
	s_delay_alu instid0(VALU_DEP_1) | instskip(SKIP_1) | instid1(VALU_DEP_1)
	v_cmp_le_i64_e32 vcc_lo, s[8:9], v[0:1]
	v_cmp_lt_u64_e64 s0, 0xffff, v[0:1]
	s_or_b32 s0, vcc_lo, s0
	s_delay_alu instid0(SALU_CYCLE_1) | instskip(NEXT) | instid1(SALU_CYCLE_1)
	s_and_b32 s0, exec_lo, s0
	s_or_b32 s1, s0, s1
	s_waitcnt vmcnt(0)
	v_lshrrev_b32_e32 v5, 16, v4
	v_lshrrev_b32_e32 v6, 8, v4
	;; [unrolled: 1-line block ×3, first 2 shown]
	v_bfe_i32 v4, v4, 0, 8
	s_delay_alu instid0(VALU_DEP_4) | instskip(NEXT) | instid1(VALU_DEP_4)
	v_bfe_i32 v5, v5, 0, 8
	v_bfe_i32 v6, v6, 0, 8
	s_delay_alu instid0(VALU_DEP_4) | instskip(NEXT) | instid1(VALU_DEP_4)
	v_bfe_i32 v7, v7, 0, 8
	v_min_i16 v4, v4, s3
	s_delay_alu instid0(VALU_DEP_4) | instskip(NEXT) | instid1(VALU_DEP_4)
	v_min_i16 v5, v5, s3
	v_min_i16 v6, v6, s3
	s_delay_alu instid0(VALU_DEP_4) | instskip(NEXT) | instid1(VALU_DEP_4)
	v_min_i16 v7, v7, s3
	v_and_b32_e32 v4, 0xff, v4
	s_delay_alu instid0(VALU_DEP_4) | instskip(NEXT) | instid1(VALU_DEP_4)
	v_and_b32_e32 v5, 0xff, v5
	v_and_b32_e32 v6, 0xff, v6
	s_delay_alu instid0(VALU_DEP_2) | instskip(NEXT) | instid1(VALU_DEP_2)
	v_lshlrev_b32_e32 v5, 16, v5
	v_lshlrev_b32_e32 v6, 8, v6
	s_delay_alu instid0(VALU_DEP_2) | instskip(NEXT) | instid1(VALU_DEP_1)
	v_lshl_or_b32 v5, v7, 24, v5
	v_or3_b32 v4, v5, v6, v4
	global_store_b32 v[2:3], v4, off
	s_and_not1_b32 exec_lo, exec_lo, s1
	s_cbranch_execnz .LBB130_24
.LBB130_25:
	s_nop 0
	s_sendmsg sendmsg(MSG_DEALLOC_VGPRS)
	s_endpgm
	.section	.rodata,"a",@progbits
	.p2align	6, 0x0
	.amdhsa_kernel _ZN2at6native12_GLOBAL__N_125multi_tensor_apply_kernelINS1_28TensorListScalarListMetadataIaLi2EEENS1_25BinaryOpScalarListFunctorIaLi2ELi1ELi1EEEJNS0_7minimumIaEEEEEvT_T0_DpT1_
		.amdhsa_group_segment_fixed_size 0
		.amdhsa_private_segment_fixed_size 0
		.amdhsa_kernarg_size 3464
		.amdhsa_user_sgpr_count 15
		.amdhsa_user_sgpr_dispatch_ptr 0
		.amdhsa_user_sgpr_queue_ptr 0
		.amdhsa_user_sgpr_kernarg_segment_ptr 1
		.amdhsa_user_sgpr_dispatch_id 0
		.amdhsa_user_sgpr_private_segment_size 0
		.amdhsa_wavefront_size32 1
		.amdhsa_uses_dynamic_stack 0
		.amdhsa_enable_private_segment 0
		.amdhsa_system_sgpr_workgroup_id_x 1
		.amdhsa_system_sgpr_workgroup_id_y 0
		.amdhsa_system_sgpr_workgroup_id_z 0
		.amdhsa_system_sgpr_workgroup_info 0
		.amdhsa_system_vgpr_workitem_id 0
		.amdhsa_next_free_vgpr 29
		.amdhsa_next_free_sgpr 23
		.amdhsa_reserve_vcc 1
		.amdhsa_float_round_mode_32 0
		.amdhsa_float_round_mode_16_64 0
		.amdhsa_float_denorm_mode_32 3
		.amdhsa_float_denorm_mode_16_64 3
		.amdhsa_dx10_clamp 1
		.amdhsa_ieee_mode 1
		.amdhsa_fp16_overflow 0
		.amdhsa_workgroup_processor_mode 1
		.amdhsa_memory_ordered 1
		.amdhsa_forward_progress 0
		.amdhsa_shared_vgpr_count 0
		.amdhsa_exception_fp_ieee_invalid_op 0
		.amdhsa_exception_fp_denorm_src 0
		.amdhsa_exception_fp_ieee_div_zero 0
		.amdhsa_exception_fp_ieee_overflow 0
		.amdhsa_exception_fp_ieee_underflow 0
		.amdhsa_exception_fp_ieee_inexact 0
		.amdhsa_exception_int_div_zero 0
	.end_amdhsa_kernel
	.section	.text._ZN2at6native12_GLOBAL__N_125multi_tensor_apply_kernelINS1_28TensorListScalarListMetadataIaLi2EEENS1_25BinaryOpScalarListFunctorIaLi2ELi1ELi1EEEJNS0_7minimumIaEEEEEvT_T0_DpT1_,"axG",@progbits,_ZN2at6native12_GLOBAL__N_125multi_tensor_apply_kernelINS1_28TensorListScalarListMetadataIaLi2EEENS1_25BinaryOpScalarListFunctorIaLi2ELi1ELi1EEEJNS0_7minimumIaEEEEEvT_T0_DpT1_,comdat
.Lfunc_end130:
	.size	_ZN2at6native12_GLOBAL__N_125multi_tensor_apply_kernelINS1_28TensorListScalarListMetadataIaLi2EEENS1_25BinaryOpScalarListFunctorIaLi2ELi1ELi1EEEJNS0_7minimumIaEEEEEvT_T0_DpT1_, .Lfunc_end130-_ZN2at6native12_GLOBAL__N_125multi_tensor_apply_kernelINS1_28TensorListScalarListMetadataIaLi2EEENS1_25BinaryOpScalarListFunctorIaLi2ELi1ELi1EEEJNS0_7minimumIaEEEEEvT_T0_DpT1_
                                        ; -- End function
	.section	.AMDGPU.csdata,"",@progbits
; Kernel info:
; codeLenInByte = 1504
; NumSgprs: 25
; NumVgprs: 29
; ScratchSize: 0
; MemoryBound: 0
; FloatMode: 240
; IeeeMode: 1
; LDSByteSize: 0 bytes/workgroup (compile time only)
; SGPRBlocks: 3
; VGPRBlocks: 3
; NumSGPRsForWavesPerEU: 25
; NumVGPRsForWavesPerEU: 29
; Occupancy: 16
; WaveLimiterHint : 0
; COMPUTE_PGM_RSRC2:SCRATCH_EN: 0
; COMPUTE_PGM_RSRC2:USER_SGPR: 15
; COMPUTE_PGM_RSRC2:TRAP_HANDLER: 0
; COMPUTE_PGM_RSRC2:TGID_X_EN: 1
; COMPUTE_PGM_RSRC2:TGID_Y_EN: 0
; COMPUTE_PGM_RSRC2:TGID_Z_EN: 0
; COMPUTE_PGM_RSRC2:TIDIG_COMP_CNT: 0
	.section	.text._ZN2at6native12_GLOBAL__N_125multi_tensor_apply_kernelINS1_28TensorListScalarListMetadataIiLi2EEENS1_25BinaryOpScalarListFunctorIiLi2ELi1ELi1EEEJNS0_7minimumIiEEEEEvT_T0_DpT1_,"axG",@progbits,_ZN2at6native12_GLOBAL__N_125multi_tensor_apply_kernelINS1_28TensorListScalarListMetadataIiLi2EEENS1_25BinaryOpScalarListFunctorIiLi2ELi1ELi1EEEJNS0_7minimumIiEEEEEvT_T0_DpT1_,comdat
	.globl	_ZN2at6native12_GLOBAL__N_125multi_tensor_apply_kernelINS1_28TensorListScalarListMetadataIiLi2EEENS1_25BinaryOpScalarListFunctorIiLi2ELi1ELi1EEEJNS0_7minimumIiEEEEEvT_T0_DpT1_ ; -- Begin function _ZN2at6native12_GLOBAL__N_125multi_tensor_apply_kernelINS1_28TensorListScalarListMetadataIiLi2EEENS1_25BinaryOpScalarListFunctorIiLi2ELi1ELi1EEEJNS0_7minimumIiEEEEEvT_T0_DpT1_
	.p2align	8
	.type	_ZN2at6native12_GLOBAL__N_125multi_tensor_apply_kernelINS1_28TensorListScalarListMetadataIiLi2EEENS1_25BinaryOpScalarListFunctorIiLi2ELi1ELi1EEEJNS0_7minimumIiEEEEEvT_T0_DpT1_,@function
_ZN2at6native12_GLOBAL__N_125multi_tensor_apply_kernelINS1_28TensorListScalarListMetadataIiLi2EEENS1_25BinaryOpScalarListFunctorIiLi2ELi1ELi1EEEJNS0_7minimumIiEEEEEvT_T0_DpT1_: ; @_ZN2at6native12_GLOBAL__N_125multi_tensor_apply_kernelINS1_28TensorListScalarListMetadataIiLi2EEENS1_25BinaryOpScalarListFunctorIiLi2ELi1ELi1EEEJNS0_7minimumIiEEEEEvT_T0_DpT1_
; %bb.0:
	v_mov_b32_e32 v1, s15
	s_add_u32 s2, s0, s15
	s_mul_hi_u32 s3, s15, 3
	s_mul_i32 s15, s15, 3
	s_addc_u32 s4, s1, 0
	global_load_u8 v1, v1, s[0:1] offset:1792
	s_add_u32 s2, s2, s15
	s_addc_u32 s3, s4, s3
	s_mov_b32 s13, 0
	s_load_b32 s6, s[2:3], 0x840
	s_waitcnt lgkmcnt(0)
	s_ashr_i32 s7, s6, 31
	s_waitcnt vmcnt(0)
	v_readfirstlane_b32 s2, v1
	v_lshlrev_b32_e32 v1, 2, v1
	s_delay_alu instid0(VALU_DEP_2)
	s_lshl_b32 s8, s2, 3
	s_clause 0x2
	s_load_b64 s[10:11], s[0:1], s8 offset:0x400
	s_load_b64 s[4:5], s[0:1], s8 offset:0x0
	;; [unrolled: 1-line block ×3, first 2 shown]
	s_add_u32 s8, s0, s8
	s_addc_u32 s9, s1, 0
	v_sub_co_u32 v1, s8, s8, v1
	s_delay_alu instid0(VALU_DEP_1) | instskip(NEXT) | instid1(VALU_DEP_2)
	v_sub_co_ci_u32_e64 v2, null, s9, 0, s8
	v_readfirstlane_b32 s8, v1
	s_delay_alu instid0(VALU_DEP_2)
	v_readfirstlane_b32 s9, v2
	s_load_b32 s14, s[8:9], 0x600
	s_lshl_b64 s[8:9], s[6:7], 18
	s_waitcnt lgkmcnt(0)
	s_add_u32 s15, s4, s8
	s_addc_u32 s16, s5, s9
	s_and_b32 s12, s15, 15
	s_add_u32 s17, s2, s8
	s_addc_u32 s18, s3, s9
	s_and_b32 s19, s10, 3
	s_and_b32 s20, s17, 15
	s_or_b32 s12, s12, s19
	s_lshl_b64 s[6:7], s[6:7], 16
	s_or_b32 s12, s20, s12
	s_sub_u32 s6, s10, s6
	s_subb_u32 s7, s11, s7
	s_cmp_eq_u64 s[12:13], 0
	s_mov_b32 s10, -1
	s_cbranch_scc1 .LBB131_21
; %bb.1:
	v_cmp_lt_i64_e64 s10, s[6:7], 1
	s_delay_alu instid0(VALU_DEP_1)
	s_and_b32 vcc_lo, exec_lo, s10
	s_cbranch_vccnz .LBB131_20
; %bb.2:
	s_load_b32 s10, s[0:1], 0xd54
	v_dual_mov_b32 v10, 0 :: v_dual_lshlrev_b32 v9, 2, v0
	v_cmp_gt_u64_e64 s11, 0x10000, s[6:7]
	s_delay_alu instid0(VALU_DEP_2) | instskip(NEXT) | instid1(VALU_DEP_1)
	v_add_co_u32 v1, s12, s4, v9
	v_add_co_ci_u32_e64 v2, null, s5, 0, s12
	v_add_co_u32 v3, s12, s2, v9
	s_delay_alu instid0(VALU_DEP_1)
	v_add_co_ci_u32_e64 v4, null, s3, 0, s12
	s_waitcnt lgkmcnt(0)
	s_and_b32 s12, s10, 0xffff
	s_and_b32 s10, s11, exec_lo
	v_mad_u64_u32 v[7:8], null, s12, 12, v[9:10]
	s_cselect_b32 s11, s7, 0
	s_cselect_b32 s10, s6, 0x10000
	s_mul_i32 s19, s12, 3
	s_lshl_b32 s20, s12, 3
	s_lshl_b32 s13, s12, 1
	v_add_co_u32 v14, s20, s20, v9
	v_add_co_u32 v9, s19, s19, v0
	s_delay_alu instid0(VALU_DEP_1)
	v_add_co_ci_u32_e64 v10, null, 0, 0, s19
	v_add_co_u32 v13, s19, v0, s12
	v_add_co_u32 v5, vcc_lo, s4, v7
	v_add_co_ci_u32_e32 v6, vcc_lo, s5, v8, vcc_lo
	v_add_co_u32 v7, vcc_lo, s2, v7
	v_add_co_ci_u32_e64 v15, null, 0, 0, s20
	v_lshlrev_b32_e32 v21, 2, v13
	v_add_co_ci_u32_e32 v8, vcc_lo, s3, v8, vcc_lo
	v_add_co_u32 v11, vcc_lo, s4, v14
	s_delay_alu instid0(VALU_DEP_4)
	v_add_co_ci_u32_e32 v12, vcc_lo, s5, v15, vcc_lo
	v_add_co_u32 v14, vcc_lo, s2, v14
	v_add_co_u32 v17, s13, s13, v0
	v_add_co_u32 v19, s4, s4, v21
	;; [unrolled: 1-line block ×3, first 2 shown]
	v_add_co_ci_u32_e32 v15, vcc_lo, s3, v15, vcc_lo
	v_add_co_ci_u32_e64 v16, null, 0, 0, s19
	v_add_co_ci_u32_e64 v18, null, 0, 0, s13
	;; [unrolled: 1-line block ×4, first 2 shown]
	s_lshl_b32 s19, s12, 2
	s_lshl_b32 s20, s12, 4
	s_mov_b64 s[12:13], 0
	s_branch .LBB131_4
.LBB131_3:                              ;   in Loop: Header=BB131_4 Depth=1
	s_or_b32 exec_lo, exec_lo, s2
	v_add_co_u32 v1, vcc_lo, v1, s20
	v_add_co_ci_u32_e32 v2, vcc_lo, 0, v2, vcc_lo
	v_add_co_u32 v3, vcc_lo, v3, s20
	v_add_co_ci_u32_e32 v4, vcc_lo, 0, v4, vcc_lo
	;; [unrolled: 2-line block ×5, first 2 shown]
	s_add_u32 s12, s12, s19
	v_add_co_u32 v14, vcc_lo, v14, s20
	s_addc_u32 s13, s13, 0
	v_add_co_ci_u32_e32 v15, vcc_lo, 0, v15, vcc_lo
	v_cmp_lt_i64_e64 s2, s[12:13], s[6:7]
	v_cmp_gt_u64_e64 s3, 0x10000, s[12:13]
	v_add_co_u32 v19, vcc_lo, v19, s20
	v_add_co_ci_u32_e32 v20, vcc_lo, 0, v20, vcc_lo
	v_add_co_u32 v21, vcc_lo, v21, s20
	v_add_co_ci_u32_e32 v22, vcc_lo, 0, v22, vcc_lo
	s_and_b32 s2, s2, s3
	s_delay_alu instid0(SALU_CYCLE_1)
	s_and_b32 vcc_lo, exec_lo, s2
	s_cbranch_vccz .LBB131_20
.LBB131_4:                              ; =>This Inner Loop Header: Depth=1
	s_waitcnt vmcnt(0)
	v_add_co_u32 v23, s2, v0, s12
	s_delay_alu instid0(VALU_DEP_1) | instskip(NEXT) | instid1(VALU_DEP_1)
	v_add_co_ci_u32_e64 v24, null, 0, s13, s2
	v_cmp_gt_u64_e32 vcc_lo, s[10:11], v[23:24]
	v_mov_b32_e32 v23, 0
	s_and_saveexec_b32 s3, vcc_lo
	s_cbranch_execz .LBB131_6
; %bb.5:                                ;   in Loop: Header=BB131_4 Depth=1
	v_add_co_u32 v23, s2, v1, s8
	s_delay_alu instid0(VALU_DEP_1)
	v_add_co_ci_u32_e64 v24, s2, s9, v2, s2
	global_load_b32 v23, v[23:24], off
.LBB131_6:                              ;   in Loop: Header=BB131_4 Depth=1
	s_or_b32 exec_lo, exec_lo, s3
	v_add_co_u32 v24, s2, v13, s12
	s_delay_alu instid0(VALU_DEP_1) | instskip(NEXT) | instid1(VALU_DEP_1)
	v_add_co_ci_u32_e64 v25, s2, s13, v16, s2
	v_cmp_gt_u64_e64 s2, s[10:11], v[24:25]
	v_mov_b32_e32 v25, 0
	s_delay_alu instid0(VALU_DEP_2)
	s_and_saveexec_b32 s4, s2
	s_cbranch_execz .LBB131_8
; %bb.7:                                ;   in Loop: Header=BB131_4 Depth=1
	v_add_co_u32 v24, s3, v19, s8
	s_delay_alu instid0(VALU_DEP_1)
	v_add_co_ci_u32_e64 v25, s3, s9, v20, s3
	global_load_b32 v25, v[24:25], off
.LBB131_8:                              ;   in Loop: Header=BB131_4 Depth=1
	s_or_b32 exec_lo, exec_lo, s4
	v_add_co_u32 v26, s3, v17, s12
	s_delay_alu instid0(VALU_DEP_1) | instskip(SKIP_1) | instid1(VALU_DEP_2)
	v_add_co_ci_u32_e64 v27, s3, s13, v18, s3
	v_mov_b32_e32 v24, 0
	v_cmp_gt_u64_e64 s3, s[10:11], v[26:27]
	v_mov_b32_e32 v26, 0
	s_delay_alu instid0(VALU_DEP_2)
	s_and_saveexec_b32 s5, s3
	s_cbranch_execz .LBB131_10
; %bb.9:                                ;   in Loop: Header=BB131_4 Depth=1
	v_add_co_u32 v26, s4, v11, s8
	s_delay_alu instid0(VALU_DEP_1)
	v_add_co_ci_u32_e64 v27, s4, s9, v12, s4
	global_load_b32 v26, v[26:27], off
.LBB131_10:                             ;   in Loop: Header=BB131_4 Depth=1
	s_or_b32 exec_lo, exec_lo, s5
	v_add_co_u32 v27, s4, v9, s12
	s_delay_alu instid0(VALU_DEP_1) | instskip(NEXT) | instid1(VALU_DEP_1)
	v_add_co_ci_u32_e64 v28, s4, s13, v10, s4
	v_cmp_gt_u64_e64 s4, s[10:11], v[27:28]
	s_delay_alu instid0(VALU_DEP_1)
	s_and_saveexec_b32 s21, s4
	s_cbranch_execnz .LBB131_15
; %bb.11:                               ;   in Loop: Header=BB131_4 Depth=1
	s_or_b32 exec_lo, exec_lo, s21
	s_and_saveexec_b32 s5, vcc_lo
	s_cbranch_execnz .LBB131_16
.LBB131_12:                             ;   in Loop: Header=BB131_4 Depth=1
	s_or_b32 exec_lo, exec_lo, s5
	s_and_saveexec_b32 s5, s2
	s_cbranch_execnz .LBB131_17
.LBB131_13:                             ;   in Loop: Header=BB131_4 Depth=1
	s_or_b32 exec_lo, exec_lo, s5
	s_and_saveexec_b32 s2, s3
	s_cbranch_execnz .LBB131_18
.LBB131_14:                             ;   in Loop: Header=BB131_4 Depth=1
	s_or_b32 exec_lo, exec_lo, s2
	s_and_saveexec_b32 s2, s4
	s_cbranch_execz .LBB131_3
	s_branch .LBB131_19
.LBB131_15:                             ;   in Loop: Header=BB131_4 Depth=1
	v_add_co_u32 v27, s5, v5, s8
	s_delay_alu instid0(VALU_DEP_1)
	v_add_co_ci_u32_e64 v28, s5, s9, v6, s5
	global_load_b32 v24, v[27:28], off
	s_or_b32 exec_lo, exec_lo, s21
	s_and_saveexec_b32 s5, vcc_lo
	s_cbranch_execz .LBB131_12
.LBB131_16:                             ;   in Loop: Header=BB131_4 Depth=1
	v_add_co_u32 v27, vcc_lo, v3, s8
	s_waitcnt vmcnt(0)
	v_min_i32_e32 v23, s14, v23
	v_add_co_ci_u32_e32 v28, vcc_lo, s9, v4, vcc_lo
	global_store_b32 v[27:28], v23, off
	s_or_b32 exec_lo, exec_lo, s5
	s_and_saveexec_b32 s5, s2
	s_cbranch_execz .LBB131_13
.LBB131_17:                             ;   in Loop: Header=BB131_4 Depth=1
	v_add_co_u32 v27, vcc_lo, v21, s8
	s_waitcnt vmcnt(0)
	v_min_i32_e32 v23, s14, v25
	v_add_co_ci_u32_e32 v28, vcc_lo, s9, v22, vcc_lo
	global_store_b32 v[27:28], v23, off
	s_or_b32 exec_lo, exec_lo, s5
	s_and_saveexec_b32 s2, s3
	s_cbranch_execz .LBB131_14
.LBB131_18:                             ;   in Loop: Header=BB131_4 Depth=1
	s_waitcnt vmcnt(0)
	v_add_co_u32 v25, vcc_lo, v14, s8
	v_min_i32_e32 v23, s14, v26
	v_add_co_ci_u32_e32 v26, vcc_lo, s9, v15, vcc_lo
	global_store_b32 v[25:26], v23, off
	s_or_b32 exec_lo, exec_lo, s2
	s_and_saveexec_b32 s2, s4
	s_cbranch_execz .LBB131_3
.LBB131_19:                             ;   in Loop: Header=BB131_4 Depth=1
	s_waitcnt vmcnt(0)
	v_add_co_u32 v23, vcc_lo, v7, s8
	v_min_i32_e32 v25, s14, v24
	v_add_co_ci_u32_e32 v24, vcc_lo, s9, v8, vcc_lo
	global_store_b32 v[23:24], v25, off
	s_branch .LBB131_3
.LBB131_20:
	s_mov_b32 s10, 0
.LBB131_21:
	s_delay_alu instid0(SALU_CYCLE_1)
	s_and_not1_b32 vcc_lo, exec_lo, s10
	s_cbranch_vccnz .LBB131_25
; %bb.22:
	v_dual_mov_b32 v2, 0 :: v_dual_lshlrev_b32 v1, 2, v0
	s_mov_b32 s2, 0
	s_mov_b32 s3, exec_lo
	s_delay_alu instid0(VALU_DEP_1)
	v_cmpx_gt_i64_e64 s[6:7], v[1:2]
	s_cbranch_execz .LBB131_25
; %bb.23:
	s_load_b32 s0, s[0:1], 0xd54
	s_waitcnt lgkmcnt(0)
	s_and_b32 s0, s0, 0xffff
	s_delay_alu instid0(SALU_CYCLE_1)
	v_add_lshl_u32 v1, v0, s0, 2
	v_lshlrev_b32_e32 v0, 4, v0
	s_lshl_b32 s3, s0, 2
	s_lshl_b32 s4, s0, 4
	s_set_inst_prefetch_distance 0x1
	.p2align	6
.LBB131_24:                             ; =>This Inner Loop Header: Depth=1
	s_delay_alu instid0(VALU_DEP_1) | instskip(NEXT) | instid1(VALU_DEP_1)
	v_add_co_u32 v3, s0, s15, v0
	v_add_co_ci_u32_e64 v4, null, s16, 0, s0
	v_cmp_le_i64_e32 vcc_lo, s[6:7], v[1:2]
	v_cmp_lt_u64_e64 s0, 0xffff, v[1:2]
	v_add_co_u32 v7, s1, s17, v0
	global_load_b128 v[3:6], v[3:4], off
	v_add_co_ci_u32_e64 v8, null, s18, 0, s1
	s_or_b32 s0, vcc_lo, s0
	s_add_u32 s15, s15, s4
	v_add_co_u32 v1, s1, v1, s3
	s_addc_u32 s16, s16, 0
	s_add_u32 s17, s17, s4
	v_add_co_ci_u32_e64 v2, s1, 0, v2, s1
	s_addc_u32 s18, s18, 0
	s_and_b32 s0, exec_lo, s0
	s_delay_alu instid0(SALU_CYCLE_1)
	s_or_b32 s2, s0, s2
	s_waitcnt vmcnt(0)
	v_min_i32_e32 v3, s14, v3
	v_min_i32_e32 v4, s14, v4
	;; [unrolled: 1-line block ×4, first 2 shown]
	global_store_b128 v[7:8], v[3:6], off
	s_and_not1_b32 exec_lo, exec_lo, s2
	s_cbranch_execnz .LBB131_24
.LBB131_25:
	s_set_inst_prefetch_distance 0x2
	s_nop 0
	s_sendmsg sendmsg(MSG_DEALLOC_VGPRS)
	s_endpgm
	.section	.rodata,"a",@progbits
	.p2align	6, 0x0
	.amdhsa_kernel _ZN2at6native12_GLOBAL__N_125multi_tensor_apply_kernelINS1_28TensorListScalarListMetadataIiLi2EEENS1_25BinaryOpScalarListFunctorIiLi2ELi1ELi1EEEJNS0_7minimumIiEEEEEvT_T0_DpT1_
		.amdhsa_group_segment_fixed_size 0
		.amdhsa_private_segment_fixed_size 0
		.amdhsa_kernarg_size 3656
		.amdhsa_user_sgpr_count 15
		.amdhsa_user_sgpr_dispatch_ptr 0
		.amdhsa_user_sgpr_queue_ptr 0
		.amdhsa_user_sgpr_kernarg_segment_ptr 1
		.amdhsa_user_sgpr_dispatch_id 0
		.amdhsa_user_sgpr_private_segment_size 0
		.amdhsa_wavefront_size32 1
		.amdhsa_uses_dynamic_stack 0
		.amdhsa_enable_private_segment 0
		.amdhsa_system_sgpr_workgroup_id_x 1
		.amdhsa_system_sgpr_workgroup_id_y 0
		.amdhsa_system_sgpr_workgroup_id_z 0
		.amdhsa_system_sgpr_workgroup_info 0
		.amdhsa_system_vgpr_workitem_id 0
		.amdhsa_next_free_vgpr 29
		.amdhsa_next_free_sgpr 22
		.amdhsa_reserve_vcc 1
		.amdhsa_float_round_mode_32 0
		.amdhsa_float_round_mode_16_64 0
		.amdhsa_float_denorm_mode_32 3
		.amdhsa_float_denorm_mode_16_64 3
		.amdhsa_dx10_clamp 1
		.amdhsa_ieee_mode 1
		.amdhsa_fp16_overflow 0
		.amdhsa_workgroup_processor_mode 1
		.amdhsa_memory_ordered 1
		.amdhsa_forward_progress 0
		.amdhsa_shared_vgpr_count 0
		.amdhsa_exception_fp_ieee_invalid_op 0
		.amdhsa_exception_fp_denorm_src 0
		.amdhsa_exception_fp_ieee_div_zero 0
		.amdhsa_exception_fp_ieee_overflow 0
		.amdhsa_exception_fp_ieee_underflow 0
		.amdhsa_exception_fp_ieee_inexact 0
		.amdhsa_exception_int_div_zero 0
	.end_amdhsa_kernel
	.section	.text._ZN2at6native12_GLOBAL__N_125multi_tensor_apply_kernelINS1_28TensorListScalarListMetadataIiLi2EEENS1_25BinaryOpScalarListFunctorIiLi2ELi1ELi1EEEJNS0_7minimumIiEEEEEvT_T0_DpT1_,"axG",@progbits,_ZN2at6native12_GLOBAL__N_125multi_tensor_apply_kernelINS1_28TensorListScalarListMetadataIiLi2EEENS1_25BinaryOpScalarListFunctorIiLi2ELi1ELi1EEEJNS0_7minimumIiEEEEEvT_T0_DpT1_,comdat
.Lfunc_end131:
	.size	_ZN2at6native12_GLOBAL__N_125multi_tensor_apply_kernelINS1_28TensorListScalarListMetadataIiLi2EEENS1_25BinaryOpScalarListFunctorIiLi2ELi1ELi1EEEJNS0_7minimumIiEEEEEvT_T0_DpT1_, .Lfunc_end131-_ZN2at6native12_GLOBAL__N_125multi_tensor_apply_kernelINS1_28TensorListScalarListMetadataIiLi2EEENS1_25BinaryOpScalarListFunctorIiLi2ELi1ELi1EEEJNS0_7minimumIiEEEEEvT_T0_DpT1_
                                        ; -- End function
	.section	.AMDGPU.csdata,"",@progbits
; Kernel info:
; codeLenInByte = 1440
; NumSgprs: 24
; NumVgprs: 29
; ScratchSize: 0
; MemoryBound: 0
; FloatMode: 240
; IeeeMode: 1
; LDSByteSize: 0 bytes/workgroup (compile time only)
; SGPRBlocks: 2
; VGPRBlocks: 3
; NumSGPRsForWavesPerEU: 24
; NumVGPRsForWavesPerEU: 29
; Occupancy: 16
; WaveLimiterHint : 0
; COMPUTE_PGM_RSRC2:SCRATCH_EN: 0
; COMPUTE_PGM_RSRC2:USER_SGPR: 15
; COMPUTE_PGM_RSRC2:TRAP_HANDLER: 0
; COMPUTE_PGM_RSRC2:TGID_X_EN: 1
; COMPUTE_PGM_RSRC2:TGID_Y_EN: 0
; COMPUTE_PGM_RSRC2:TGID_Z_EN: 0
; COMPUTE_PGM_RSRC2:TIDIG_COMP_CNT: 0
	.section	.text._ZN2at6native12_GLOBAL__N_125multi_tensor_apply_kernelINS1_28TensorListScalarListMetadataIlLi2EEENS1_25BinaryOpScalarListFunctorIlLi2ELi1ELi1EEEJNS0_7minimumIlEEEEEvT_T0_DpT1_,"axG",@progbits,_ZN2at6native12_GLOBAL__N_125multi_tensor_apply_kernelINS1_28TensorListScalarListMetadataIlLi2EEENS1_25BinaryOpScalarListFunctorIlLi2ELi1ELi1EEEJNS0_7minimumIlEEEEEvT_T0_DpT1_,comdat
	.globl	_ZN2at6native12_GLOBAL__N_125multi_tensor_apply_kernelINS1_28TensorListScalarListMetadataIlLi2EEENS1_25BinaryOpScalarListFunctorIlLi2ELi1ELi1EEEJNS0_7minimumIlEEEEEvT_T0_DpT1_ ; -- Begin function _ZN2at6native12_GLOBAL__N_125multi_tensor_apply_kernelINS1_28TensorListScalarListMetadataIlLi2EEENS1_25BinaryOpScalarListFunctorIlLi2ELi1ELi1EEEJNS0_7minimumIlEEEEEvT_T0_DpT1_
	.p2align	8
	.type	_ZN2at6native12_GLOBAL__N_125multi_tensor_apply_kernelINS1_28TensorListScalarListMetadataIlLi2EEENS1_25BinaryOpScalarListFunctorIlLi2ELi1ELi1EEEJNS0_7minimumIlEEEEEvT_T0_DpT1_,@function
_ZN2at6native12_GLOBAL__N_125multi_tensor_apply_kernelINS1_28TensorListScalarListMetadataIlLi2EEENS1_25BinaryOpScalarListFunctorIlLi2ELi1ELi1EEEJNS0_7minimumIlEEEEEvT_T0_DpT1_: ; @_ZN2at6native12_GLOBAL__N_125multi_tensor_apply_kernelINS1_28TensorListScalarListMetadataIlLi2EEENS1_25BinaryOpScalarListFunctorIlLi2ELi1ELi1EEEJNS0_7minimumIlEEEEEvT_T0_DpT1_
; %bb.0:
	v_mov_b32_e32 v1, s15
	s_add_u32 s2, s0, s15
	s_mul_hi_u32 s3, s15, 3
	s_mul_i32 s15, s15, 3
	s_addc_u32 s4, s1, 0
	global_load_u8 v1, v1, s[0:1] offset:2048
	s_add_u32 s2, s2, s15
	s_addc_u32 s3, s4, s3
	s_mov_b32 s15, 0
	s_load_b32 s8, s[2:3], 0x940
	s_mov_b32 s21, s15
	s_mov_b32 s23, s15
	s_waitcnt vmcnt(0)
	v_readfirstlane_b32 s2, v1
	s_delay_alu instid0(VALU_DEP_1)
	s_lshl_b32 s9, s2, 3
	s_clause 0x3
	s_load_b64 s[2:3], s[0:1], s9 offset:0x0
	s_load_b64 s[6:7], s[0:1], s9 offset:0x600
	;; [unrolled: 1-line block ×4, first 2 shown]
	s_waitcnt lgkmcnt(0)
	s_ashr_i32 s9, s8, 31
	s_delay_alu instid0(SALU_CYCLE_1) | instskip(NEXT) | instid1(SALU_CYCLE_1)
	s_lshl_b64 s[10:11], s[8:9], 19
	s_add_u32 s16, s2, s10
	s_addc_u32 s17, s3, s11
	s_and_b32 s14, s16, 31
	s_add_u32 s18, s4, s10
	s_addc_u32 s19, s5, s11
	s_and_b32 s20, s12, 3
	s_and_b32 s22, s18, 31
	s_or_b64 s[14:15], s[14:15], s[20:21]
	s_lshl_b64 s[8:9], s[8:9], 16
	s_or_b64 s[14:15], s[22:23], s[14:15]
	s_sub_u32 s8, s12, s8
	s_subb_u32 s9, s13, s9
	s_cmp_eq_u64 s[14:15], 0
	s_mov_b32 s12, -1
	s_cbranch_scc1 .LBB132_21
; %bb.1:
	v_cmp_lt_i64_e64 s12, s[8:9], 1
	s_delay_alu instid0(VALU_DEP_1)
	s_and_b32 vcc_lo, exec_lo, s12
	s_cbranch_vccnz .LBB132_20
; %bb.2:
	s_load_b32 s12, s[0:1], 0xe54
	v_dual_mov_b32 v2, 0 :: v_dual_lshlrev_b32 v1, 3, v0
	v_cmp_gt_u64_e64 s13, 0x10000, s[8:9]
	s_delay_alu instid0(VALU_DEP_2) | instskip(NEXT) | instid1(VALU_DEP_1)
	v_add_co_u32 v9, s14, s2, v1
	v_add_co_ci_u32_e64 v10, null, s3, 0, s14
	v_add_co_u32 v11, s14, s4, v1
	s_delay_alu instid0(VALU_DEP_1)
	v_add_co_ci_u32_e64 v12, null, s5, 0, s14
	s_waitcnt lgkmcnt(0)
	s_and_b32 s14, s12, 0xffff
	s_and_b32 s12, s13, exec_lo
	v_mad_u64_u32 v[3:4], null, s14, 24, v[1:2]
	s_cselect_b32 s13, s9, 0
	s_cselect_b32 s12, s8, 0x10000
	s_lshl_b32 s21, s14, 4
	s_mul_i32 s20, s14, 3
	v_add_co_u32 v1, s21, s21, v1
	s_delay_alu instid0(VALU_DEP_2) | instskip(NEXT) | instid1(VALU_DEP_3)
	v_add_co_u32 v13, vcc_lo, s2, v3
	v_add_co_ci_u32_e32 v14, vcc_lo, s3, v4, vcc_lo
	v_add_co_u32 v17, s20, s20, v0
	v_add_co_u32 v15, vcc_lo, s4, v3
	v_add_co_ci_u32_e64 v2, null, 0, 0, s21
	v_add_co_ci_u32_e64 v18, null, 0, 0, s20
	v_add_co_u32 v21, s20, v0, s14
	v_add_co_ci_u32_e32 v16, vcc_lo, s5, v4, vcc_lo
	v_add_co_u32 v19, vcc_lo, s2, v1
	v_add_co_ci_u32_e32 v20, vcc_lo, s3, v2, vcc_lo
	v_add_co_u32 v22, vcc_lo, s4, v1
	v_lshlrev_b32_e32 v1, 3, v21
	s_lshl_b32 s15, s14, 1
	v_add_co_ci_u32_e32 v23, vcc_lo, s5, v2, vcc_lo
	v_add_co_u32 v25, s15, s15, v0
	s_delay_alu instid0(VALU_DEP_3) | instskip(NEXT) | instid1(VALU_DEP_1)
	v_add_co_u32 v27, s2, s2, v1
	v_add_co_ci_u32_e64 v28, null, s3, 0, s2
	v_add_co_u32 v29, s2, s4, v1
	v_add_co_ci_u32_e64 v24, null, 0, 0, s20
	v_add_co_ci_u32_e64 v26, null, 0, 0, s15
	;; [unrolled: 1-line block ×3, first 2 shown]
	s_lshl_b32 s20, s14, 2
	s_lshl_b32 s21, s14, 5
	s_mov_b64 s[14:15], 0
	s_branch .LBB132_4
.LBB132_3:                              ;   in Loop: Header=BB132_4 Depth=1
	s_or_b32 exec_lo, exec_lo, s2
	v_add_co_u32 v9, vcc_lo, v9, s21
	v_add_co_ci_u32_e32 v10, vcc_lo, 0, v10, vcc_lo
	v_add_co_u32 v11, vcc_lo, v11, s21
	v_add_co_ci_u32_e32 v12, vcc_lo, 0, v12, vcc_lo
	;; [unrolled: 2-line block ×5, first 2 shown]
	s_add_u32 s14, s14, s20
	v_add_co_u32 v22, vcc_lo, v22, s21
	s_addc_u32 s15, s15, 0
	v_add_co_ci_u32_e32 v23, vcc_lo, 0, v23, vcc_lo
	v_cmp_lt_i64_e64 s2, s[14:15], s[8:9]
	v_cmp_gt_u64_e64 s3, 0x10000, s[14:15]
	v_add_co_u32 v27, vcc_lo, v27, s21
	v_add_co_ci_u32_e32 v28, vcc_lo, 0, v28, vcc_lo
	v_add_co_u32 v29, vcc_lo, v29, s21
	v_add_co_ci_u32_e32 v30, vcc_lo, 0, v30, vcc_lo
	s_and_b32 s2, s2, s3
	s_delay_alu instid0(SALU_CYCLE_1)
	s_and_b32 vcc_lo, exec_lo, s2
	s_cbranch_vccz .LBB132_20
.LBB132_4:                              ; =>This Inner Loop Header: Depth=1
	s_waitcnt vmcnt(0)
	v_add_co_u32 v3, s2, v0, s14
	s_delay_alu instid0(VALU_DEP_1) | instskip(SKIP_2) | instid1(VALU_DEP_3)
	v_add_co_ci_u32_e64 v4, null, 0, s15, s2
	v_mov_b32_e32 v1, 0
	v_mov_b32_e32 v2, 0
	v_cmp_gt_u64_e32 vcc_lo, s[12:13], v[3:4]
	s_delay_alu instid0(VALU_DEP_2)
	v_dual_mov_b32 v6, v2 :: v_dual_mov_b32 v5, v1
	s_and_saveexec_b32 s3, vcc_lo
	s_cbranch_execz .LBB132_6
; %bb.5:                                ;   in Loop: Header=BB132_4 Depth=1
	v_add_co_u32 v3, s2, v9, s10
	s_delay_alu instid0(VALU_DEP_1)
	v_add_co_ci_u32_e64 v4, s2, s11, v10, s2
	global_load_b64 v[5:6], v[3:4], off
.LBB132_6:                              ;   in Loop: Header=BB132_4 Depth=1
	s_or_b32 exec_lo, exec_lo, s3
	v_add_co_u32 v3, s2, v21, s14
	s_delay_alu instid0(VALU_DEP_1) | instskip(NEXT) | instid1(VALU_DEP_1)
	v_add_co_ci_u32_e64 v4, s2, s15, v24, s2
	v_cmp_gt_u64_e64 s2, s[12:13], v[3:4]
	s_delay_alu instid0(VALU_DEP_1)
	s_and_saveexec_b32 s4, s2
	s_cbranch_execz .LBB132_8
; %bb.7:                                ;   in Loop: Header=BB132_4 Depth=1
	v_add_co_u32 v1, s3, v27, s10
	s_delay_alu instid0(VALU_DEP_1)
	v_add_co_ci_u32_e64 v2, s3, s11, v28, s3
	global_load_b64 v[1:2], v[1:2], off
.LBB132_8:                              ;   in Loop: Header=BB132_4 Depth=1
	s_or_b32 exec_lo, exec_lo, s4
	v_add_co_u32 v7, s3, v25, s14
	s_delay_alu instid0(VALU_DEP_1) | instskip(SKIP_2) | instid1(VALU_DEP_3)
	v_add_co_ci_u32_e64 v8, s3, s15, v26, s3
	v_mov_b32_e32 v3, 0
	v_mov_b32_e32 v4, 0
	v_cmp_gt_u64_e64 s3, s[12:13], v[7:8]
	s_delay_alu instid0(VALU_DEP_2) | instskip(NEXT) | instid1(VALU_DEP_2)
	v_dual_mov_b32 v8, v4 :: v_dual_mov_b32 v7, v3
	s_and_saveexec_b32 s5, s3
	s_cbranch_execz .LBB132_10
; %bb.9:                                ;   in Loop: Header=BB132_4 Depth=1
	v_add_co_u32 v7, s4, v19, s10
	s_delay_alu instid0(VALU_DEP_1)
	v_add_co_ci_u32_e64 v8, s4, s11, v20, s4
	global_load_b64 v[7:8], v[7:8], off
.LBB132_10:                             ;   in Loop: Header=BB132_4 Depth=1
	s_or_b32 exec_lo, exec_lo, s5
	v_add_co_u32 v31, s4, v17, s14
	s_delay_alu instid0(VALU_DEP_1) | instskip(NEXT) | instid1(VALU_DEP_1)
	v_add_co_ci_u32_e64 v32, s4, s15, v18, s4
	v_cmp_gt_u64_e64 s4, s[12:13], v[31:32]
	s_delay_alu instid0(VALU_DEP_1)
	s_and_saveexec_b32 s22, s4
	s_cbranch_execnz .LBB132_15
; %bb.11:                               ;   in Loop: Header=BB132_4 Depth=1
	s_or_b32 exec_lo, exec_lo, s22
	s_and_saveexec_b32 s5, vcc_lo
	s_cbranch_execnz .LBB132_16
.LBB132_12:                             ;   in Loop: Header=BB132_4 Depth=1
	s_or_b32 exec_lo, exec_lo, s5
	s_and_saveexec_b32 s5, s2
	s_cbranch_execnz .LBB132_17
.LBB132_13:                             ;   in Loop: Header=BB132_4 Depth=1
	s_or_b32 exec_lo, exec_lo, s5
	s_and_saveexec_b32 s2, s3
	s_cbranch_execnz .LBB132_18
.LBB132_14:                             ;   in Loop: Header=BB132_4 Depth=1
	s_or_b32 exec_lo, exec_lo, s2
	s_and_saveexec_b32 s2, s4
	s_cbranch_execz .LBB132_3
	s_branch .LBB132_19
.LBB132_15:                             ;   in Loop: Header=BB132_4 Depth=1
	v_add_co_u32 v3, s5, v13, s10
	s_delay_alu instid0(VALU_DEP_1)
	v_add_co_ci_u32_e64 v4, s5, s11, v14, s5
	global_load_b64 v[3:4], v[3:4], off
	s_or_b32 exec_lo, exec_lo, s22
	s_and_saveexec_b32 s5, vcc_lo
	s_cbranch_execz .LBB132_12
.LBB132_16:                             ;   in Loop: Header=BB132_4 Depth=1
	s_waitcnt vmcnt(0)
	v_cmp_gt_i64_e32 vcc_lo, s[6:7], v[5:6]
	v_cndmask_b32_e32 v6, s7, v6, vcc_lo
	v_cndmask_b32_e32 v5, s6, v5, vcc_lo
	v_add_co_u32 v31, vcc_lo, v11, s10
	v_add_co_ci_u32_e32 v32, vcc_lo, s11, v12, vcc_lo
	global_store_b64 v[31:32], v[5:6], off
	s_or_b32 exec_lo, exec_lo, s5
	s_and_saveexec_b32 s5, s2
	s_cbranch_execz .LBB132_13
.LBB132_17:                             ;   in Loop: Header=BB132_4 Depth=1
	s_waitcnt vmcnt(0)
	v_cmp_gt_i64_e32 vcc_lo, s[6:7], v[1:2]
	v_cndmask_b32_e32 v2, s7, v2, vcc_lo
	v_cndmask_b32_e32 v1, s6, v1, vcc_lo
	v_add_co_u32 v5, vcc_lo, v29, s10
	v_add_co_ci_u32_e32 v6, vcc_lo, s11, v30, vcc_lo
	global_store_b64 v[5:6], v[1:2], off
	s_or_b32 exec_lo, exec_lo, s5
	s_and_saveexec_b32 s2, s3
	s_cbranch_execz .LBB132_14
.LBB132_18:                             ;   in Loop: Header=BB132_4 Depth=1
	s_waitcnt vmcnt(0)
	v_cmp_gt_i64_e32 vcc_lo, s[6:7], v[7:8]
	v_cndmask_b32_e32 v2, s7, v8, vcc_lo
	v_cndmask_b32_e32 v1, s6, v7, vcc_lo
	v_add_co_u32 v5, vcc_lo, v22, s10
	v_add_co_ci_u32_e32 v6, vcc_lo, s11, v23, vcc_lo
	global_store_b64 v[5:6], v[1:2], off
	s_or_b32 exec_lo, exec_lo, s2
	s_and_saveexec_b32 s2, s4
	s_cbranch_execz .LBB132_3
.LBB132_19:                             ;   in Loop: Header=BB132_4 Depth=1
	s_waitcnt vmcnt(0)
	v_cmp_gt_i64_e32 vcc_lo, s[6:7], v[3:4]
	v_cndmask_b32_e32 v2, s7, v4, vcc_lo
	v_cndmask_b32_e32 v1, s6, v3, vcc_lo
	v_add_co_u32 v3, vcc_lo, v15, s10
	v_add_co_ci_u32_e32 v4, vcc_lo, s11, v16, vcc_lo
	global_store_b64 v[3:4], v[1:2], off
	s_branch .LBB132_3
.LBB132_20:
	s_mov_b32 s12, 0
.LBB132_21:
	s_delay_alu instid0(SALU_CYCLE_1)
	s_and_not1_b32 vcc_lo, exec_lo, s12
	s_cbranch_vccnz .LBB132_25
; %bb.22:
	s_waitcnt vmcnt(0)
	v_dual_mov_b32 v2, 0 :: v_dual_lshlrev_b32 v1, 2, v0
	s_mov_b32 s3, 0
	s_mov_b32 s2, exec_lo
	s_delay_alu instid0(VALU_DEP_1)
	v_cmpx_gt_i64_e64 s[8:9], v[1:2]
	s_cbranch_execz .LBB132_25
; %bb.23:
	s_load_b32 s0, s[0:1], 0xe54
	s_waitcnt lgkmcnt(0)
	s_and_b32 s0, s0, 0xffff
	s_delay_alu instid0(SALU_CYCLE_1)
	v_add_lshl_u32 v1, v0, s0, 2
	v_lshlrev_b32_e32 v0, 5, v0
	s_lshl_b32 s4, s0, 2
	s_lshl_b32 s5, s0, 5
.LBB132_24:                             ; =>This Inner Loop Header: Depth=1
	s_delay_alu instid0(VALU_DEP_1) | instskip(NEXT) | instid1(VALU_DEP_1)
	v_add_co_u32 v7, s0, s16, v0
	v_add_co_ci_u32_e64 v8, null, s17, 0, s0
	v_cmp_le_i64_e32 vcc_lo, s[8:9], v[1:2]
	v_cmp_lt_u64_e64 s0, 0xffff, v[1:2]
	v_add_co_u32 v11, s1, s18, v0
	s_clause 0x1
	global_load_b128 v[3:6], v[7:8], off
	global_load_b128 v[7:10], v[7:8], off offset:16
	v_add_co_ci_u32_e64 v12, null, s19, 0, s1
	v_add_co_u32 v1, s1, v1, s4
	s_delay_alu instid0(VALU_DEP_1)
	v_add_co_ci_u32_e64 v2, s1, 0, v2, s1
	s_or_b32 s10, vcc_lo, s0
	s_add_u32 s16, s16, s5
	s_addc_u32 s17, s17, 0
	s_add_u32 s18, s18, s5
	s_addc_u32 s19, s19, 0
	s_waitcnt vmcnt(1)
	v_cmp_gt_i64_e32 vcc_lo, s[6:7], v[3:4]
	v_cmp_gt_i64_e64 s0, s[6:7], v[5:6]
	s_waitcnt vmcnt(0)
	v_cmp_gt_i64_e64 s1, s[6:7], v[7:8]
	v_cmp_gt_i64_e64 s2, s[6:7], v[9:10]
	v_cndmask_b32_e32 v4, s7, v4, vcc_lo
	s_delay_alu instid0(VALU_DEP_4)
	v_cndmask_b32_e64 v6, s7, v6, s0
	v_cndmask_b32_e32 v3, s6, v3, vcc_lo
	v_cndmask_b32_e64 v5, s6, v5, s0
	v_cndmask_b32_e64 v8, s7, v8, s1
	;; [unrolled: 1-line block ×5, first 2 shown]
	s_and_b32 s0, exec_lo, s10
	s_clause 0x1
	global_store_b128 v[11:12], v[3:6], off
	global_store_b128 v[11:12], v[7:10], off offset:16
	s_or_b32 s3, s0, s3
	s_delay_alu instid0(SALU_CYCLE_1)
	s_and_not1_b32 exec_lo, exec_lo, s3
	s_cbranch_execnz .LBB132_24
.LBB132_25:
	s_nop 0
	s_sendmsg sendmsg(MSG_DEALLOC_VGPRS)
	s_endpgm
	.section	.rodata,"a",@progbits
	.p2align	6, 0x0
	.amdhsa_kernel _ZN2at6native12_GLOBAL__N_125multi_tensor_apply_kernelINS1_28TensorListScalarListMetadataIlLi2EEENS1_25BinaryOpScalarListFunctorIlLi2ELi1ELi1EEEJNS0_7minimumIlEEEEEvT_T0_DpT1_
		.amdhsa_group_segment_fixed_size 0
		.amdhsa_private_segment_fixed_size 0
		.amdhsa_kernarg_size 3912
		.amdhsa_user_sgpr_count 15
		.amdhsa_user_sgpr_dispatch_ptr 0
		.amdhsa_user_sgpr_queue_ptr 0
		.amdhsa_user_sgpr_kernarg_segment_ptr 1
		.amdhsa_user_sgpr_dispatch_id 0
		.amdhsa_user_sgpr_private_segment_size 0
		.amdhsa_wavefront_size32 1
		.amdhsa_uses_dynamic_stack 0
		.amdhsa_enable_private_segment 0
		.amdhsa_system_sgpr_workgroup_id_x 1
		.amdhsa_system_sgpr_workgroup_id_y 0
		.amdhsa_system_sgpr_workgroup_id_z 0
		.amdhsa_system_sgpr_workgroup_info 0
		.amdhsa_system_vgpr_workitem_id 0
		.amdhsa_next_free_vgpr 33
		.amdhsa_next_free_sgpr 24
		.amdhsa_reserve_vcc 1
		.amdhsa_float_round_mode_32 0
		.amdhsa_float_round_mode_16_64 0
		.amdhsa_float_denorm_mode_32 3
		.amdhsa_float_denorm_mode_16_64 3
		.amdhsa_dx10_clamp 1
		.amdhsa_ieee_mode 1
		.amdhsa_fp16_overflow 0
		.amdhsa_workgroup_processor_mode 1
		.amdhsa_memory_ordered 1
		.amdhsa_forward_progress 0
		.amdhsa_shared_vgpr_count 0
		.amdhsa_exception_fp_ieee_invalid_op 0
		.amdhsa_exception_fp_denorm_src 0
		.amdhsa_exception_fp_ieee_div_zero 0
		.amdhsa_exception_fp_ieee_overflow 0
		.amdhsa_exception_fp_ieee_underflow 0
		.amdhsa_exception_fp_ieee_inexact 0
		.amdhsa_exception_int_div_zero 0
	.end_amdhsa_kernel
	.section	.text._ZN2at6native12_GLOBAL__N_125multi_tensor_apply_kernelINS1_28TensorListScalarListMetadataIlLi2EEENS1_25BinaryOpScalarListFunctorIlLi2ELi1ELi1EEEJNS0_7minimumIlEEEEEvT_T0_DpT1_,"axG",@progbits,_ZN2at6native12_GLOBAL__N_125multi_tensor_apply_kernelINS1_28TensorListScalarListMetadataIlLi2EEENS1_25BinaryOpScalarListFunctorIlLi2ELi1ELi1EEEJNS0_7minimumIlEEEEEvT_T0_DpT1_,comdat
.Lfunc_end132:
	.size	_ZN2at6native12_GLOBAL__N_125multi_tensor_apply_kernelINS1_28TensorListScalarListMetadataIlLi2EEENS1_25BinaryOpScalarListFunctorIlLi2ELi1ELi1EEEJNS0_7minimumIlEEEEEvT_T0_DpT1_, .Lfunc_end132-_ZN2at6native12_GLOBAL__N_125multi_tensor_apply_kernelINS1_28TensorListScalarListMetadataIlLi2EEENS1_25BinaryOpScalarListFunctorIlLi2ELi1ELi1EEEJNS0_7minimumIlEEEEEvT_T0_DpT1_
                                        ; -- End function
	.section	.AMDGPU.csdata,"",@progbits
; Kernel info:
; codeLenInByte = 1556
; NumSgprs: 26
; NumVgprs: 33
; ScratchSize: 0
; MemoryBound: 0
; FloatMode: 240
; IeeeMode: 1
; LDSByteSize: 0 bytes/workgroup (compile time only)
; SGPRBlocks: 3
; VGPRBlocks: 4
; NumSGPRsForWavesPerEU: 26
; NumVGPRsForWavesPerEU: 33
; Occupancy: 16
; WaveLimiterHint : 1
; COMPUTE_PGM_RSRC2:SCRATCH_EN: 0
; COMPUTE_PGM_RSRC2:USER_SGPR: 15
; COMPUTE_PGM_RSRC2:TRAP_HANDLER: 0
; COMPUTE_PGM_RSRC2:TGID_X_EN: 1
; COMPUTE_PGM_RSRC2:TGID_Y_EN: 0
; COMPUTE_PGM_RSRC2:TGID_Z_EN: 0
; COMPUTE_PGM_RSRC2:TIDIG_COMP_CNT: 0
	.section	.text._ZN2at6native12_GLOBAL__N_125multi_tensor_apply_kernelINS1_28TensorListScalarListMetadataIsLi2EEENS1_25BinaryOpScalarListFunctorIsLi2ELi1ELi1EEEJNS0_7minimumIsEEEEEvT_T0_DpT1_,"axG",@progbits,_ZN2at6native12_GLOBAL__N_125multi_tensor_apply_kernelINS1_28TensorListScalarListMetadataIsLi2EEENS1_25BinaryOpScalarListFunctorIsLi2ELi1ELi1EEEJNS0_7minimumIsEEEEEvT_T0_DpT1_,comdat
	.globl	_ZN2at6native12_GLOBAL__N_125multi_tensor_apply_kernelINS1_28TensorListScalarListMetadataIsLi2EEENS1_25BinaryOpScalarListFunctorIsLi2ELi1ELi1EEEJNS0_7minimumIsEEEEEvT_T0_DpT1_ ; -- Begin function _ZN2at6native12_GLOBAL__N_125multi_tensor_apply_kernelINS1_28TensorListScalarListMetadataIsLi2EEENS1_25BinaryOpScalarListFunctorIsLi2ELi1ELi1EEEJNS0_7minimumIsEEEEEvT_T0_DpT1_
	.p2align	8
	.type	_ZN2at6native12_GLOBAL__N_125multi_tensor_apply_kernelINS1_28TensorListScalarListMetadataIsLi2EEENS1_25BinaryOpScalarListFunctorIsLi2ELi1ELi1EEEJNS0_7minimumIsEEEEEvT_T0_DpT1_,@function
_ZN2at6native12_GLOBAL__N_125multi_tensor_apply_kernelINS1_28TensorListScalarListMetadataIsLi2EEENS1_25BinaryOpScalarListFunctorIsLi2ELi1ELi1EEEJNS0_7minimumIsEEEEEvT_T0_DpT1_: ; @_ZN2at6native12_GLOBAL__N_125multi_tensor_apply_kernelINS1_28TensorListScalarListMetadataIsLi2EEENS1_25BinaryOpScalarListFunctorIsLi2ELi1ELi1EEEJNS0_7minimumIsEEEEEvT_T0_DpT1_
; %bb.0:
	v_mov_b32_e32 v1, s15
	s_add_u32 s2, s0, s15
	s_mul_hi_u32 s3, s15, 3
	s_mul_i32 s15, s15, 3
	s_addc_u32 s4, s1, 0
	global_load_u8 v1, v1, s[0:1] offset:1664
	s_add_u32 s2, s2, s15
	s_addc_u32 s3, s4, s3
	s_mov_b32 s15, 0
	s_load_b32 s2, s[2:3], 0x7c0
	s_waitcnt vmcnt(0)
	v_readfirstlane_b32 s3, v1
	v_mul_lo_u32 v2, v1, -6
	v_mul_hi_i32 v3, v1, -6
	s_delay_alu instid0(VALU_DEP_3) | instskip(SKIP_4) | instid1(VALU_DEP_2)
	s_lshl_b32 s8, s3, 3
	s_waitcnt lgkmcnt(0)
	s_ashr_i32 s3, s2, 31
	s_add_u32 s6, s0, s8
	s_addc_u32 s7, s1, 0
	v_add_co_u32 v1, vcc_lo, s6, v2
	s_delay_alu instid0(VALU_DEP_2)
	v_add_co_ci_u32_e32 v2, vcc_lo, s7, v3, vcc_lo
	s_load_b64 s[4:5], s[0:1], s8 offset:0x400
	s_lshl_b64 s[12:13], s[2:3], 17
	s_lshl_b64 s[2:3], s[2:3], 16
	global_load_u16 v3, v[1:2], off offset:1536
	s_clause 0x1
	s_load_b64 s[6:7], s[0:1], s8 offset:0x0
	s_load_b64 s[8:9], s[0:1], s8 offset:0x200
	s_waitcnt lgkmcnt(0)
	s_and_b32 s11, s4, 3
	s_and_b32 s10, s6, 7
	;; [unrolled: 1-line block ×3, first 2 shown]
	s_or_b32 s10, s10, s11
	s_delay_alu instid0(SALU_CYCLE_1)
	s_or_b32 s14, s14, s10
	s_sub_u32 s10, s4, s2
	s_subb_u32 s11, s5, s3
	s_cmp_eq_u64 s[14:15], 0
	s_mov_b32 s2, -1
	s_cbranch_scc1 .LBB133_21
; %bb.1:
	v_cmp_lt_i64_e64 s2, s[10:11], 1
	s_delay_alu instid0(VALU_DEP_1)
	s_and_b32 vcc_lo, exec_lo, s2
	s_cbranch_vccnz .LBB133_20
; %bb.2:
	s_load_b32 s2, s[0:1], 0xcd4
	v_dual_mov_b32 v11, 0 :: v_dual_lshlrev_b32 v10, 1, v0
	v_cmp_gt_u64_e64 s3, 0x10000, s[10:11]
	s_mov_b64 s[16:17], 0
	s_delay_alu instid0(VALU_DEP_2) | instskip(NEXT) | instid1(VALU_DEP_1)
	v_add_co_u32 v1, s4, s6, v10
	v_add_co_ci_u32_e64 v2, null, s7, 0, s4
	v_add_co_u32 v4, s4, s8, v10
	s_delay_alu instid0(VALU_DEP_1)
	v_add_co_ci_u32_e64 v5, null, s9, 0, s4
	s_waitcnt lgkmcnt(0)
	s_and_b32 s2, s2, 0xffff
	s_and_b32 s3, s3, exec_lo
	v_mad_u64_u32 v[8:9], null, s2, 6, v[10:11]
	s_cselect_b32 s15, s11, 0
	s_cselect_b32 s14, s10, 0x10000
	s_mul_i32 s4, s2, 3
	s_lshl_b32 s18, s2, 2
	s_lshl_b32 s3, s2, 1
	v_add_co_u32 v15, s5, s18, v10
	v_add_co_u32 v10, s4, s4, v0
	s_delay_alu instid0(VALU_DEP_1) | instskip(SKIP_3) | instid1(VALU_DEP_3)
	v_add_co_ci_u32_e64 v11, null, 0, 0, s4
	v_add_co_u32 v14, s4, v0, s2
	v_add_co_u32 v6, vcc_lo, s6, v8
	v_add_co_ci_u32_e32 v7, vcc_lo, s7, v9, vcc_lo
	v_lshlrev_b32_e32 v22, 1, v14
	v_add_co_u32 v8, vcc_lo, s8, v8
	v_add_co_ci_u32_e64 v16, null, 0, 0, s5
	v_add_co_ci_u32_e32 v9, vcc_lo, s9, v9, vcc_lo
	v_add_co_u32 v18, s3, s3, v0
	v_add_co_u32 v12, vcc_lo, s6, v15
	v_add_co_ci_u32_e64 v19, null, 0, 0, s3
	v_add_co_u32 v20, s3, s6, v22
	v_add_co_ci_u32_e32 v13, vcc_lo, s7, v16, vcc_lo
	v_add_co_u32 v15, vcc_lo, s8, v15
	v_add_co_ci_u32_e64 v21, null, s7, 0, s3
	v_add_co_u32 v22, s3, s8, v22
	v_add_co_ci_u32_e32 v16, vcc_lo, s9, v16, vcc_lo
	v_add_co_ci_u32_e64 v17, null, 0, 0, s4
	v_add_co_ci_u32_e64 v23, null, s9, 0, s3
	s_lshl_b32 s19, s2, 3
	s_branch .LBB133_4
.LBB133_3:                              ;   in Loop: Header=BB133_4 Depth=1
	s_or_b32 exec_lo, exec_lo, s2
	v_add_co_u32 v1, vcc_lo, v1, s19
	v_add_co_ci_u32_e32 v2, vcc_lo, 0, v2, vcc_lo
	v_add_co_u32 v4, vcc_lo, v4, s19
	v_add_co_ci_u32_e32 v5, vcc_lo, 0, v5, vcc_lo
	;; [unrolled: 2-line block ×5, first 2 shown]
	s_add_u32 s16, s16, s18
	v_add_co_u32 v15, vcc_lo, v15, s19
	s_addc_u32 s17, s17, 0
	v_add_co_ci_u32_e32 v16, vcc_lo, 0, v16, vcc_lo
	v_cmp_lt_i64_e64 s2, s[16:17], s[10:11]
	v_cmp_gt_u64_e64 s3, 0x10000, s[16:17]
	v_add_co_u32 v20, vcc_lo, v20, s19
	v_add_co_ci_u32_e32 v21, vcc_lo, 0, v21, vcc_lo
	v_add_co_u32 v22, vcc_lo, v22, s19
	v_add_co_ci_u32_e32 v23, vcc_lo, 0, v23, vcc_lo
	s_and_b32 s2, s2, s3
	s_delay_alu instid0(SALU_CYCLE_1)
	s_and_b32 vcc_lo, exec_lo, s2
	s_cbranch_vccz .LBB133_20
.LBB133_4:                              ; =>This Inner Loop Header: Depth=1
	s_waitcnt vmcnt(0)
	v_add_co_u32 v24, s2, v0, s16
	s_delay_alu instid0(VALU_DEP_1) | instskip(NEXT) | instid1(VALU_DEP_1)
	v_add_co_ci_u32_e64 v25, null, 0, s17, s2
	v_cmp_gt_u64_e32 vcc_lo, s[14:15], v[24:25]
	v_mov_b32_e32 v24, 0
	s_and_saveexec_b32 s3, vcc_lo
	s_cbranch_execz .LBB133_6
; %bb.5:                                ;   in Loop: Header=BB133_4 Depth=1
	v_add_co_u32 v24, s2, v1, s12
	s_delay_alu instid0(VALU_DEP_1)
	v_add_co_ci_u32_e64 v25, s2, s13, v2, s2
	global_load_u16 v24, v[24:25], off
.LBB133_6:                              ;   in Loop: Header=BB133_4 Depth=1
	s_or_b32 exec_lo, exec_lo, s3
	v_add_co_u32 v25, s2, v14, s16
	s_delay_alu instid0(VALU_DEP_1) | instskip(NEXT) | instid1(VALU_DEP_1)
	v_add_co_ci_u32_e64 v26, s2, s17, v17, s2
	v_cmp_gt_u64_e64 s2, s[14:15], v[25:26]
	v_mov_b32_e32 v26, 0
	s_delay_alu instid0(VALU_DEP_2)
	s_and_saveexec_b32 s4, s2
	s_cbranch_execz .LBB133_8
; %bb.7:                                ;   in Loop: Header=BB133_4 Depth=1
	v_add_co_u32 v25, s3, v20, s12
	s_delay_alu instid0(VALU_DEP_1)
	v_add_co_ci_u32_e64 v26, s3, s13, v21, s3
	global_load_u16 v26, v[25:26], off
.LBB133_8:                              ;   in Loop: Header=BB133_4 Depth=1
	s_or_b32 exec_lo, exec_lo, s4
	v_add_co_u32 v27, s3, v18, s16
	s_delay_alu instid0(VALU_DEP_1) | instskip(SKIP_1) | instid1(VALU_DEP_2)
	v_add_co_ci_u32_e64 v28, s3, s17, v19, s3
	v_mov_b32_e32 v25, 0
	v_cmp_gt_u64_e64 s3, s[14:15], v[27:28]
	v_mov_b32_e32 v27, 0
	s_delay_alu instid0(VALU_DEP_2)
	s_and_saveexec_b32 s5, s3
	s_cbranch_execz .LBB133_10
; %bb.9:                                ;   in Loop: Header=BB133_4 Depth=1
	v_add_co_u32 v27, s4, v12, s12
	s_delay_alu instid0(VALU_DEP_1)
	v_add_co_ci_u32_e64 v28, s4, s13, v13, s4
	global_load_u16 v27, v[27:28], off
.LBB133_10:                             ;   in Loop: Header=BB133_4 Depth=1
	s_or_b32 exec_lo, exec_lo, s5
	v_add_co_u32 v28, s4, v10, s16
	s_delay_alu instid0(VALU_DEP_1) | instskip(NEXT) | instid1(VALU_DEP_1)
	v_add_co_ci_u32_e64 v29, s4, s17, v11, s4
	v_cmp_gt_u64_e64 s4, s[14:15], v[28:29]
	s_delay_alu instid0(VALU_DEP_1)
	s_and_saveexec_b32 s20, s4
	s_cbranch_execnz .LBB133_15
; %bb.11:                               ;   in Loop: Header=BB133_4 Depth=1
	s_or_b32 exec_lo, exec_lo, s20
	s_and_saveexec_b32 s5, vcc_lo
	s_cbranch_execnz .LBB133_16
.LBB133_12:                             ;   in Loop: Header=BB133_4 Depth=1
	s_or_b32 exec_lo, exec_lo, s5
	s_and_saveexec_b32 s5, s2
	s_cbranch_execnz .LBB133_17
.LBB133_13:                             ;   in Loop: Header=BB133_4 Depth=1
	s_or_b32 exec_lo, exec_lo, s5
	s_and_saveexec_b32 s2, s3
	s_cbranch_execnz .LBB133_18
.LBB133_14:                             ;   in Loop: Header=BB133_4 Depth=1
	s_or_b32 exec_lo, exec_lo, s2
	s_and_saveexec_b32 s2, s4
	s_cbranch_execz .LBB133_3
	s_branch .LBB133_19
.LBB133_15:                             ;   in Loop: Header=BB133_4 Depth=1
	v_add_co_u32 v28, s5, v6, s12
	s_delay_alu instid0(VALU_DEP_1)
	v_add_co_ci_u32_e64 v29, s5, s13, v7, s5
	global_load_u16 v25, v[28:29], off
	s_or_b32 exec_lo, exec_lo, s20
	s_and_saveexec_b32 s5, vcc_lo
	s_cbranch_execz .LBB133_12
.LBB133_16:                             ;   in Loop: Header=BB133_4 Depth=1
	v_add_co_u32 v28, vcc_lo, v4, s12
	s_waitcnt vmcnt(0)
	v_min_i16 v24, v24, v3
	v_add_co_ci_u32_e32 v29, vcc_lo, s13, v5, vcc_lo
	global_store_b16 v[28:29], v24, off
	s_or_b32 exec_lo, exec_lo, s5
	s_and_saveexec_b32 s5, s2
	s_cbranch_execz .LBB133_13
.LBB133_17:                             ;   in Loop: Header=BB133_4 Depth=1
	v_add_co_u32 v28, vcc_lo, v22, s12
	s_waitcnt vmcnt(0)
	v_min_i16 v24, v26, v3
	v_add_co_ci_u32_e32 v29, vcc_lo, s13, v23, vcc_lo
	global_store_b16 v[28:29], v24, off
	s_or_b32 exec_lo, exec_lo, s5
	s_and_saveexec_b32 s2, s3
	s_cbranch_execz .LBB133_14
.LBB133_18:                             ;   in Loop: Header=BB133_4 Depth=1
	s_waitcnt vmcnt(0)
	v_add_co_u32 v26, vcc_lo, v15, s12
	v_min_i16 v24, v27, v3
	v_add_co_ci_u32_e32 v27, vcc_lo, s13, v16, vcc_lo
	global_store_b16 v[26:27], v24, off
	s_or_b32 exec_lo, exec_lo, s2
	s_and_saveexec_b32 s2, s4
	s_cbranch_execz .LBB133_3
.LBB133_19:                             ;   in Loop: Header=BB133_4 Depth=1
	s_waitcnt vmcnt(0)
	v_add_co_u32 v24, vcc_lo, v8, s12
	v_min_i16 v26, v25, v3
	v_add_co_ci_u32_e32 v25, vcc_lo, s13, v9, vcc_lo
	global_store_b16 v[24:25], v26, off
	s_branch .LBB133_3
.LBB133_20:
	s_mov_b32 s2, 0
.LBB133_21:
	s_delay_alu instid0(SALU_CYCLE_1)
	s_and_not1_b32 vcc_lo, exec_lo, s2
	s_cbranch_vccnz .LBB133_25
; %bb.22:
	v_dual_mov_b32 v2, 0 :: v_dual_lshlrev_b32 v1, 2, v0
	s_mov_b32 s2, 0
	s_mov_b32 s3, exec_lo
	s_delay_alu instid0(VALU_DEP_1)
	v_cmpx_gt_i64_e64 s[10:11], v[1:2]
	s_cbranch_execz .LBB133_25
; %bb.23:
	s_load_b32 s0, s[0:1], 0xcd4
	v_lshlrev_b32_e32 v1, 3, v0
	s_delay_alu instid0(VALU_DEP_1) | instskip(NEXT) | instid1(VALU_DEP_1)
	v_add_co_u32 v4, s1, s12, v1
	v_add_co_ci_u32_e64 v5, null, s13, 0, s1
	s_waitcnt lgkmcnt(0)
	s_and_b32 s0, s0, 0xffff
	s_delay_alu instid0(SALU_CYCLE_1)
	v_add_lshl_u32 v1, v0, s0, 2
	s_lshl_b32 s3, s0, 3
	s_lshl_b32 s4, s0, 2
	s_set_inst_prefetch_distance 0x1
	.p2align	6
.LBB133_24:                             ; =>This Inner Loop Header: Depth=1
	v_add_co_u32 v6, vcc_lo, s6, v4
	v_add_co_ci_u32_e32 v7, vcc_lo, s7, v5, vcc_lo
	v_add_co_u32 v8, vcc_lo, s8, v4
	v_add_co_ci_u32_e32 v9, vcc_lo, s9, v5, vcc_lo
	global_load_b64 v[6:7], v[6:7], off
	v_cmp_le_i64_e32 vcc_lo, s[10:11], v[1:2]
	v_cmp_lt_u64_e64 s0, 0xffff, v[1:2]
	v_add_co_u32 v4, s1, v4, s3
	s_delay_alu instid0(VALU_DEP_1) | instskip(SKIP_1) | instid1(VALU_DEP_4)
	v_add_co_ci_u32_e64 v5, s1, 0, v5, s1
	v_add_co_u32 v1, s1, v1, s4
	s_or_b32 s0, vcc_lo, s0
	v_add_co_ci_u32_e64 v2, s1, 0, v2, s1
	s_and_b32 s0, exec_lo, s0
	s_delay_alu instid0(SALU_CYCLE_1)
	s_or_b32 s2, s0, s2
	s_waitcnt vmcnt(0)
	v_lshrrev_b32_e32 v0, 16, v6
	v_lshrrev_b32_e32 v10, 16, v7
	v_min_i16 v6, v6, v3
	v_min_i16 v7, v7, v3
	s_delay_alu instid0(VALU_DEP_4) | instskip(NEXT) | instid1(VALU_DEP_4)
	v_min_i16 v0, v0, v3
	v_min_i16 v10, v10, v3
	s_delay_alu instid0(VALU_DEP_4) | instskip(NEXT) | instid1(VALU_DEP_4)
	v_and_b32_e32 v6, 0xffff, v6
	v_and_b32_e32 v7, 0xffff, v7
	s_delay_alu instid0(VALU_DEP_4) | instskip(NEXT) | instid1(VALU_DEP_4)
	v_lshlrev_b32_e32 v0, 16, v0
	v_lshlrev_b32_e32 v10, 16, v10
	s_delay_alu instid0(VALU_DEP_2) | instskip(NEXT) | instid1(VALU_DEP_2)
	v_or_b32_e32 v6, v0, v6
	v_or_b32_e32 v7, v10, v7
	global_store_b64 v[8:9], v[6:7], off
	s_and_not1_b32 exec_lo, exec_lo, s2
	s_cbranch_execnz .LBB133_24
.LBB133_25:
	s_set_inst_prefetch_distance 0x2
	s_nop 0
	s_sendmsg sendmsg(MSG_DEALLOC_VGPRS)
	s_endpgm
	.section	.rodata,"a",@progbits
	.p2align	6, 0x0
	.amdhsa_kernel _ZN2at6native12_GLOBAL__N_125multi_tensor_apply_kernelINS1_28TensorListScalarListMetadataIsLi2EEENS1_25BinaryOpScalarListFunctorIsLi2ELi1ELi1EEEJNS0_7minimumIsEEEEEvT_T0_DpT1_
		.amdhsa_group_segment_fixed_size 0
		.amdhsa_private_segment_fixed_size 0
		.amdhsa_kernarg_size 3528
		.amdhsa_user_sgpr_count 15
		.amdhsa_user_sgpr_dispatch_ptr 0
		.amdhsa_user_sgpr_queue_ptr 0
		.amdhsa_user_sgpr_kernarg_segment_ptr 1
		.amdhsa_user_sgpr_dispatch_id 0
		.amdhsa_user_sgpr_private_segment_size 0
		.amdhsa_wavefront_size32 1
		.amdhsa_uses_dynamic_stack 0
		.amdhsa_enable_private_segment 0
		.amdhsa_system_sgpr_workgroup_id_x 1
		.amdhsa_system_sgpr_workgroup_id_y 0
		.amdhsa_system_sgpr_workgroup_id_z 0
		.amdhsa_system_sgpr_workgroup_info 0
		.amdhsa_system_vgpr_workitem_id 0
		.amdhsa_next_free_vgpr 30
		.amdhsa_next_free_sgpr 21
		.amdhsa_reserve_vcc 1
		.amdhsa_float_round_mode_32 0
		.amdhsa_float_round_mode_16_64 0
		.amdhsa_float_denorm_mode_32 3
		.amdhsa_float_denorm_mode_16_64 3
		.amdhsa_dx10_clamp 1
		.amdhsa_ieee_mode 1
		.amdhsa_fp16_overflow 0
		.amdhsa_workgroup_processor_mode 1
		.amdhsa_memory_ordered 1
		.amdhsa_forward_progress 0
		.amdhsa_shared_vgpr_count 0
		.amdhsa_exception_fp_ieee_invalid_op 0
		.amdhsa_exception_fp_denorm_src 0
		.amdhsa_exception_fp_ieee_div_zero 0
		.amdhsa_exception_fp_ieee_overflow 0
		.amdhsa_exception_fp_ieee_underflow 0
		.amdhsa_exception_fp_ieee_inexact 0
		.amdhsa_exception_int_div_zero 0
	.end_amdhsa_kernel
	.section	.text._ZN2at6native12_GLOBAL__N_125multi_tensor_apply_kernelINS1_28TensorListScalarListMetadataIsLi2EEENS1_25BinaryOpScalarListFunctorIsLi2ELi1ELi1EEEJNS0_7minimumIsEEEEEvT_T0_DpT1_,"axG",@progbits,_ZN2at6native12_GLOBAL__N_125multi_tensor_apply_kernelINS1_28TensorListScalarListMetadataIsLi2EEENS1_25BinaryOpScalarListFunctorIsLi2ELi1ELi1EEEJNS0_7minimumIsEEEEEvT_T0_DpT1_,comdat
.Lfunc_end133:
	.size	_ZN2at6native12_GLOBAL__N_125multi_tensor_apply_kernelINS1_28TensorListScalarListMetadataIsLi2EEENS1_25BinaryOpScalarListFunctorIsLi2ELi1ELi1EEEJNS0_7minimumIsEEEEEvT_T0_DpT1_, .Lfunc_end133-_ZN2at6native12_GLOBAL__N_125multi_tensor_apply_kernelINS1_28TensorListScalarListMetadataIsLi2EEENS1_25BinaryOpScalarListFunctorIsLi2ELi1ELi1EEEJNS0_7minimumIsEEEEEvT_T0_DpT1_
                                        ; -- End function
	.section	.AMDGPU.csdata,"",@progbits
; Kernel info:
; codeLenInByte = 1516
; NumSgprs: 23
; NumVgprs: 30
; ScratchSize: 0
; MemoryBound: 0
; FloatMode: 240
; IeeeMode: 1
; LDSByteSize: 0 bytes/workgroup (compile time only)
; SGPRBlocks: 2
; VGPRBlocks: 3
; NumSGPRsForWavesPerEU: 23
; NumVGPRsForWavesPerEU: 30
; Occupancy: 16
; WaveLimiterHint : 0
; COMPUTE_PGM_RSRC2:SCRATCH_EN: 0
; COMPUTE_PGM_RSRC2:USER_SGPR: 15
; COMPUTE_PGM_RSRC2:TRAP_HANDLER: 0
; COMPUTE_PGM_RSRC2:TGID_X_EN: 1
; COMPUTE_PGM_RSRC2:TGID_Y_EN: 0
; COMPUTE_PGM_RSRC2:TGID_Z_EN: 0
; COMPUTE_PGM_RSRC2:TIDIG_COMP_CNT: 0
	.section	.text._ZN2at6native12_GLOBAL__N_125multi_tensor_apply_kernelINS1_28TensorListScalarListMetadataIdLi2EEENS1_25BinaryOpScalarListFunctorIdLi2ELi1ELi1EEEJNS0_7minimumIdEEEEEvT_T0_DpT1_,"axG",@progbits,_ZN2at6native12_GLOBAL__N_125multi_tensor_apply_kernelINS1_28TensorListScalarListMetadataIdLi2EEENS1_25BinaryOpScalarListFunctorIdLi2ELi1ELi1EEEJNS0_7minimumIdEEEEEvT_T0_DpT1_,comdat
	.globl	_ZN2at6native12_GLOBAL__N_125multi_tensor_apply_kernelINS1_28TensorListScalarListMetadataIdLi2EEENS1_25BinaryOpScalarListFunctorIdLi2ELi1ELi1EEEJNS0_7minimumIdEEEEEvT_T0_DpT1_ ; -- Begin function _ZN2at6native12_GLOBAL__N_125multi_tensor_apply_kernelINS1_28TensorListScalarListMetadataIdLi2EEENS1_25BinaryOpScalarListFunctorIdLi2ELi1ELi1EEEJNS0_7minimumIdEEEEEvT_T0_DpT1_
	.p2align	8
	.type	_ZN2at6native12_GLOBAL__N_125multi_tensor_apply_kernelINS1_28TensorListScalarListMetadataIdLi2EEENS1_25BinaryOpScalarListFunctorIdLi2ELi1ELi1EEEJNS0_7minimumIdEEEEEvT_T0_DpT1_,@function
_ZN2at6native12_GLOBAL__N_125multi_tensor_apply_kernelINS1_28TensorListScalarListMetadataIdLi2EEENS1_25BinaryOpScalarListFunctorIdLi2ELi1ELi1EEEJNS0_7minimumIdEEEEEvT_T0_DpT1_: ; @_ZN2at6native12_GLOBAL__N_125multi_tensor_apply_kernelINS1_28TensorListScalarListMetadataIdLi2EEENS1_25BinaryOpScalarListFunctorIdLi2ELi1ELi1EEEJNS0_7minimumIdEEEEEvT_T0_DpT1_
; %bb.0:
	v_mov_b32_e32 v1, s15
	s_add_u32 s2, s0, s15
	s_mul_hi_u32 s3, s15, 3
	s_mul_i32 s15, s15, 3
	s_addc_u32 s4, s1, 0
	global_load_u8 v1, v1, s[0:1] offset:2048
	s_add_u32 s2, s2, s15
	s_addc_u32 s3, s4, s3
	s_mov_b32 s15, 0
	s_load_b32 s8, s[2:3], 0x940
	s_mov_b32 s21, s15
	s_mov_b32 s23, s15
	s_waitcnt lgkmcnt(0)
	s_ashr_i32 s9, s8, 31
	s_waitcnt vmcnt(0)
	v_readfirstlane_b32 s2, v1
	s_delay_alu instid0(VALU_DEP_1)
	s_lshl_b32 s6, s2, 3
	s_clause 0x3
	s_load_b64 s[2:3], s[0:1], s6 offset:0x0
	s_load_b64 s[10:11], s[0:1], s6 offset:0x600
	;; [unrolled: 1-line block ×4, first 2 shown]
	s_lshl_b64 s[6:7], s[8:9], 19
	s_waitcnt lgkmcnt(0)
	s_add_u32 s16, s2, s6
	s_addc_u32 s17, s3, s7
	s_and_b32 s14, s16, 31
	s_add_u32 s18, s4, s6
	s_addc_u32 s19, s5, s7
	s_and_b32 s20, s12, 3
	s_and_b32 s22, s18, 31
	s_or_b64 s[14:15], s[14:15], s[20:21]
	s_lshl_b64 s[8:9], s[8:9], 16
	s_or_b64 s[14:15], s[22:23], s[14:15]
	s_sub_u32 s12, s12, s8
	s_subb_u32 s13, s13, s9
	s_cmp_eq_u64 s[14:15], 0
	s_mov_b32 s8, -1
	s_cbranch_scc1 .LBB134_21
; %bb.1:
	v_cmp_lt_i64_e64 s8, s[12:13], 1
	s_delay_alu instid0(VALU_DEP_1)
	s_and_b32 vcc_lo, exec_lo, s8
	s_cbranch_vccnz .LBB134_20
; %bb.2:
	s_load_b32 s8, s[0:1], 0xe54
	v_dual_mov_b32 v2, 0 :: v_dual_lshlrev_b32 v1, 3, v0
	v_cmp_gt_u64_e64 s9, 0x10000, s[12:13]
	s_delay_alu instid0(VALU_DEP_2) | instskip(NEXT) | instid1(VALU_DEP_1)
	v_add_co_u32 v9, s14, s2, v1
	v_add_co_ci_u32_e64 v10, null, s3, 0, s14
	v_add_co_u32 v11, s14, s4, v1
	s_delay_alu instid0(VALU_DEP_1)
	v_add_co_ci_u32_e64 v12, null, s5, 0, s14
	s_waitcnt lgkmcnt(0)
	s_and_b32 s14, s8, 0xffff
	s_and_b32 s8, s9, exec_lo
	v_mad_u64_u32 v[3:4], null, s14, 24, v[1:2]
	s_cselect_b32 s9, s13, 0
	s_cselect_b32 s8, s12, 0x10000
	s_lshl_b32 s21, s14, 4
	s_mul_i32 s20, s14, 3
	v_add_co_u32 v1, s21, s21, v1
	s_delay_alu instid0(VALU_DEP_2) | instskip(NEXT) | instid1(VALU_DEP_3)
	v_add_co_u32 v13, vcc_lo, s2, v3
	v_add_co_ci_u32_e32 v14, vcc_lo, s3, v4, vcc_lo
	v_add_co_u32 v17, s20, s20, v0
	v_add_co_u32 v15, vcc_lo, s4, v3
	v_add_co_ci_u32_e64 v2, null, 0, 0, s21
	v_add_co_ci_u32_e64 v18, null, 0, 0, s20
	v_add_co_u32 v21, s20, v0, s14
	v_add_co_ci_u32_e32 v16, vcc_lo, s5, v4, vcc_lo
	v_add_co_u32 v19, vcc_lo, s2, v1
	v_add_co_ci_u32_e32 v20, vcc_lo, s3, v2, vcc_lo
	v_add_co_u32 v22, vcc_lo, s4, v1
	v_lshlrev_b32_e32 v1, 3, v21
	s_lshl_b32 s15, s14, 1
	v_add_co_ci_u32_e32 v23, vcc_lo, s5, v2, vcc_lo
	v_add_co_u32 v25, s15, s15, v0
	s_delay_alu instid0(VALU_DEP_3) | instskip(NEXT) | instid1(VALU_DEP_1)
	v_add_co_u32 v27, s2, s2, v1
	v_add_co_ci_u32_e64 v28, null, s3, 0, s2
	v_add_co_u32 v29, s2, s4, v1
	v_add_co_ci_u32_e64 v24, null, 0, 0, s20
	v_add_co_ci_u32_e64 v26, null, 0, 0, s15
	;; [unrolled: 1-line block ×3, first 2 shown]
	s_lshl_b32 s20, s14, 2
	s_lshl_b32 s21, s14, 5
	s_mov_b64 s[14:15], 0
	s_branch .LBB134_4
.LBB134_3:                              ;   in Loop: Header=BB134_4 Depth=1
	s_or_b32 exec_lo, exec_lo, s3
	v_add_co_u32 v9, vcc_lo, v9, s21
	v_add_co_ci_u32_e32 v10, vcc_lo, 0, v10, vcc_lo
	v_add_co_u32 v11, vcc_lo, v11, s21
	v_add_co_ci_u32_e32 v12, vcc_lo, 0, v12, vcc_lo
	;; [unrolled: 2-line block ×5, first 2 shown]
	s_add_u32 s14, s14, s20
	v_add_co_u32 v22, vcc_lo, v22, s21
	s_addc_u32 s15, s15, 0
	v_add_co_ci_u32_e32 v23, vcc_lo, 0, v23, vcc_lo
	v_cmp_lt_i64_e64 s2, s[14:15], s[12:13]
	v_cmp_gt_u64_e64 s3, 0x10000, s[14:15]
	v_add_co_u32 v27, vcc_lo, v27, s21
	v_add_co_ci_u32_e32 v28, vcc_lo, 0, v28, vcc_lo
	v_add_co_u32 v29, vcc_lo, v29, s21
	v_add_co_ci_u32_e32 v30, vcc_lo, 0, v30, vcc_lo
	s_and_b32 s2, s2, s3
	s_delay_alu instid0(SALU_CYCLE_1)
	s_and_b32 vcc_lo, exec_lo, s2
	s_cbranch_vccz .LBB134_20
.LBB134_4:                              ; =>This Inner Loop Header: Depth=1
	s_waitcnt vmcnt(0)
	v_add_co_u32 v3, s2, v0, s14
	s_delay_alu instid0(VALU_DEP_1) | instskip(SKIP_2) | instid1(VALU_DEP_3)
	v_add_co_ci_u32_e64 v4, null, 0, s15, s2
	v_mov_b32_e32 v1, 0
	v_mov_b32_e32 v2, 0
	v_cmp_gt_u64_e32 vcc_lo, s[8:9], v[3:4]
	s_delay_alu instid0(VALU_DEP_2)
	v_dual_mov_b32 v6, v2 :: v_dual_mov_b32 v5, v1
	s_and_saveexec_b32 s3, vcc_lo
	s_cbranch_execz .LBB134_6
; %bb.5:                                ;   in Loop: Header=BB134_4 Depth=1
	v_add_co_u32 v3, s2, v9, s6
	s_delay_alu instid0(VALU_DEP_1)
	v_add_co_ci_u32_e64 v4, s2, s7, v10, s2
	global_load_b64 v[5:6], v[3:4], off
.LBB134_6:                              ;   in Loop: Header=BB134_4 Depth=1
	s_or_b32 exec_lo, exec_lo, s3
	v_add_co_u32 v3, s2, v21, s14
	s_delay_alu instid0(VALU_DEP_1) | instskip(NEXT) | instid1(VALU_DEP_1)
	v_add_co_ci_u32_e64 v4, s2, s15, v24, s2
	v_cmp_gt_u64_e64 s2, s[8:9], v[3:4]
	s_delay_alu instid0(VALU_DEP_1)
	s_and_saveexec_b32 s4, s2
	s_cbranch_execz .LBB134_8
; %bb.7:                                ;   in Loop: Header=BB134_4 Depth=1
	v_add_co_u32 v1, s3, v27, s6
	s_delay_alu instid0(VALU_DEP_1)
	v_add_co_ci_u32_e64 v2, s3, s7, v28, s3
	global_load_b64 v[1:2], v[1:2], off
.LBB134_8:                              ;   in Loop: Header=BB134_4 Depth=1
	s_or_b32 exec_lo, exec_lo, s4
	v_add_co_u32 v7, s3, v25, s14
	s_delay_alu instid0(VALU_DEP_1) | instskip(SKIP_2) | instid1(VALU_DEP_3)
	v_add_co_ci_u32_e64 v8, s3, s15, v26, s3
	v_mov_b32_e32 v3, 0
	v_mov_b32_e32 v4, 0
	v_cmp_gt_u64_e64 s3, s[8:9], v[7:8]
	s_delay_alu instid0(VALU_DEP_2) | instskip(NEXT) | instid1(VALU_DEP_2)
	v_dual_mov_b32 v8, v4 :: v_dual_mov_b32 v7, v3
	s_and_saveexec_b32 s5, s3
	s_cbranch_execz .LBB134_10
; %bb.9:                                ;   in Loop: Header=BB134_4 Depth=1
	v_add_co_u32 v7, s4, v19, s6
	s_delay_alu instid0(VALU_DEP_1)
	v_add_co_ci_u32_e64 v8, s4, s7, v20, s4
	global_load_b64 v[7:8], v[7:8], off
.LBB134_10:                             ;   in Loop: Header=BB134_4 Depth=1
	s_or_b32 exec_lo, exec_lo, s5
	v_add_co_u32 v31, s4, v17, s14
	s_delay_alu instid0(VALU_DEP_1) | instskip(NEXT) | instid1(VALU_DEP_1)
	v_add_co_ci_u32_e64 v32, s4, s15, v18, s4
	v_cmp_gt_u64_e64 s4, s[8:9], v[31:32]
	s_delay_alu instid0(VALU_DEP_1)
	s_and_saveexec_b32 s22, s4
	s_cbranch_execnz .LBB134_15
; %bb.11:                               ;   in Loop: Header=BB134_4 Depth=1
	s_or_b32 exec_lo, exec_lo, s22
	s_and_saveexec_b32 s22, vcc_lo
	s_cbranch_execnz .LBB134_16
.LBB134_12:                             ;   in Loop: Header=BB134_4 Depth=1
	s_or_b32 exec_lo, exec_lo, s22
	s_and_saveexec_b32 s5, s2
	s_cbranch_execnz .LBB134_17
.LBB134_13:                             ;   in Loop: Header=BB134_4 Depth=1
	s_or_b32 exec_lo, exec_lo, s5
	s_and_saveexec_b32 s5, s3
	s_cbranch_execnz .LBB134_18
.LBB134_14:                             ;   in Loop: Header=BB134_4 Depth=1
	s_or_b32 exec_lo, exec_lo, s5
	s_and_saveexec_b32 s3, s4
	s_cbranch_execz .LBB134_3
	s_branch .LBB134_19
.LBB134_15:                             ;   in Loop: Header=BB134_4 Depth=1
	v_add_co_u32 v3, s5, v13, s6
	s_delay_alu instid0(VALU_DEP_1)
	v_add_co_ci_u32_e64 v4, s5, s7, v14, s5
	global_load_b64 v[3:4], v[3:4], off
	s_or_b32 exec_lo, exec_lo, s22
	s_and_saveexec_b32 s22, vcc_lo
	s_cbranch_execz .LBB134_12
.LBB134_16:                             ;   in Loop: Header=BB134_4 Depth=1
	s_waitcnt vmcnt(0)
	v_cmp_u_f64_e32 vcc_lo, v[5:6], v[5:6]
	v_cmp_gt_f64_e64 s5, s[10:11], v[5:6]
	s_delay_alu instid0(VALU_DEP_1)
	s_or_b32 vcc_lo, vcc_lo, s5
	v_cndmask_b32_e32 v6, s11, v6, vcc_lo
	v_cndmask_b32_e32 v5, s10, v5, vcc_lo
	v_add_co_u32 v31, vcc_lo, v11, s6
	v_add_co_ci_u32_e32 v32, vcc_lo, s7, v12, vcc_lo
	global_store_b64 v[31:32], v[5:6], off
	s_or_b32 exec_lo, exec_lo, s22
	s_and_saveexec_b32 s5, s2
	s_cbranch_execz .LBB134_13
.LBB134_17:                             ;   in Loop: Header=BB134_4 Depth=1
	s_waitcnt vmcnt(0)
	v_cmp_u_f64_e32 vcc_lo, v[1:2], v[1:2]
	v_cmp_gt_f64_e64 s2, s[10:11], v[1:2]
	s_delay_alu instid0(VALU_DEP_1)
	s_or_b32 vcc_lo, vcc_lo, s2
	v_cndmask_b32_e32 v2, s11, v2, vcc_lo
	v_cndmask_b32_e32 v1, s10, v1, vcc_lo
	v_add_co_u32 v5, vcc_lo, v29, s6
	v_add_co_ci_u32_e32 v6, vcc_lo, s7, v30, vcc_lo
	global_store_b64 v[5:6], v[1:2], off
	s_or_b32 exec_lo, exec_lo, s5
	s_and_saveexec_b32 s5, s3
	s_cbranch_execz .LBB134_14
.LBB134_18:                             ;   in Loop: Header=BB134_4 Depth=1
	s_waitcnt vmcnt(0)
	v_cmp_u_f64_e32 vcc_lo, v[7:8], v[7:8]
	v_cmp_gt_f64_e64 s2, s[10:11], v[7:8]
	s_delay_alu instid0(VALU_DEP_1)
	s_or_b32 vcc_lo, vcc_lo, s2
	v_cndmask_b32_e32 v2, s11, v8, vcc_lo
	v_cndmask_b32_e32 v1, s10, v7, vcc_lo
	v_add_co_u32 v5, vcc_lo, v22, s6
	v_add_co_ci_u32_e32 v6, vcc_lo, s7, v23, vcc_lo
	global_store_b64 v[5:6], v[1:2], off
	s_or_b32 exec_lo, exec_lo, s5
	s_and_saveexec_b32 s3, s4
	s_cbranch_execz .LBB134_3
.LBB134_19:                             ;   in Loop: Header=BB134_4 Depth=1
	s_waitcnt vmcnt(0)
	v_cmp_u_f64_e32 vcc_lo, v[3:4], v[3:4]
	v_cmp_gt_f64_e64 s2, s[10:11], v[3:4]
	s_delay_alu instid0(VALU_DEP_1)
	s_or_b32 vcc_lo, vcc_lo, s2
	v_cndmask_b32_e32 v2, s11, v4, vcc_lo
	v_cndmask_b32_e32 v1, s10, v3, vcc_lo
	v_add_co_u32 v3, vcc_lo, v15, s6
	v_add_co_ci_u32_e32 v4, vcc_lo, s7, v16, vcc_lo
	global_store_b64 v[3:4], v[1:2], off
	s_branch .LBB134_3
.LBB134_20:
	s_mov_b32 s8, 0
.LBB134_21:
	s_delay_alu instid0(SALU_CYCLE_1)
	s_and_not1_b32 vcc_lo, exec_lo, s8
	s_cbranch_vccnz .LBB134_25
; %bb.22:
	s_waitcnt vmcnt(0)
	v_dual_mov_b32 v2, 0 :: v_dual_lshlrev_b32 v1, 2, v0
	s_mov_b32 s14, 0
	s_mov_b32 s2, exec_lo
	s_delay_alu instid0(VALU_DEP_1)
	v_cmpx_gt_i64_e64 s[12:13], v[1:2]
	s_cbranch_execz .LBB134_25
; %bb.23:
	s_load_b32 s0, s[0:1], 0xe54
	s_waitcnt lgkmcnt(0)
	s_and_b32 s0, s0, 0xffff
	s_delay_alu instid0(SALU_CYCLE_1)
	v_add_lshl_u32 v1, v0, s0, 2
	v_lshlrev_b32_e32 v0, 5, v0
	s_lshl_b32 s15, s0, 2
	s_lshl_b32 s20, s0, 5
.LBB134_24:                             ; =>This Inner Loop Header: Depth=1
	s_delay_alu instid0(VALU_DEP_1) | instskip(NEXT) | instid1(VALU_DEP_1)
	v_add_co_u32 v7, s0, s16, v0
	v_add_co_ci_u32_e64 v8, null, s17, 0, s0
	v_cmp_le_i64_e64 s7, s[12:13], v[1:2]
	v_cmp_lt_u64_e64 s8, 0xffff, v[1:2]
	v_add_co_u32 v11, s9, s18, v0
	s_clause 0x1
	global_load_b128 v[3:6], v[7:8], off
	global_load_b128 v[7:10], v[7:8], off offset:16
	v_add_co_ci_u32_e64 v12, null, s19, 0, s9
	s_or_b32 s7, s7, s8
	v_add_co_u32 v1, s9, v1, s15
	s_delay_alu instid0(VALU_DEP_1)
	v_add_co_ci_u32_e64 v2, s9, 0, v2, s9
	s_waitcnt vmcnt(1)
	v_cmp_u_f64_e32 vcc_lo, v[3:4], v[3:4]
	v_cmp_gt_f64_e64 s0, s[10:11], v[3:4]
	v_cmp_u_f64_e64 s1, v[5:6], v[5:6]
	v_cmp_gt_f64_e64 s2, s[10:11], v[5:6]
	s_waitcnt vmcnt(0)
	v_cmp_u_f64_e64 s3, v[7:8], v[7:8]
	v_cmp_gt_f64_e64 s4, s[10:11], v[7:8]
	v_cmp_u_f64_e64 s5, v[9:10], v[9:10]
	v_cmp_gt_f64_e64 s6, s[10:11], v[9:10]
	s_or_b32 vcc_lo, vcc_lo, s0
	s_or_b32 s0, s1, s2
	v_cndmask_b32_e32 v4, s11, v4, vcc_lo
	s_delay_alu instid0(VALU_DEP_4) | instskip(SKIP_1) | instid1(VALU_DEP_3)
	s_or_b32 s1, s3, s4
	v_cndmask_b32_e64 v6, s11, v6, s0
	s_or_b32 s2, s5, s6
	s_add_u32 s16, s16, s20
	s_addc_u32 s17, s17, 0
	s_add_u32 s18, s18, s20
	v_cndmask_b32_e32 v3, s10, v3, vcc_lo
	v_cndmask_b32_e64 v5, s10, v5, s0
	s_addc_u32 s19, s19, 0
	v_cndmask_b32_e64 v8, s11, v8, s1
	v_cndmask_b32_e64 v10, s11, v10, s2
	;; [unrolled: 1-line block ×4, first 2 shown]
	s_and_b32 s0, exec_lo, s7
	s_clause 0x1
	global_store_b128 v[11:12], v[3:6], off
	global_store_b128 v[11:12], v[7:10], off offset:16
	s_or_b32 s14, s0, s14
	s_delay_alu instid0(SALU_CYCLE_1)
	s_and_not1_b32 exec_lo, exec_lo, s14
	s_cbranch_execnz .LBB134_24
.LBB134_25:
	s_nop 0
	s_sendmsg sendmsg(MSG_DEALLOC_VGPRS)
	s_endpgm
	.section	.rodata,"a",@progbits
	.p2align	6, 0x0
	.amdhsa_kernel _ZN2at6native12_GLOBAL__N_125multi_tensor_apply_kernelINS1_28TensorListScalarListMetadataIdLi2EEENS1_25BinaryOpScalarListFunctorIdLi2ELi1ELi1EEEJNS0_7minimumIdEEEEEvT_T0_DpT1_
		.amdhsa_group_segment_fixed_size 0
		.amdhsa_private_segment_fixed_size 0
		.amdhsa_kernarg_size 3912
		.amdhsa_user_sgpr_count 15
		.amdhsa_user_sgpr_dispatch_ptr 0
		.amdhsa_user_sgpr_queue_ptr 0
		.amdhsa_user_sgpr_kernarg_segment_ptr 1
		.amdhsa_user_sgpr_dispatch_id 0
		.amdhsa_user_sgpr_private_segment_size 0
		.amdhsa_wavefront_size32 1
		.amdhsa_uses_dynamic_stack 0
		.amdhsa_enable_private_segment 0
		.amdhsa_system_sgpr_workgroup_id_x 1
		.amdhsa_system_sgpr_workgroup_id_y 0
		.amdhsa_system_sgpr_workgroup_id_z 0
		.amdhsa_system_sgpr_workgroup_info 0
		.amdhsa_system_vgpr_workitem_id 0
		.amdhsa_next_free_vgpr 33
		.amdhsa_next_free_sgpr 24
		.amdhsa_reserve_vcc 1
		.amdhsa_float_round_mode_32 0
		.amdhsa_float_round_mode_16_64 0
		.amdhsa_float_denorm_mode_32 3
		.amdhsa_float_denorm_mode_16_64 3
		.amdhsa_dx10_clamp 1
		.amdhsa_ieee_mode 1
		.amdhsa_fp16_overflow 0
		.amdhsa_workgroup_processor_mode 1
		.amdhsa_memory_ordered 1
		.amdhsa_forward_progress 0
		.amdhsa_shared_vgpr_count 0
		.amdhsa_exception_fp_ieee_invalid_op 0
		.amdhsa_exception_fp_denorm_src 0
		.amdhsa_exception_fp_ieee_div_zero 0
		.amdhsa_exception_fp_ieee_overflow 0
		.amdhsa_exception_fp_ieee_underflow 0
		.amdhsa_exception_fp_ieee_inexact 0
		.amdhsa_exception_int_div_zero 0
	.end_amdhsa_kernel
	.section	.text._ZN2at6native12_GLOBAL__N_125multi_tensor_apply_kernelINS1_28TensorListScalarListMetadataIdLi2EEENS1_25BinaryOpScalarListFunctorIdLi2ELi1ELi1EEEJNS0_7minimumIdEEEEEvT_T0_DpT1_,"axG",@progbits,_ZN2at6native12_GLOBAL__N_125multi_tensor_apply_kernelINS1_28TensorListScalarListMetadataIdLi2EEENS1_25BinaryOpScalarListFunctorIdLi2ELi1ELi1EEEJNS0_7minimumIdEEEEEvT_T0_DpT1_,comdat
.Lfunc_end134:
	.size	_ZN2at6native12_GLOBAL__N_125multi_tensor_apply_kernelINS1_28TensorListScalarListMetadataIdLi2EEENS1_25BinaryOpScalarListFunctorIdLi2ELi1ELi1EEEJNS0_7minimumIdEEEEEvT_T0_DpT1_, .Lfunc_end134-_ZN2at6native12_GLOBAL__N_125multi_tensor_apply_kernelINS1_28TensorListScalarListMetadataIdLi2EEENS1_25BinaryOpScalarListFunctorIdLi2ELi1ELi1EEEJNS0_7minimumIdEEEEEvT_T0_DpT1_
                                        ; -- End function
	.section	.AMDGPU.csdata,"",@progbits
; Kernel info:
; codeLenInByte = 1672
; NumSgprs: 26
; NumVgprs: 33
; ScratchSize: 0
; MemoryBound: 0
; FloatMode: 240
; IeeeMode: 1
; LDSByteSize: 0 bytes/workgroup (compile time only)
; SGPRBlocks: 3
; VGPRBlocks: 4
; NumSGPRsForWavesPerEU: 26
; NumVGPRsForWavesPerEU: 33
; Occupancy: 16
; WaveLimiterHint : 1
; COMPUTE_PGM_RSRC2:SCRATCH_EN: 0
; COMPUTE_PGM_RSRC2:USER_SGPR: 15
; COMPUTE_PGM_RSRC2:TRAP_HANDLER: 0
; COMPUTE_PGM_RSRC2:TGID_X_EN: 1
; COMPUTE_PGM_RSRC2:TGID_Y_EN: 0
; COMPUTE_PGM_RSRC2:TGID_Z_EN: 0
; COMPUTE_PGM_RSRC2:TIDIG_COMP_CNT: 0
	.section	.text._ZN2at6native12_GLOBAL__N_125multi_tensor_apply_kernelINS1_28TensorListScalarListMetadataIfLi2EEENS1_25BinaryOpScalarListFunctorIfLi2ELi1ELi1EEEJNS0_7minimumIfEEEEEvT_T0_DpT1_,"axG",@progbits,_ZN2at6native12_GLOBAL__N_125multi_tensor_apply_kernelINS1_28TensorListScalarListMetadataIfLi2EEENS1_25BinaryOpScalarListFunctorIfLi2ELi1ELi1EEEJNS0_7minimumIfEEEEEvT_T0_DpT1_,comdat
	.globl	_ZN2at6native12_GLOBAL__N_125multi_tensor_apply_kernelINS1_28TensorListScalarListMetadataIfLi2EEENS1_25BinaryOpScalarListFunctorIfLi2ELi1ELi1EEEJNS0_7minimumIfEEEEEvT_T0_DpT1_ ; -- Begin function _ZN2at6native12_GLOBAL__N_125multi_tensor_apply_kernelINS1_28TensorListScalarListMetadataIfLi2EEENS1_25BinaryOpScalarListFunctorIfLi2ELi1ELi1EEEJNS0_7minimumIfEEEEEvT_T0_DpT1_
	.p2align	8
	.type	_ZN2at6native12_GLOBAL__N_125multi_tensor_apply_kernelINS1_28TensorListScalarListMetadataIfLi2EEENS1_25BinaryOpScalarListFunctorIfLi2ELi1ELi1EEEJNS0_7minimumIfEEEEEvT_T0_DpT1_,@function
_ZN2at6native12_GLOBAL__N_125multi_tensor_apply_kernelINS1_28TensorListScalarListMetadataIfLi2EEENS1_25BinaryOpScalarListFunctorIfLi2ELi1ELi1EEEJNS0_7minimumIfEEEEEvT_T0_DpT1_: ; @_ZN2at6native12_GLOBAL__N_125multi_tensor_apply_kernelINS1_28TensorListScalarListMetadataIfLi2EEENS1_25BinaryOpScalarListFunctorIfLi2ELi1ELi1EEEJNS0_7minimumIfEEEEEvT_T0_DpT1_
; %bb.0:
	v_mov_b32_e32 v1, s15
	s_add_u32 s2, s0, s15
	s_mul_hi_u32 s3, s15, 3
	s_mul_i32 s15, s15, 3
	s_addc_u32 s4, s1, 0
	global_load_u8 v1, v1, s[0:1] offset:1792
	s_add_u32 s2, s2, s15
	s_addc_u32 s3, s4, s3
	s_mov_b32 s13, 0
	s_load_b32 s8, s[2:3], 0x840
	s_waitcnt lgkmcnt(0)
	s_ashr_i32 s9, s8, 31
	s_waitcnt vmcnt(0)
	v_readfirstlane_b32 s2, v1
	v_lshlrev_b32_e32 v1, 2, v1
	s_delay_alu instid0(VALU_DEP_2)
	s_lshl_b32 s6, s2, 3
	s_clause 0x2
	s_load_b64 s[10:11], s[0:1], s6 offset:0x400
	s_load_b64 s[4:5], s[0:1], s6 offset:0x0
	;; [unrolled: 1-line block ×3, first 2 shown]
	s_add_u32 s6, s0, s6
	s_addc_u32 s7, s1, 0
	v_sub_co_u32 v1, s6, s6, v1
	s_delay_alu instid0(VALU_DEP_1) | instskip(NEXT) | instid1(VALU_DEP_2)
	v_sub_co_ci_u32_e64 v2, null, s7, 0, s6
	v_readfirstlane_b32 s6, v1
	s_delay_alu instid0(VALU_DEP_2)
	v_readfirstlane_b32 s7, v2
	s_load_b32 s14, s[6:7], 0x600
	s_lshl_b64 s[6:7], s[8:9], 18
	s_waitcnt lgkmcnt(0)
	s_add_u32 s15, s4, s6
	s_addc_u32 s16, s5, s7
	s_and_b32 s12, s15, 15
	s_add_u32 s17, s2, s6
	s_addc_u32 s18, s3, s7
	s_and_b32 s19, s10, 3
	s_and_b32 s20, s17, 15
	s_or_b32 s12, s12, s19
	s_lshl_b64 s[8:9], s[8:9], 16
	s_or_b32 s12, s20, s12
	s_sub_u32 s8, s10, s8
	s_subb_u32 s9, s11, s9
	s_cmp_eq_u64 s[12:13], 0
	s_mov_b32 s10, -1
	s_cbranch_scc1 .LBB135_21
; %bb.1:
	v_cmp_lt_i64_e64 s10, s[8:9], 1
	s_delay_alu instid0(VALU_DEP_1)
	s_and_b32 vcc_lo, exec_lo, s10
	s_cbranch_vccnz .LBB135_20
; %bb.2:
	s_load_b32 s10, s[0:1], 0xd54
	v_dual_mov_b32 v10, 0 :: v_dual_lshlrev_b32 v9, 2, v0
	v_cmp_gt_u64_e64 s11, 0x10000, s[8:9]
	s_delay_alu instid0(VALU_DEP_2) | instskip(NEXT) | instid1(VALU_DEP_1)
	v_add_co_u32 v1, s12, s4, v9
	v_add_co_ci_u32_e64 v2, null, s5, 0, s12
	v_add_co_u32 v3, s12, s2, v9
	s_delay_alu instid0(VALU_DEP_1)
	v_add_co_ci_u32_e64 v4, null, s3, 0, s12
	s_waitcnt lgkmcnt(0)
	s_and_b32 s12, s10, 0xffff
	s_and_b32 s10, s11, exec_lo
	v_mad_u64_u32 v[7:8], null, s12, 12, v[9:10]
	s_cselect_b32 s11, s9, 0
	s_cselect_b32 s10, s8, 0x10000
	s_mul_i32 s19, s12, 3
	s_lshl_b32 s20, s12, 3
	s_lshl_b32 s13, s12, 1
	v_add_co_u32 v14, s20, s20, v9
	v_add_co_u32 v9, s19, s19, v0
	s_delay_alu instid0(VALU_DEP_1)
	v_add_co_ci_u32_e64 v10, null, 0, 0, s19
	v_add_co_u32 v13, s19, v0, s12
	v_add_co_u32 v5, vcc_lo, s4, v7
	v_add_co_ci_u32_e32 v6, vcc_lo, s5, v8, vcc_lo
	v_add_co_u32 v7, vcc_lo, s2, v7
	v_add_co_ci_u32_e64 v15, null, 0, 0, s20
	v_lshlrev_b32_e32 v21, 2, v13
	v_add_co_ci_u32_e32 v8, vcc_lo, s3, v8, vcc_lo
	v_add_co_u32 v11, vcc_lo, s4, v14
	s_delay_alu instid0(VALU_DEP_4)
	v_add_co_ci_u32_e32 v12, vcc_lo, s5, v15, vcc_lo
	v_add_co_u32 v14, vcc_lo, s2, v14
	v_add_co_u32 v17, s13, s13, v0
	v_add_co_u32 v19, s4, s4, v21
	v_add_co_u32 v21, s2, s2, v21
	v_add_co_ci_u32_e32 v15, vcc_lo, s3, v15, vcc_lo
	v_add_co_ci_u32_e64 v16, null, 0, 0, s19
	v_add_co_ci_u32_e64 v18, null, 0, 0, s13
	;; [unrolled: 1-line block ×4, first 2 shown]
	s_lshl_b32 s19, s12, 2
	s_lshl_b32 s20, s12, 4
	s_mov_b64 s[12:13], 0
	s_branch .LBB135_4
.LBB135_3:                              ;   in Loop: Header=BB135_4 Depth=1
	s_or_b32 exec_lo, exec_lo, s3
	v_add_co_u32 v1, vcc_lo, v1, s20
	v_add_co_ci_u32_e32 v2, vcc_lo, 0, v2, vcc_lo
	v_add_co_u32 v3, vcc_lo, v3, s20
	v_add_co_ci_u32_e32 v4, vcc_lo, 0, v4, vcc_lo
	;; [unrolled: 2-line block ×5, first 2 shown]
	s_add_u32 s12, s12, s19
	v_add_co_u32 v14, vcc_lo, v14, s20
	s_addc_u32 s13, s13, 0
	v_add_co_ci_u32_e32 v15, vcc_lo, 0, v15, vcc_lo
	v_cmp_lt_i64_e64 s2, s[12:13], s[8:9]
	v_cmp_gt_u64_e64 s3, 0x10000, s[12:13]
	v_add_co_u32 v19, vcc_lo, v19, s20
	v_add_co_ci_u32_e32 v20, vcc_lo, 0, v20, vcc_lo
	v_add_co_u32 v21, vcc_lo, v21, s20
	v_add_co_ci_u32_e32 v22, vcc_lo, 0, v22, vcc_lo
	s_and_b32 s2, s2, s3
	s_delay_alu instid0(SALU_CYCLE_1)
	s_and_b32 vcc_lo, exec_lo, s2
	s_cbranch_vccz .LBB135_20
.LBB135_4:                              ; =>This Inner Loop Header: Depth=1
	s_waitcnt vmcnt(0)
	v_add_co_u32 v23, s2, v0, s12
	s_delay_alu instid0(VALU_DEP_1) | instskip(NEXT) | instid1(VALU_DEP_1)
	v_add_co_ci_u32_e64 v24, null, 0, s13, s2
	v_cmp_gt_u64_e32 vcc_lo, s[10:11], v[23:24]
	v_mov_b32_e32 v24, 0
	s_and_saveexec_b32 s3, vcc_lo
	s_cbranch_execz .LBB135_6
; %bb.5:                                ;   in Loop: Header=BB135_4 Depth=1
	v_add_co_u32 v23, s2, v1, s6
	s_delay_alu instid0(VALU_DEP_1)
	v_add_co_ci_u32_e64 v24, s2, s7, v2, s2
	global_load_b32 v24, v[23:24], off
.LBB135_6:                              ;   in Loop: Header=BB135_4 Depth=1
	s_or_b32 exec_lo, exec_lo, s3
	v_add_co_u32 v25, s2, v13, s12
	s_delay_alu instid0(VALU_DEP_1) | instskip(NEXT) | instid1(VALU_DEP_1)
	v_add_co_ci_u32_e64 v26, s2, s13, v16, s2
	v_cmp_gt_u64_e64 s2, s[10:11], v[25:26]
	v_mov_b32_e32 v25, 0
	s_delay_alu instid0(VALU_DEP_2)
	s_and_saveexec_b32 s4, s2
	s_cbranch_execz .LBB135_8
; %bb.7:                                ;   in Loop: Header=BB135_4 Depth=1
	v_add_co_u32 v25, s3, v19, s6
	s_delay_alu instid0(VALU_DEP_1)
	v_add_co_ci_u32_e64 v26, s3, s7, v20, s3
	global_load_b32 v25, v[25:26], off
.LBB135_8:                              ;   in Loop: Header=BB135_4 Depth=1
	s_or_b32 exec_lo, exec_lo, s4
	v_add_co_u32 v26, s3, v17, s12
	s_delay_alu instid0(VALU_DEP_1) | instskip(SKIP_1) | instid1(VALU_DEP_2)
	v_add_co_ci_u32_e64 v27, s3, s13, v18, s3
	v_mov_b32_e32 v23, 0
	v_cmp_gt_u64_e64 s3, s[10:11], v[26:27]
	v_mov_b32_e32 v26, 0
	s_delay_alu instid0(VALU_DEP_2)
	s_and_saveexec_b32 s5, s3
	s_cbranch_execz .LBB135_10
; %bb.9:                                ;   in Loop: Header=BB135_4 Depth=1
	v_add_co_u32 v26, s4, v11, s6
	s_delay_alu instid0(VALU_DEP_1)
	v_add_co_ci_u32_e64 v27, s4, s7, v12, s4
	global_load_b32 v26, v[26:27], off
.LBB135_10:                             ;   in Loop: Header=BB135_4 Depth=1
	s_or_b32 exec_lo, exec_lo, s5
	v_add_co_u32 v27, s4, v9, s12
	s_delay_alu instid0(VALU_DEP_1) | instskip(NEXT) | instid1(VALU_DEP_1)
	v_add_co_ci_u32_e64 v28, s4, s13, v10, s4
	v_cmp_gt_u64_e64 s4, s[10:11], v[27:28]
	s_delay_alu instid0(VALU_DEP_1)
	s_and_saveexec_b32 s21, s4
	s_cbranch_execnz .LBB135_15
; %bb.11:                               ;   in Loop: Header=BB135_4 Depth=1
	s_or_b32 exec_lo, exec_lo, s21
	s_and_saveexec_b32 s21, vcc_lo
	s_cbranch_execnz .LBB135_16
.LBB135_12:                             ;   in Loop: Header=BB135_4 Depth=1
	s_or_b32 exec_lo, exec_lo, s21
	s_and_saveexec_b32 s5, s2
	s_cbranch_execnz .LBB135_17
.LBB135_13:                             ;   in Loop: Header=BB135_4 Depth=1
	s_or_b32 exec_lo, exec_lo, s5
	s_and_saveexec_b32 s5, s3
	s_cbranch_execnz .LBB135_18
.LBB135_14:                             ;   in Loop: Header=BB135_4 Depth=1
	s_or_b32 exec_lo, exec_lo, s5
	s_and_saveexec_b32 s3, s4
	s_cbranch_execz .LBB135_3
	s_branch .LBB135_19
.LBB135_15:                             ;   in Loop: Header=BB135_4 Depth=1
	v_add_co_u32 v27, s5, v5, s6
	s_delay_alu instid0(VALU_DEP_1)
	v_add_co_ci_u32_e64 v28, s5, s7, v6, s5
	global_load_b32 v23, v[27:28], off
	s_or_b32 exec_lo, exec_lo, s21
	s_and_saveexec_b32 s21, vcc_lo
	s_cbranch_execz .LBB135_12
.LBB135_16:                             ;   in Loop: Header=BB135_4 Depth=1
	s_waitcnt vmcnt(0)
	v_cmp_u_f32_e32 vcc_lo, v24, v24
	v_cmp_gt_f32_e64 s5, s14, v24
	s_delay_alu instid0(VALU_DEP_1)
	s_or_b32 vcc_lo, vcc_lo, s5
	v_cndmask_b32_e32 v24, s14, v24, vcc_lo
	v_add_co_u32 v27, vcc_lo, v3, s6
	v_add_co_ci_u32_e32 v28, vcc_lo, s7, v4, vcc_lo
	global_store_b32 v[27:28], v24, off
	s_or_b32 exec_lo, exec_lo, s21
	s_and_saveexec_b32 s5, s2
	s_cbranch_execz .LBB135_13
.LBB135_17:                             ;   in Loop: Header=BB135_4 Depth=1
	s_waitcnt vmcnt(0)
	v_cmp_u_f32_e32 vcc_lo, v25, v25
	v_cmp_gt_f32_e64 s2, s14, v25
	s_delay_alu instid0(VALU_DEP_1)
	s_or_b32 vcc_lo, vcc_lo, s2
	v_cndmask_b32_e32 v27, s14, v25, vcc_lo
	v_add_co_u32 v24, vcc_lo, v21, s6
	v_add_co_ci_u32_e32 v25, vcc_lo, s7, v22, vcc_lo
	global_store_b32 v[24:25], v27, off
	s_or_b32 exec_lo, exec_lo, s5
	s_and_saveexec_b32 s5, s3
	s_cbranch_execz .LBB135_14
.LBB135_18:                             ;   in Loop: Header=BB135_4 Depth=1
	s_waitcnt vmcnt(0)
	v_cmp_u_f32_e32 vcc_lo, v26, v26
	v_cmp_gt_f32_e64 s2, s14, v26
	s_delay_alu instid0(VALU_DEP_1)
	s_or_b32 vcc_lo, vcc_lo, s2
	v_cndmask_b32_e32 v26, s14, v26, vcc_lo
	v_add_co_u32 v24, vcc_lo, v14, s6
	v_add_co_ci_u32_e32 v25, vcc_lo, s7, v15, vcc_lo
	global_store_b32 v[24:25], v26, off
	s_or_b32 exec_lo, exec_lo, s5
	s_and_saveexec_b32 s3, s4
	s_cbranch_execz .LBB135_3
.LBB135_19:                             ;   in Loop: Header=BB135_4 Depth=1
	s_waitcnt vmcnt(0)
	v_cmp_u_f32_e32 vcc_lo, v23, v23
	v_cmp_gt_f32_e64 s2, s14, v23
	s_delay_alu instid0(VALU_DEP_1)
	s_or_b32 vcc_lo, vcc_lo, s2
	v_cndmask_b32_e32 v25, s14, v23, vcc_lo
	v_add_co_u32 v23, vcc_lo, v7, s6
	v_add_co_ci_u32_e32 v24, vcc_lo, s7, v8, vcc_lo
	global_store_b32 v[23:24], v25, off
	s_branch .LBB135_3
.LBB135_20:
	s_mov_b32 s10, 0
.LBB135_21:
	s_delay_alu instid0(SALU_CYCLE_1)
	s_and_not1_b32 vcc_lo, exec_lo, s10
	s_cbranch_vccnz .LBB135_25
; %bb.22:
	v_dual_mov_b32 v2, 0 :: v_dual_lshlrev_b32 v1, 2, v0
	s_mov_b32 s7, 0
	s_mov_b32 s2, exec_lo
	s_delay_alu instid0(VALU_DEP_1)
	v_cmpx_gt_i64_e64 s[8:9], v[1:2]
	s_cbranch_execz .LBB135_25
; %bb.23:
	s_load_b32 s0, s[0:1], 0xd54
	s_waitcnt lgkmcnt(0)
	s_and_b32 s0, s0, 0xffff
	s_delay_alu instid0(SALU_CYCLE_1)
	v_add_lshl_u32 v1, v0, s0, 2
	v_lshlrev_b32_e32 v0, 4, v0
	s_lshl_b32 s10, s0, 2
	s_lshl_b32 s11, s0, 4
.LBB135_24:                             ; =>This Inner Loop Header: Depth=1
	s_delay_alu instid0(VALU_DEP_1) | instskip(NEXT) | instid1(VALU_DEP_1)
	v_add_co_u32 v3, s0, s15, v0
	v_add_co_ci_u32_e64 v4, null, s16, 0, s0
	v_cmp_le_i64_e32 vcc_lo, s[8:9], v[1:2]
	v_cmp_lt_u64_e64 s0, 0xffff, v[1:2]
	v_add_co_u32 v7, s1, s17, v0
	global_load_b128 v[3:6], v[3:4], off
	v_add_co_ci_u32_e64 v8, null, s18, 0, s1
	v_add_co_u32 v1, s1, v1, s10
	s_or_b32 s12, vcc_lo, s0
	v_add_co_ci_u32_e64 v2, s1, 0, v2, s1
	s_waitcnt vmcnt(0)
	v_cmp_u_f32_e32 vcc_lo, v3, v3
	v_cmp_gt_f32_e64 s0, s14, v3
	v_cmp_u_f32_e64 s1, v4, v4
	v_cmp_gt_f32_e64 s2, s14, v4
	v_cmp_u_f32_e64 s3, v5, v5
	v_cmp_gt_f32_e64 s4, s14, v5
	s_or_b32 vcc_lo, vcc_lo, s0
	v_cmp_u_f32_e64 s5, v6, v6
	v_cmp_gt_f32_e64 s6, s14, v6
	v_cndmask_b32_e32 v3, s14, v3, vcc_lo
	s_or_b32 vcc_lo, s1, s2
	v_cndmask_b32_e32 v4, s14, v4, vcc_lo
	s_or_b32 vcc_lo, s3, s4
	;; [unrolled: 2-line block ×3, first 2 shown]
	s_add_u32 s15, s15, s11
	s_addc_u32 s16, s16, 0
	s_add_u32 s17, s17, s11
	v_cndmask_b32_e32 v6, s14, v6, vcc_lo
	s_addc_u32 s18, s18, 0
	s_and_b32 s0, exec_lo, s12
	s_delay_alu instid0(SALU_CYCLE_1)
	s_or_b32 s7, s0, s7
	global_store_b128 v[7:8], v[3:6], off
	s_and_not1_b32 exec_lo, exec_lo, s7
	s_cbranch_execnz .LBB135_24
.LBB135_25:
	s_nop 0
	s_sendmsg sendmsg(MSG_DEALLOC_VGPRS)
	s_endpgm
	.section	.rodata,"a",@progbits
	.p2align	6, 0x0
	.amdhsa_kernel _ZN2at6native12_GLOBAL__N_125multi_tensor_apply_kernelINS1_28TensorListScalarListMetadataIfLi2EEENS1_25BinaryOpScalarListFunctorIfLi2ELi1ELi1EEEJNS0_7minimumIfEEEEEvT_T0_DpT1_
		.amdhsa_group_segment_fixed_size 0
		.amdhsa_private_segment_fixed_size 0
		.amdhsa_kernarg_size 3656
		.amdhsa_user_sgpr_count 15
		.amdhsa_user_sgpr_dispatch_ptr 0
		.amdhsa_user_sgpr_queue_ptr 0
		.amdhsa_user_sgpr_kernarg_segment_ptr 1
		.amdhsa_user_sgpr_dispatch_id 0
		.amdhsa_user_sgpr_private_segment_size 0
		.amdhsa_wavefront_size32 1
		.amdhsa_uses_dynamic_stack 0
		.amdhsa_enable_private_segment 0
		.amdhsa_system_sgpr_workgroup_id_x 1
		.amdhsa_system_sgpr_workgroup_id_y 0
		.amdhsa_system_sgpr_workgroup_id_z 0
		.amdhsa_system_sgpr_workgroup_info 0
		.amdhsa_system_vgpr_workitem_id 0
		.amdhsa_next_free_vgpr 29
		.amdhsa_next_free_sgpr 22
		.amdhsa_reserve_vcc 1
		.amdhsa_float_round_mode_32 0
		.amdhsa_float_round_mode_16_64 0
		.amdhsa_float_denorm_mode_32 3
		.amdhsa_float_denorm_mode_16_64 3
		.amdhsa_dx10_clamp 1
		.amdhsa_ieee_mode 1
		.amdhsa_fp16_overflow 0
		.amdhsa_workgroup_processor_mode 1
		.amdhsa_memory_ordered 1
		.amdhsa_forward_progress 0
		.amdhsa_shared_vgpr_count 0
		.amdhsa_exception_fp_ieee_invalid_op 0
		.amdhsa_exception_fp_denorm_src 0
		.amdhsa_exception_fp_ieee_div_zero 0
		.amdhsa_exception_fp_ieee_overflow 0
		.amdhsa_exception_fp_ieee_underflow 0
		.amdhsa_exception_fp_ieee_inexact 0
		.amdhsa_exception_int_div_zero 0
	.end_amdhsa_kernel
	.section	.text._ZN2at6native12_GLOBAL__N_125multi_tensor_apply_kernelINS1_28TensorListScalarListMetadataIfLi2EEENS1_25BinaryOpScalarListFunctorIfLi2ELi1ELi1EEEJNS0_7minimumIfEEEEEvT_T0_DpT1_,"axG",@progbits,_ZN2at6native12_GLOBAL__N_125multi_tensor_apply_kernelINS1_28TensorListScalarListMetadataIfLi2EEENS1_25BinaryOpScalarListFunctorIfLi2ELi1ELi1EEEJNS0_7minimumIfEEEEEvT_T0_DpT1_,comdat
.Lfunc_end135:
	.size	_ZN2at6native12_GLOBAL__N_125multi_tensor_apply_kernelINS1_28TensorListScalarListMetadataIfLi2EEENS1_25BinaryOpScalarListFunctorIfLi2ELi1ELi1EEEJNS0_7minimumIfEEEEEvT_T0_DpT1_, .Lfunc_end135-_ZN2at6native12_GLOBAL__N_125multi_tensor_apply_kernelINS1_28TensorListScalarListMetadataIfLi2EEENS1_25BinaryOpScalarListFunctorIfLi2ELi1ELi1EEEJNS0_7minimumIfEEEEEvT_T0_DpT1_
                                        ; -- End function
	.section	.AMDGPU.csdata,"",@progbits
; Kernel info:
; codeLenInByte = 1588
; NumSgprs: 24
; NumVgprs: 29
; ScratchSize: 0
; MemoryBound: 0
; FloatMode: 240
; IeeeMode: 1
; LDSByteSize: 0 bytes/workgroup (compile time only)
; SGPRBlocks: 2
; VGPRBlocks: 3
; NumSGPRsForWavesPerEU: 24
; NumVGPRsForWavesPerEU: 29
; Occupancy: 16
; WaveLimiterHint : 0
; COMPUTE_PGM_RSRC2:SCRATCH_EN: 0
; COMPUTE_PGM_RSRC2:USER_SGPR: 15
; COMPUTE_PGM_RSRC2:TRAP_HANDLER: 0
; COMPUTE_PGM_RSRC2:TGID_X_EN: 1
; COMPUTE_PGM_RSRC2:TGID_Y_EN: 0
; COMPUTE_PGM_RSRC2:TGID_Z_EN: 0
; COMPUTE_PGM_RSRC2:TIDIG_COMP_CNT: 0
	.section	.text._ZN2at6native12_GLOBAL__N_125multi_tensor_apply_kernelINS1_28TensorListScalarListMetadataIfLi2EEENS1_25BinaryOpScalarListFunctorIN3c104HalfELi2ELi1ELi1EEEJNS0_7minimumIfEEEEEvT_T0_DpT1_,"axG",@progbits,_ZN2at6native12_GLOBAL__N_125multi_tensor_apply_kernelINS1_28TensorListScalarListMetadataIfLi2EEENS1_25BinaryOpScalarListFunctorIN3c104HalfELi2ELi1ELi1EEEJNS0_7minimumIfEEEEEvT_T0_DpT1_,comdat
	.globl	_ZN2at6native12_GLOBAL__N_125multi_tensor_apply_kernelINS1_28TensorListScalarListMetadataIfLi2EEENS1_25BinaryOpScalarListFunctorIN3c104HalfELi2ELi1ELi1EEEJNS0_7minimumIfEEEEEvT_T0_DpT1_ ; -- Begin function _ZN2at6native12_GLOBAL__N_125multi_tensor_apply_kernelINS1_28TensorListScalarListMetadataIfLi2EEENS1_25BinaryOpScalarListFunctorIN3c104HalfELi2ELi1ELi1EEEJNS0_7minimumIfEEEEEvT_T0_DpT1_
	.p2align	8
	.type	_ZN2at6native12_GLOBAL__N_125multi_tensor_apply_kernelINS1_28TensorListScalarListMetadataIfLi2EEENS1_25BinaryOpScalarListFunctorIN3c104HalfELi2ELi1ELi1EEEJNS0_7minimumIfEEEEEvT_T0_DpT1_,@function
_ZN2at6native12_GLOBAL__N_125multi_tensor_apply_kernelINS1_28TensorListScalarListMetadataIfLi2EEENS1_25BinaryOpScalarListFunctorIN3c104HalfELi2ELi1ELi1EEEJNS0_7minimumIfEEEEEvT_T0_DpT1_: ; @_ZN2at6native12_GLOBAL__N_125multi_tensor_apply_kernelINS1_28TensorListScalarListMetadataIfLi2EEENS1_25BinaryOpScalarListFunctorIN3c104HalfELi2ELi1ELi1EEEJNS0_7minimumIfEEEEEvT_T0_DpT1_
; %bb.0:
	v_mov_b32_e32 v1, s15
	s_add_u32 s2, s0, s15
	s_mul_hi_u32 s3, s15, 3
	s_mul_i32 s15, s15, 3
	s_addc_u32 s4, s1, 0
	global_load_u8 v1, v1, s[0:1] offset:1792
	s_add_u32 s2, s2, s15
	s_addc_u32 s3, s4, s3
	s_mov_b32 s9, 0
	s_load_b32 s2, s[2:3], 0x840
	s_waitcnt vmcnt(0)
	v_readfirstlane_b32 s3, v1
	v_lshlrev_b32_e32 v1, 2, v1
	s_delay_alu instid0(VALU_DEP_2)
	s_lshl_b32 s6, s3, 3
	s_waitcnt lgkmcnt(0)
	s_ashr_i32 s3, s2, 31
	s_add_u32 s7, s0, s6
	s_addc_u32 s8, s1, 0
	v_sub_co_u32 v1, s7, s7, v1
	s_delay_alu instid0(VALU_DEP_1)
	v_sub_co_ci_u32_e64 v2, null, s8, 0, s7
	s_clause 0x2
	s_load_b64 s[4:5], s[0:1], s6 offset:0x400
	s_load_b64 s[12:13], s[0:1], s6 offset:0x200
	;; [unrolled: 1-line block ×3, first 2 shown]
	v_readfirstlane_b32 s6, v1
	v_readfirstlane_b32 s7, v2
	s_load_b32 s18, s[6:7], 0x600
	s_lshl_b64 s[6:7], s[2:3], 17
	s_lshl_b64 s[2:3], s[2:3], 16
	s_waitcnt lgkmcnt(0)
	s_and_b32 s14, s4, 3
	s_and_b32 s15, s12, 7
	;; [unrolled: 1-line block ×3, first 2 shown]
	s_delay_alu instid0(SALU_CYCLE_1) | instskip(NEXT) | instid1(SALU_CYCLE_1)
	s_or_b32 s8, s8, s14
	s_or_b32 s8, s15, s8
	s_sub_u32 s14, s4, s2
	s_subb_u32 s15, s5, s3
	s_cmp_eq_u64 s[8:9], 0
	s_mov_b32 s2, -1
	s_cbranch_scc1 .LBB136_21
; %bb.1:
	v_cmp_lt_i64_e64 s2, s[14:15], 1
	s_delay_alu instid0(VALU_DEP_1)
	s_and_b32 vcc_lo, exec_lo, s2
	s_cbranch_vccnz .LBB136_20
; %bb.2:
	s_load_b32 s2, s[0:1], 0xd54
	v_dual_mov_b32 v11, 0 :: v_dual_lshlrev_b32 v10, 1, v0
	v_cmp_gt_u64_e64 s3, 0x10000, s[14:15]
	v_cvt_f16_f32_e32 v1, s18
	s_mov_b64 s[16:17], 0
	s_delay_alu instid0(VALU_DEP_3) | instskip(NEXT) | instid1(VALU_DEP_1)
	v_add_co_u32 v2, s4, s10, v10
	v_add_co_ci_u32_e64 v3, null, s11, 0, s4
	v_add_co_u32 v4, s4, s12, v10
	s_delay_alu instid0(VALU_DEP_1)
	v_add_co_ci_u32_e64 v5, null, s13, 0, s4
	s_waitcnt lgkmcnt(0)
	s_and_b32 s2, s2, 0xffff
	s_and_b32 s3, s3, exec_lo
	v_mad_u64_u32 v[8:9], null, s2, 6, v[10:11]
	s_cselect_b32 s9, s15, 0
	s_cselect_b32 s8, s14, 0x10000
	s_mul_i32 s4, s2, 3
	s_lshl_b32 s19, s2, 2
	s_lshl_b32 s3, s2, 1
	v_add_co_u32 v15, s5, s19, v10
	v_add_co_u32 v10, s4, s4, v0
	s_delay_alu instid0(VALU_DEP_1) | instskip(SKIP_3) | instid1(VALU_DEP_3)
	v_add_co_ci_u32_e64 v11, null, 0, 0, s4
	v_add_co_u32 v14, s4, v0, s2
	v_add_co_u32 v6, vcc_lo, s10, v8
	v_add_co_ci_u32_e32 v7, vcc_lo, s11, v9, vcc_lo
	v_lshlrev_b32_e32 v22, 1, v14
	v_add_co_u32 v8, vcc_lo, s12, v8
	v_add_co_ci_u32_e64 v16, null, 0, 0, s5
	v_add_co_ci_u32_e32 v9, vcc_lo, s13, v9, vcc_lo
	v_add_co_u32 v18, s3, s3, v0
	v_add_co_u32 v12, vcc_lo, s10, v15
	v_add_co_ci_u32_e64 v19, null, 0, 0, s3
	v_add_co_u32 v20, s3, s10, v22
	v_add_co_ci_u32_e32 v13, vcc_lo, s11, v16, vcc_lo
	v_add_co_u32 v15, vcc_lo, s12, v15
	v_add_co_ci_u32_e64 v21, null, s11, 0, s3
	v_add_co_u32 v22, s3, s12, v22
	v_add_co_ci_u32_e32 v16, vcc_lo, s13, v16, vcc_lo
	v_add_co_ci_u32_e64 v17, null, 0, 0, s4
	v_add_co_ci_u32_e64 v23, null, s13, 0, s3
	s_lshl_b32 s20, s2, 3
	s_branch .LBB136_4
.LBB136_3:                              ;   in Loop: Header=BB136_4 Depth=1
	s_or_b32 exec_lo, exec_lo, s3
	v_add_co_u32 v2, vcc_lo, v2, s20
	v_add_co_ci_u32_e32 v3, vcc_lo, 0, v3, vcc_lo
	v_add_co_u32 v4, vcc_lo, v4, s20
	v_add_co_ci_u32_e32 v5, vcc_lo, 0, v5, vcc_lo
	;; [unrolled: 2-line block ×5, first 2 shown]
	s_add_u32 s16, s16, s19
	v_add_co_u32 v15, vcc_lo, v15, s20
	s_addc_u32 s17, s17, 0
	v_add_co_ci_u32_e32 v16, vcc_lo, 0, v16, vcc_lo
	v_cmp_lt_i64_e64 s2, s[16:17], s[14:15]
	v_cmp_gt_u64_e64 s3, 0x10000, s[16:17]
	v_add_co_u32 v20, vcc_lo, v20, s20
	v_add_co_ci_u32_e32 v21, vcc_lo, 0, v21, vcc_lo
	v_add_co_u32 v22, vcc_lo, v22, s20
	v_add_co_ci_u32_e32 v23, vcc_lo, 0, v23, vcc_lo
	s_and_b32 s2, s2, s3
	s_delay_alu instid0(SALU_CYCLE_1)
	s_and_b32 vcc_lo, exec_lo, s2
	s_cbranch_vccz .LBB136_20
.LBB136_4:                              ; =>This Inner Loop Header: Depth=1
	s_waitcnt vmcnt(0)
	v_add_co_u32 v24, s2, v0, s16
	s_delay_alu instid0(VALU_DEP_1) | instskip(NEXT) | instid1(VALU_DEP_1)
	v_add_co_ci_u32_e64 v25, null, 0, s17, s2
	v_cmp_gt_u64_e32 vcc_lo, s[8:9], v[24:25]
	v_mov_b32_e32 v25, 0
	s_and_saveexec_b32 s3, vcc_lo
	s_cbranch_execz .LBB136_6
; %bb.5:                                ;   in Loop: Header=BB136_4 Depth=1
	v_add_co_u32 v24, s2, v2, s6
	s_delay_alu instid0(VALU_DEP_1)
	v_add_co_ci_u32_e64 v25, s2, s7, v3, s2
	global_load_u16 v25, v[24:25], off
.LBB136_6:                              ;   in Loop: Header=BB136_4 Depth=1
	s_or_b32 exec_lo, exec_lo, s3
	v_add_co_u32 v26, s2, v14, s16
	s_delay_alu instid0(VALU_DEP_1) | instskip(NEXT) | instid1(VALU_DEP_1)
	v_add_co_ci_u32_e64 v27, s2, s17, v17, s2
	v_cmp_gt_u64_e64 s2, s[8:9], v[26:27]
	v_mov_b32_e32 v26, 0
	s_delay_alu instid0(VALU_DEP_2)
	s_and_saveexec_b32 s4, s2
	s_cbranch_execz .LBB136_8
; %bb.7:                                ;   in Loop: Header=BB136_4 Depth=1
	v_add_co_u32 v26, s3, v20, s6
	s_delay_alu instid0(VALU_DEP_1)
	v_add_co_ci_u32_e64 v27, s3, s7, v21, s3
	global_load_u16 v26, v[26:27], off
.LBB136_8:                              ;   in Loop: Header=BB136_4 Depth=1
	s_or_b32 exec_lo, exec_lo, s4
	v_add_co_u32 v27, s3, v18, s16
	s_delay_alu instid0(VALU_DEP_1) | instskip(SKIP_1) | instid1(VALU_DEP_2)
	v_add_co_ci_u32_e64 v28, s3, s17, v19, s3
	v_mov_b32_e32 v24, 0
	v_cmp_gt_u64_e64 s3, s[8:9], v[27:28]
	v_mov_b32_e32 v27, 0
	s_delay_alu instid0(VALU_DEP_2)
	s_and_saveexec_b32 s5, s3
	s_cbranch_execz .LBB136_10
; %bb.9:                                ;   in Loop: Header=BB136_4 Depth=1
	v_add_co_u32 v27, s4, v12, s6
	s_delay_alu instid0(VALU_DEP_1)
	v_add_co_ci_u32_e64 v28, s4, s7, v13, s4
	global_load_u16 v27, v[27:28], off
.LBB136_10:                             ;   in Loop: Header=BB136_4 Depth=1
	s_or_b32 exec_lo, exec_lo, s5
	v_add_co_u32 v28, s4, v10, s16
	s_delay_alu instid0(VALU_DEP_1) | instskip(NEXT) | instid1(VALU_DEP_1)
	v_add_co_ci_u32_e64 v29, s4, s17, v11, s4
	v_cmp_gt_u64_e64 s4, s[8:9], v[28:29]
	s_delay_alu instid0(VALU_DEP_1)
	s_and_saveexec_b32 s21, s4
	s_cbranch_execnz .LBB136_15
; %bb.11:                               ;   in Loop: Header=BB136_4 Depth=1
	s_or_b32 exec_lo, exec_lo, s21
	s_and_saveexec_b32 s21, vcc_lo
	s_cbranch_execnz .LBB136_16
.LBB136_12:                             ;   in Loop: Header=BB136_4 Depth=1
	s_or_b32 exec_lo, exec_lo, s21
	s_and_saveexec_b32 s5, s2
	s_cbranch_execnz .LBB136_17
.LBB136_13:                             ;   in Loop: Header=BB136_4 Depth=1
	s_or_b32 exec_lo, exec_lo, s5
	s_and_saveexec_b32 s5, s3
	s_cbranch_execnz .LBB136_18
.LBB136_14:                             ;   in Loop: Header=BB136_4 Depth=1
	s_or_b32 exec_lo, exec_lo, s5
	s_and_saveexec_b32 s3, s4
	s_cbranch_execz .LBB136_3
	s_branch .LBB136_19
.LBB136_15:                             ;   in Loop: Header=BB136_4 Depth=1
	v_add_co_u32 v28, s5, v6, s6
	s_delay_alu instid0(VALU_DEP_1)
	v_add_co_ci_u32_e64 v29, s5, s7, v7, s5
	global_load_u16 v24, v[28:29], off
	s_or_b32 exec_lo, exec_lo, s21
	s_and_saveexec_b32 s21, vcc_lo
	s_cbranch_execz .LBB136_12
.LBB136_16:                             ;   in Loop: Header=BB136_4 Depth=1
	s_waitcnt vmcnt(0)
	v_cvt_f32_f16_e32 v28, v25
	v_cmp_u_f16_e32 vcc_lo, v25, v25
	s_delay_alu instid0(VALU_DEP_2) | instskip(NEXT) | instid1(VALU_DEP_1)
	v_cmp_gt_f32_e64 s5, s18, v28
	s_or_b32 vcc_lo, vcc_lo, s5
	v_cndmask_b32_e32 v25, v1, v25, vcc_lo
	v_add_co_u32 v28, vcc_lo, v4, s6
	v_add_co_ci_u32_e32 v29, vcc_lo, s7, v5, vcc_lo
	global_store_b16 v[28:29], v25, off
	s_or_b32 exec_lo, exec_lo, s21
	s_and_saveexec_b32 s5, s2
	s_cbranch_execz .LBB136_13
.LBB136_17:                             ;   in Loop: Header=BB136_4 Depth=1
	s_waitcnt vmcnt(0)
	v_cvt_f32_f16_e32 v25, v26
	v_cmp_u_f16_e32 vcc_lo, v26, v26
	s_delay_alu instid0(VALU_DEP_2) | instskip(NEXT) | instid1(VALU_DEP_1)
	v_cmp_gt_f32_e64 s2, s18, v25
	s_or_b32 vcc_lo, vcc_lo, s2
	v_cndmask_b32_e32 v28, v1, v26, vcc_lo
	v_add_co_u32 v25, vcc_lo, v22, s6
	v_add_co_ci_u32_e32 v26, vcc_lo, s7, v23, vcc_lo
	global_store_b16 v[25:26], v28, off
	s_or_b32 exec_lo, exec_lo, s5
	s_and_saveexec_b32 s5, s3
	s_cbranch_execz .LBB136_14
.LBB136_18:                             ;   in Loop: Header=BB136_4 Depth=1
	s_waitcnt vmcnt(0)
	v_cvt_f32_f16_e32 v25, v27
	v_cmp_u_f16_e32 vcc_lo, v27, v27
	s_delay_alu instid0(VALU_DEP_2) | instskip(NEXT) | instid1(VALU_DEP_1)
	v_cmp_gt_f32_e64 s2, s18, v25
	s_or_b32 vcc_lo, vcc_lo, s2
	v_cndmask_b32_e32 v27, v1, v27, vcc_lo
	v_add_co_u32 v25, vcc_lo, v15, s6
	v_add_co_ci_u32_e32 v26, vcc_lo, s7, v16, vcc_lo
	global_store_b16 v[25:26], v27, off
	s_or_b32 exec_lo, exec_lo, s5
	s_and_saveexec_b32 s3, s4
	s_cbranch_execz .LBB136_3
.LBB136_19:                             ;   in Loop: Header=BB136_4 Depth=1
	s_waitcnt vmcnt(0)
	v_cvt_f32_f16_e32 v25, v24
	v_cmp_u_f16_e32 vcc_lo, v24, v24
	s_delay_alu instid0(VALU_DEP_2) | instskip(NEXT) | instid1(VALU_DEP_1)
	v_cmp_gt_f32_e64 s2, s18, v25
	s_or_b32 vcc_lo, vcc_lo, s2
	v_cndmask_b32_e32 v26, v1, v24, vcc_lo
	v_add_co_u32 v24, vcc_lo, v8, s6
	v_add_co_ci_u32_e32 v25, vcc_lo, s7, v9, vcc_lo
	global_store_b16 v[24:25], v26, off
	s_branch .LBB136_3
.LBB136_20:
	s_mov_b32 s2, 0
.LBB136_21:
	s_delay_alu instid0(SALU_CYCLE_1)
	s_and_not1_b32 vcc_lo, exec_lo, s2
	s_cbranch_vccnz .LBB136_25
; %bb.22:
	v_dual_mov_b32 v2, 0 :: v_dual_lshlrev_b32 v1, 2, v0
	s_mov_b32 s16, 0
	s_mov_b32 s2, exec_lo
	s_delay_alu instid0(VALU_DEP_1)
	v_cmpx_gt_i64_e64 s[14:15], v[1:2]
	s_cbranch_execz .LBB136_25
; %bb.23:
	s_load_b32 s0, s[0:1], 0xd54
	v_cvt_f16_f32_e32 v1, s18
	v_lshlrev_b32_e32 v4, 3, v0
	s_mov_b32 s17, s18
	s_delay_alu instid0(VALU_DEP_2) | instskip(NEXT) | instid1(VALU_DEP_2)
	v_pack_b32_f16 v3, v1, v1
	v_add_co_u32 v4, s1, s6, v4
	s_delay_alu instid0(VALU_DEP_1) | instskip(SKIP_2) | instid1(SALU_CYCLE_1)
	v_add_co_ci_u32_e64 v5, null, s7, 0, s1
	s_waitcnt lgkmcnt(0)
	s_and_b32 s0, s0, 0xffff
	v_add_lshl_u32 v1, v0, s0, 2
	v_lshrrev_b32_e32 v0, 16, v3
	s_lshl_b32 s19, s0, 3
	s_lshl_b32 s20, s0, 2
.LBB136_24:                             ; =>This Inner Loop Header: Depth=1
	v_add_co_u32 v6, vcc_lo, s10, v4
	v_add_co_ci_u32_e32 v7, vcc_lo, s11, v5, vcc_lo
	v_add_co_u32 v8, vcc_lo, s12, v4
	v_add_co_ci_u32_e32 v9, vcc_lo, s13, v5, vcc_lo
	global_load_b64 v[6:7], v[6:7], off
	v_cmp_le_i64_e32 vcc_lo, s[14:15], v[1:2]
	v_cmp_lt_u64_e64 s0, 0xffff, v[1:2]
	v_add_co_u32 v4, s1, v4, s19
	s_delay_alu instid0(VALU_DEP_1) | instskip(SKIP_1) | instid1(VALU_DEP_4)
	v_add_co_ci_u32_e64 v5, s1, 0, v5, s1
	v_add_co_u32 v1, s1, v1, s20
	s_or_b32 s0, vcc_lo, s0
	v_add_co_ci_u32_e64 v2, s1, 0, v2, s1
	s_waitcnt vmcnt(0)
	v_lshrrev_b32_e32 v12, 16, v7
	v_cvt_f32_f16_e32 v11, v6
	v_lshrrev_b32_e32 v10, 16, v6
	v_cvt_f32_f16_e32 v13, v7
	v_cmp_u_f16_e64 s2, v6, v6
	v_cvt_f32_f16_e32 v15, v12
	v_cmp_gt_f32_e64 s5, s18, v11
	v_cvt_f32_f16_e32 v14, v10
	v_cmp_u_f16_e64 s3, v7, v7
	v_cmp_gt_f32_e64 s7, s18, v13
	v_cmp_u_f16_e64 s6, v12, v12
	v_cmp_gt_f32_e64 s9, s17, v15
	s_or_b32 s2, s2, s5
	v_cmp_u_f16_e64 s4, v10, v10
	v_cmp_gt_f32_e64 s8, s17, v14
	v_cndmask_b32_e64 v6, v3, v6, s2
	s_or_b32 s2, s3, s7
	s_delay_alu instid0(SALU_CYCLE_1) | instskip(SKIP_1) | instid1(SALU_CYCLE_1)
	v_cndmask_b32_e64 v7, v3, v7, s2
	s_or_b32 s2, s6, s9
	v_cndmask_b32_e64 v11, v0, v12, s2
	s_or_b32 s2, s4, s8
	s_and_b32 s0, exec_lo, s0
	v_cndmask_b32_e64 v10, v0, v10, s2
	s_or_b32 s16, s0, s16
	v_perm_b32 v7, v11, v7, 0x5040100
	s_delay_alu instid0(VALU_DEP_2)
	v_perm_b32 v6, v10, v6, 0x5040100
	global_store_b64 v[8:9], v[6:7], off
	s_and_not1_b32 exec_lo, exec_lo, s16
	s_cbranch_execnz .LBB136_24
.LBB136_25:
	s_nop 0
	s_sendmsg sendmsg(MSG_DEALLOC_VGPRS)
	s_endpgm
	.section	.rodata,"a",@progbits
	.p2align	6, 0x0
	.amdhsa_kernel _ZN2at6native12_GLOBAL__N_125multi_tensor_apply_kernelINS1_28TensorListScalarListMetadataIfLi2EEENS1_25BinaryOpScalarListFunctorIN3c104HalfELi2ELi1ELi1EEEJNS0_7minimumIfEEEEEvT_T0_DpT1_
		.amdhsa_group_segment_fixed_size 0
		.amdhsa_private_segment_fixed_size 0
		.amdhsa_kernarg_size 3656
		.amdhsa_user_sgpr_count 15
		.amdhsa_user_sgpr_dispatch_ptr 0
		.amdhsa_user_sgpr_queue_ptr 0
		.amdhsa_user_sgpr_kernarg_segment_ptr 1
		.amdhsa_user_sgpr_dispatch_id 0
		.amdhsa_user_sgpr_private_segment_size 0
		.amdhsa_wavefront_size32 1
		.amdhsa_uses_dynamic_stack 0
		.amdhsa_enable_private_segment 0
		.amdhsa_system_sgpr_workgroup_id_x 1
		.amdhsa_system_sgpr_workgroup_id_y 0
		.amdhsa_system_sgpr_workgroup_id_z 0
		.amdhsa_system_sgpr_workgroup_info 0
		.amdhsa_system_vgpr_workitem_id 0
		.amdhsa_next_free_vgpr 30
		.amdhsa_next_free_sgpr 22
		.amdhsa_reserve_vcc 1
		.amdhsa_float_round_mode_32 0
		.amdhsa_float_round_mode_16_64 0
		.amdhsa_float_denorm_mode_32 3
		.amdhsa_float_denorm_mode_16_64 3
		.amdhsa_dx10_clamp 1
		.amdhsa_ieee_mode 1
		.amdhsa_fp16_overflow 0
		.amdhsa_workgroup_processor_mode 1
		.amdhsa_memory_ordered 1
		.amdhsa_forward_progress 0
		.amdhsa_shared_vgpr_count 0
		.amdhsa_exception_fp_ieee_invalid_op 0
		.amdhsa_exception_fp_denorm_src 0
		.amdhsa_exception_fp_ieee_div_zero 0
		.amdhsa_exception_fp_ieee_overflow 0
		.amdhsa_exception_fp_ieee_underflow 0
		.amdhsa_exception_fp_ieee_inexact 0
		.amdhsa_exception_int_div_zero 0
	.end_amdhsa_kernel
	.section	.text._ZN2at6native12_GLOBAL__N_125multi_tensor_apply_kernelINS1_28TensorListScalarListMetadataIfLi2EEENS1_25BinaryOpScalarListFunctorIN3c104HalfELi2ELi1ELi1EEEJNS0_7minimumIfEEEEEvT_T0_DpT1_,"axG",@progbits,_ZN2at6native12_GLOBAL__N_125multi_tensor_apply_kernelINS1_28TensorListScalarListMetadataIfLi2EEENS1_25BinaryOpScalarListFunctorIN3c104HalfELi2ELi1ELi1EEEJNS0_7minimumIfEEEEEvT_T0_DpT1_,comdat
.Lfunc_end136:
	.size	_ZN2at6native12_GLOBAL__N_125multi_tensor_apply_kernelINS1_28TensorListScalarListMetadataIfLi2EEENS1_25BinaryOpScalarListFunctorIN3c104HalfELi2ELi1ELi1EEEJNS0_7minimumIfEEEEEvT_T0_DpT1_, .Lfunc_end136-_ZN2at6native12_GLOBAL__N_125multi_tensor_apply_kernelINS1_28TensorListScalarListMetadataIfLi2EEENS1_25BinaryOpScalarListFunctorIN3c104HalfELi2ELi1ELi1EEEJNS0_7minimumIfEEEEEvT_T0_DpT1_
                                        ; -- End function
	.section	.AMDGPU.csdata,"",@progbits
; Kernel info:
; codeLenInByte = 1688
; NumSgprs: 24
; NumVgprs: 30
; ScratchSize: 0
; MemoryBound: 0
; FloatMode: 240
; IeeeMode: 1
; LDSByteSize: 0 bytes/workgroup (compile time only)
; SGPRBlocks: 2
; VGPRBlocks: 3
; NumSGPRsForWavesPerEU: 24
; NumVGPRsForWavesPerEU: 30
; Occupancy: 16
; WaveLimiterHint : 0
; COMPUTE_PGM_RSRC2:SCRATCH_EN: 0
; COMPUTE_PGM_RSRC2:USER_SGPR: 15
; COMPUTE_PGM_RSRC2:TRAP_HANDLER: 0
; COMPUTE_PGM_RSRC2:TGID_X_EN: 1
; COMPUTE_PGM_RSRC2:TGID_Y_EN: 0
; COMPUTE_PGM_RSRC2:TGID_Z_EN: 0
; COMPUTE_PGM_RSRC2:TIDIG_COMP_CNT: 0
	.section	.text._ZN2at6native12_GLOBAL__N_125multi_tensor_apply_kernelINS1_28TensorListScalarListMetadataIfLi2EEENS1_25BinaryOpScalarListFunctorIN3c108BFloat16ELi2ELi1ELi1EEEJNS0_7minimumIfEEEEEvT_T0_DpT1_,"axG",@progbits,_ZN2at6native12_GLOBAL__N_125multi_tensor_apply_kernelINS1_28TensorListScalarListMetadataIfLi2EEENS1_25BinaryOpScalarListFunctorIN3c108BFloat16ELi2ELi1ELi1EEEJNS0_7minimumIfEEEEEvT_T0_DpT1_,comdat
	.globl	_ZN2at6native12_GLOBAL__N_125multi_tensor_apply_kernelINS1_28TensorListScalarListMetadataIfLi2EEENS1_25BinaryOpScalarListFunctorIN3c108BFloat16ELi2ELi1ELi1EEEJNS0_7minimumIfEEEEEvT_T0_DpT1_ ; -- Begin function _ZN2at6native12_GLOBAL__N_125multi_tensor_apply_kernelINS1_28TensorListScalarListMetadataIfLi2EEENS1_25BinaryOpScalarListFunctorIN3c108BFloat16ELi2ELi1ELi1EEEJNS0_7minimumIfEEEEEvT_T0_DpT1_
	.p2align	8
	.type	_ZN2at6native12_GLOBAL__N_125multi_tensor_apply_kernelINS1_28TensorListScalarListMetadataIfLi2EEENS1_25BinaryOpScalarListFunctorIN3c108BFloat16ELi2ELi1ELi1EEEJNS0_7minimumIfEEEEEvT_T0_DpT1_,@function
_ZN2at6native12_GLOBAL__N_125multi_tensor_apply_kernelINS1_28TensorListScalarListMetadataIfLi2EEENS1_25BinaryOpScalarListFunctorIN3c108BFloat16ELi2ELi1ELi1EEEJNS0_7minimumIfEEEEEvT_T0_DpT1_: ; @_ZN2at6native12_GLOBAL__N_125multi_tensor_apply_kernelINS1_28TensorListScalarListMetadataIfLi2EEENS1_25BinaryOpScalarListFunctorIN3c108BFloat16ELi2ELi1ELi1EEEJNS0_7minimumIfEEEEEvT_T0_DpT1_
; %bb.0:
	v_mov_b32_e32 v1, s15
	s_add_u32 s2, s0, s15
	s_mul_hi_u32 s3, s15, 3
	s_mul_i32 s15, s15, 3
	s_addc_u32 s4, s1, 0
	global_load_u8 v1, v1, s[0:1] offset:1792
	s_add_u32 s2, s2, s15
	s_addc_u32 s3, s4, s3
	s_mov_b32 s15, 0
	s_load_b32 s2, s[2:3], 0x840
	s_waitcnt vmcnt(0)
	v_readfirstlane_b32 s3, v1
	v_lshlrev_b32_e32 v1, 2, v1
	s_delay_alu instid0(VALU_DEP_2)
	s_lshl_b32 s6, s3, 3
	s_waitcnt lgkmcnt(0)
	s_ashr_i32 s3, s2, 31
	s_add_u32 s7, s0, s6
	s_addc_u32 s10, s1, 0
	v_sub_co_u32 v1, s7, s7, v1
	s_delay_alu instid0(VALU_DEP_1)
	v_sub_co_ci_u32_e64 v2, null, s10, 0, s7
	s_clause 0x2
	s_load_b64 s[4:5], s[0:1], s6 offset:0x400
	s_load_b64 s[10:11], s[0:1], s6 offset:0x200
	;; [unrolled: 1-line block ×3, first 2 shown]
	v_readfirstlane_b32 s6, v1
	v_readfirstlane_b32 s7, v2
	s_load_b32 s18, s[6:7], 0x600
	s_lshl_b64 s[6:7], s[2:3], 17
	s_lshl_b64 s[2:3], s[2:3], 16
	s_waitcnt lgkmcnt(0)
	s_and_b32 s13, s4, 3
	s_and_b32 s14, s10, 7
	;; [unrolled: 1-line block ×3, first 2 shown]
	s_delay_alu instid0(SALU_CYCLE_1) | instskip(NEXT) | instid1(SALU_CYCLE_1)
	s_or_b32 s12, s12, s13
	s_or_b32 s14, s14, s12
	s_sub_u32 s12, s4, s2
	s_subb_u32 s13, s5, s3
	s_cmp_eq_u64 s[14:15], 0
	s_mov_b32 s2, -1
	s_cbranch_scc1 .LBB137_21
; %bb.1:
	v_cmp_lt_i64_e64 s2, s[12:13], 1
	s_delay_alu instid0(VALU_DEP_1)
	s_and_b32 vcc_lo, exec_lo, s2
	s_cbranch_vccnz .LBB137_20
; %bb.2:
	s_load_b32 s2, s[0:1], 0xd54
	v_dual_mov_b32 v10, 0 :: v_dual_lshlrev_b32 v9, 1, v0
	v_cmp_gt_u64_e64 s3, 0x10000, s[12:13]
	s_mov_b64 s[16:17], 0
	s_delay_alu instid0(VALU_DEP_2) | instskip(NEXT) | instid1(VALU_DEP_1)
	v_add_co_u32 v1, s4, s8, v9
	v_add_co_ci_u32_e64 v2, null, s9, 0, s4
	v_add_co_u32 v3, s4, s10, v9
	s_delay_alu instid0(VALU_DEP_1)
	v_add_co_ci_u32_e64 v4, null, s11, 0, s4
	s_waitcnt lgkmcnt(0)
	s_and_b32 s2, s2, 0xffff
	s_and_b32 s3, s3, exec_lo
	v_mad_u64_u32 v[7:8], null, s2, 6, v[9:10]
	s_cselect_b32 s15, s13, 0
	s_cselect_b32 s14, s12, 0x10000
	s_mul_i32 s4, s2, 3
	s_lshl_b32 s19, s2, 2
	s_lshl_b32 s3, s2, 1
	v_add_co_u32 v14, s5, s19, v9
	v_add_co_u32 v9, s4, s4, v0
	s_delay_alu instid0(VALU_DEP_1) | instskip(SKIP_3) | instid1(VALU_DEP_3)
	v_add_co_ci_u32_e64 v10, null, 0, 0, s4
	v_add_co_u32 v13, s4, v0, s2
	v_add_co_u32 v5, vcc_lo, s8, v7
	v_add_co_ci_u32_e32 v6, vcc_lo, s9, v8, vcc_lo
	v_lshlrev_b32_e32 v21, 1, v13
	v_add_co_u32 v7, vcc_lo, s10, v7
	v_add_co_ci_u32_e64 v15, null, 0, 0, s5
	v_add_co_ci_u32_e32 v8, vcc_lo, s11, v8, vcc_lo
	v_add_co_u32 v17, s3, s3, v0
	v_add_co_u32 v11, vcc_lo, s8, v14
	v_add_co_ci_u32_e64 v18, null, 0, 0, s3
	v_add_co_u32 v19, s3, s8, v21
	v_add_co_ci_u32_e32 v12, vcc_lo, s9, v15, vcc_lo
	v_add_co_u32 v14, vcc_lo, s10, v14
	v_add_co_ci_u32_e64 v20, null, s9, 0, s3
	v_add_co_u32 v21, s3, s10, v21
	v_add_co_ci_u32_e32 v15, vcc_lo, s11, v15, vcc_lo
	v_add_co_ci_u32_e64 v16, null, 0, 0, s4
	v_add_co_ci_u32_e64 v22, null, s11, 0, s3
	s_lshl_b32 s20, s2, 3
	s_branch .LBB137_4
.LBB137_3:                              ;   in Loop: Header=BB137_4 Depth=1
	s_or_b32 exec_lo, exec_lo, s3
	v_add_co_u32 v1, vcc_lo, v1, s20
	v_add_co_ci_u32_e32 v2, vcc_lo, 0, v2, vcc_lo
	v_add_co_u32 v3, vcc_lo, v3, s20
	v_add_co_ci_u32_e32 v4, vcc_lo, 0, v4, vcc_lo
	;; [unrolled: 2-line block ×5, first 2 shown]
	s_add_u32 s16, s16, s19
	v_add_co_u32 v14, vcc_lo, v14, s20
	s_addc_u32 s17, s17, 0
	v_add_co_ci_u32_e32 v15, vcc_lo, 0, v15, vcc_lo
	v_cmp_lt_i64_e64 s2, s[16:17], s[12:13]
	v_cmp_gt_u64_e64 s3, 0x10000, s[16:17]
	v_add_co_u32 v19, vcc_lo, v19, s20
	v_add_co_ci_u32_e32 v20, vcc_lo, 0, v20, vcc_lo
	v_add_co_u32 v21, vcc_lo, v21, s20
	v_add_co_ci_u32_e32 v22, vcc_lo, 0, v22, vcc_lo
	s_and_b32 s2, s2, s3
	s_delay_alu instid0(SALU_CYCLE_1)
	s_and_b32 vcc_lo, exec_lo, s2
	s_cbranch_vccz .LBB137_20
.LBB137_4:                              ; =>This Inner Loop Header: Depth=1
	s_waitcnt vmcnt(0)
	v_add_co_u32 v23, s2, v0, s16
	s_delay_alu instid0(VALU_DEP_1) | instskip(SKIP_1) | instid1(VALU_DEP_2)
	v_add_co_ci_u32_e64 v24, null, 0, s17, s2
	v_mov_b32_e32 v25, 0
	v_cmp_gt_u64_e64 s4, s[14:15], v[23:24]
	s_delay_alu instid0(VALU_DEP_1)
	s_and_saveexec_b32 s2, s4
	s_cbranch_execz .LBB137_6
; %bb.5:                                ;   in Loop: Header=BB137_4 Depth=1
	v_add_co_u32 v23, vcc_lo, v1, s6
	v_add_co_ci_u32_e32 v24, vcc_lo, s7, v2, vcc_lo
	global_load_u16 v25, v[23:24], off
.LBB137_6:                              ;   in Loop: Header=BB137_4 Depth=1
	s_or_b32 exec_lo, exec_lo, s2
	v_add_co_u32 v23, vcc_lo, v13, s16
	v_add_co_ci_u32_e32 v24, vcc_lo, s17, v16, vcc_lo
	v_mov_b32_e32 v26, 0
	s_delay_alu instid0(VALU_DEP_2) | instskip(NEXT) | instid1(VALU_DEP_1)
	v_cmp_gt_u64_e64 s3, s[14:15], v[23:24]
	s_and_saveexec_b32 s2, s3
	s_cbranch_execz .LBB137_8
; %bb.7:                                ;   in Loop: Header=BB137_4 Depth=1
	v_add_co_u32 v23, vcc_lo, v19, s6
	v_add_co_ci_u32_e32 v24, vcc_lo, s7, v20, vcc_lo
	global_load_u16 v26, v[23:24], off
.LBB137_8:                              ;   in Loop: Header=BB137_4 Depth=1
	s_or_b32 exec_lo, exec_lo, s2
	v_add_co_u32 v23, vcc_lo, v17, s16
	v_add_co_ci_u32_e32 v24, vcc_lo, s17, v18, vcc_lo
	s_delay_alu instid0(VALU_DEP_1) | instskip(SKIP_1) | instid1(VALU_DEP_2)
	v_cmp_gt_u64_e64 s2, s[14:15], v[23:24]
	v_dual_mov_b32 v23, 0 :: v_dual_mov_b32 v24, 0
	s_and_saveexec_b32 s5, s2
	s_cbranch_execz .LBB137_10
; %bb.9:                                ;   in Loop: Header=BB137_4 Depth=1
	v_add_co_u32 v27, vcc_lo, v11, s6
	v_add_co_ci_u32_e32 v28, vcc_lo, s7, v12, vcc_lo
	global_load_u16 v24, v[27:28], off
.LBB137_10:                             ;   in Loop: Header=BB137_4 Depth=1
	s_or_b32 exec_lo, exec_lo, s5
	v_add_co_u32 v27, vcc_lo, v9, s16
	v_add_co_ci_u32_e32 v28, vcc_lo, s17, v10, vcc_lo
	s_delay_alu instid0(VALU_DEP_1)
	v_cmp_gt_u64_e32 vcc_lo, s[14:15], v[27:28]
	s_and_saveexec_b32 s21, vcc_lo
	s_cbranch_execnz .LBB137_15
; %bb.11:                               ;   in Loop: Header=BB137_4 Depth=1
	s_or_b32 exec_lo, exec_lo, s21
	s_and_saveexec_b32 s21, s4
	s_cbranch_execnz .LBB137_16
.LBB137_12:                             ;   in Loop: Header=BB137_4 Depth=1
	s_or_b32 exec_lo, exec_lo, s21
	s_and_saveexec_b32 s5, s3
	s_cbranch_execnz .LBB137_17
.LBB137_13:                             ;   in Loop: Header=BB137_4 Depth=1
	s_or_b32 exec_lo, exec_lo, s5
	s_and_saveexec_b32 s4, s2
	s_cbranch_execnz .LBB137_18
.LBB137_14:                             ;   in Loop: Header=BB137_4 Depth=1
	s_or_b32 exec_lo, exec_lo, s4
	s_and_saveexec_b32 s3, vcc_lo
	s_cbranch_execz .LBB137_3
	s_branch .LBB137_19
.LBB137_15:                             ;   in Loop: Header=BB137_4 Depth=1
	v_add_co_u32 v27, s5, v5, s6
	s_delay_alu instid0(VALU_DEP_1)
	v_add_co_ci_u32_e64 v28, s5, s7, v6, s5
	global_load_u16 v23, v[27:28], off
	s_or_b32 exec_lo, exec_lo, s21
	s_and_saveexec_b32 s21, s4
	s_cbranch_execz .LBB137_12
.LBB137_16:                             ;   in Loop: Header=BB137_4 Depth=1
	s_waitcnt vmcnt(0)
	v_lshlrev_b32_e32 v25, 16, v25
	s_delay_alu instid0(VALU_DEP_1) | instskip(SKIP_1) | instid1(VALU_DEP_1)
	v_cmp_u_f32_e64 s4, v25, v25
	v_cmp_gt_f32_e64 s5, s18, v25
	s_or_b32 s4, s4, s5
	s_delay_alu instid0(SALU_CYCLE_1) | instskip(NEXT) | instid1(VALU_DEP_1)
	v_cndmask_b32_e64 v25, s18, v25, s4
	v_bfe_u32 v27, v25, 16, 1
	s_delay_alu instid0(VALU_DEP_1) | instskip(NEXT) | instid1(VALU_DEP_1)
	v_add3_u32 v27, v25, v27, 0x7fff
	v_lshrrev_b32_e32 v29, 16, v27
	v_add_co_u32 v27, s4, v3, s6
	s_delay_alu instid0(VALU_DEP_1) | instskip(SKIP_1) | instid1(VALU_DEP_1)
	v_add_co_ci_u32_e64 v28, s4, s7, v4, s4
	v_cmp_o_f32_e64 s4, v25, v25
	v_cndmask_b32_e64 v25, 0x7fc0, v29, s4
	global_store_b16 v[27:28], v25, off
	s_or_b32 exec_lo, exec_lo, s21
	s_and_saveexec_b32 s5, s3
	s_cbranch_execz .LBB137_13
.LBB137_17:                             ;   in Loop: Header=BB137_4 Depth=1
	s_waitcnt vmcnt(0)
	v_lshlrev_b32_e32 v25, 16, v26
	s_delay_alu instid0(VALU_DEP_1) | instskip(SKIP_1) | instid1(VALU_DEP_1)
	v_cmp_u_f32_e64 s3, v25, v25
	v_cmp_gt_f32_e64 s4, s18, v25
	s_or_b32 s3, s3, s4
	s_delay_alu instid0(SALU_CYCLE_1) | instskip(NEXT) | instid1(VALU_DEP_1)
	v_cndmask_b32_e64 v25, s18, v25, s3
	v_bfe_u32 v26, v25, 16, 1
	v_cmp_o_f32_e64 s3, v25, v25
	s_delay_alu instid0(VALU_DEP_2) | instskip(NEXT) | instid1(VALU_DEP_1)
	v_add3_u32 v26, v25, v26, 0x7fff
	v_lshrrev_b32_e32 v26, 16, v26
	s_delay_alu instid0(VALU_DEP_1) | instskip(SKIP_1) | instid1(VALU_DEP_1)
	v_cndmask_b32_e64 v27, 0x7fc0, v26, s3
	v_add_co_u32 v25, s3, v21, s6
	v_add_co_ci_u32_e64 v26, s3, s7, v22, s3
	global_store_b16 v[25:26], v27, off
	s_or_b32 exec_lo, exec_lo, s5
	s_and_saveexec_b32 s4, s2
	s_cbranch_execz .LBB137_14
.LBB137_18:                             ;   in Loop: Header=BB137_4 Depth=1
	s_waitcnt vmcnt(0)
	v_lshlrev_b32_e32 v24, 16, v24
	s_delay_alu instid0(VALU_DEP_1) | instskip(SKIP_1) | instid1(VALU_DEP_1)
	v_cmp_u_f32_e64 s2, v24, v24
	v_cmp_gt_f32_e64 s3, s18, v24
	s_or_b32 s2, s2, s3
	s_delay_alu instid0(SALU_CYCLE_1) | instskip(NEXT) | instid1(VALU_DEP_1)
	v_cndmask_b32_e64 v24, s18, v24, s2
	v_bfe_u32 v25, v24, 16, 1
	v_cmp_o_f32_e64 s2, v24, v24
	s_delay_alu instid0(VALU_DEP_2) | instskip(NEXT) | instid1(VALU_DEP_1)
	v_add3_u32 v25, v24, v25, 0x7fff
	v_lshrrev_b32_e32 v25, 16, v25
	s_delay_alu instid0(VALU_DEP_1) | instskip(SKIP_1) | instid1(VALU_DEP_1)
	v_cndmask_b32_e64 v26, 0x7fc0, v25, s2
	v_add_co_u32 v24, s2, v14, s6
	v_add_co_ci_u32_e64 v25, s2, s7, v15, s2
	global_store_b16 v[24:25], v26, off
	s_or_b32 exec_lo, exec_lo, s4
	s_and_saveexec_b32 s3, vcc_lo
	s_cbranch_execz .LBB137_3
.LBB137_19:                             ;   in Loop: Header=BB137_4 Depth=1
	s_waitcnt vmcnt(0)
	v_lshlrev_b32_e32 v23, 16, v23
	s_delay_alu instid0(VALU_DEP_1) | instskip(SKIP_1) | instid1(VALU_DEP_1)
	v_cmp_u_f32_e32 vcc_lo, v23, v23
	v_cmp_gt_f32_e64 s2, s18, v23
	s_or_b32 vcc_lo, vcc_lo, s2
	v_cndmask_b32_e32 v23, s18, v23, vcc_lo
	s_delay_alu instid0(VALU_DEP_1) | instskip(SKIP_1) | instid1(VALU_DEP_2)
	v_bfe_u32 v24, v23, 16, 1
	v_cmp_o_f32_e32 vcc_lo, v23, v23
	v_add3_u32 v24, v23, v24, 0x7fff
	s_delay_alu instid0(VALU_DEP_1) | instskip(NEXT) | instid1(VALU_DEP_1)
	v_lshrrev_b32_e32 v24, 16, v24
	v_cndmask_b32_e32 v25, 0x7fc0, v24, vcc_lo
	v_add_co_u32 v23, vcc_lo, v7, s6
	v_add_co_ci_u32_e32 v24, vcc_lo, s7, v8, vcc_lo
	global_store_b16 v[23:24], v25, off
	s_branch .LBB137_3
.LBB137_20:
	s_mov_b32 s2, 0
.LBB137_21:
	s_delay_alu instid0(SALU_CYCLE_1)
	s_and_not1_b32 vcc_lo, exec_lo, s2
	s_cbranch_vccnz .LBB137_25
; %bb.22:
	v_dual_mov_b32 v2, 0 :: v_dual_lshlrev_b32 v1, 2, v0
	s_mov_b32 s14, 0
	s_mov_b32 s2, exec_lo
	s_delay_alu instid0(VALU_DEP_1)
	v_cmpx_gt_i64_e64 s[12:13], v[1:2]
	s_cbranch_execz .LBB137_25
; %bb.23:
	s_load_b32 s0, s[0:1], 0xd54
	v_lshlrev_b32_e32 v1, 3, v0
	s_delay_alu instid0(VALU_DEP_1) | instskip(NEXT) | instid1(VALU_DEP_1)
	v_add_co_u32 v3, s1, s6, v1
	v_add_co_ci_u32_e64 v4, null, s7, 0, s1
	s_waitcnt lgkmcnt(0)
	s_and_b32 s0, s0, 0xffff
	s_delay_alu instid0(SALU_CYCLE_1)
	v_add_lshl_u32 v1, v0, s0, 2
	s_lshl_b32 s15, s0, 3
	s_lshl_b32 s16, s0, 2
.LBB137_24:                             ; =>This Inner Loop Header: Depth=1
	v_add_co_u32 v5, vcc_lo, s8, v3
	v_add_co_ci_u32_e32 v6, vcc_lo, s9, v4, vcc_lo
	v_add_co_u32 v7, vcc_lo, s10, v3
	v_add_co_ci_u32_e32 v8, vcc_lo, s11, v4, vcc_lo
	global_load_b64 v[5:6], v[5:6], off
	v_cmp_le_i64_e32 vcc_lo, s[12:13], v[1:2]
	v_cmp_lt_u64_e64 s0, 0xffff, v[1:2]
	v_add_co_u32 v3, s1, v3, s15
	s_delay_alu instid0(VALU_DEP_1) | instskip(SKIP_1) | instid1(VALU_DEP_4)
	v_add_co_ci_u32_e64 v4, s1, 0, v4, s1
	v_add_co_u32 v1, s1, v1, s16
	s_or_b32 s0, vcc_lo, s0
	v_add_co_ci_u32_e64 v2, s1, 0, v2, s1
	s_waitcnt vmcnt(0)
	v_lshlrev_b32_e32 v0, 16, v5
	v_and_b32_e32 v9, 0xffff0000, v5
	v_alignbit_b32 v5, v6, v5, 16
	v_and_b32_e32 v6, 0xffff0000, v6
	s_delay_alu instid0(VALU_DEP_4)
	v_cmp_u_f32_e64 s2, v0, v0
	v_cmp_gt_f32_e64 s3, s18, v0
	v_cmp_u_f32_e64 s4, v9, v9
	v_cmp_gt_f32_e64 s5, s18, v9
	v_and_b32_e32 v5, 0xffff0000, v5
	v_cmp_u_f32_e64 s6, v6, v6
	v_cmp_gt_f32_e64 s7, s18, v6
	s_or_b32 s2, s2, s3
	s_or_b32 s4, s4, s5
	v_cndmask_b32_e64 v0, s18, v0, s2
	v_cmp_u_f32_e64 s2, v5, v5
	v_cmp_gt_f32_e64 s3, s18, v5
	v_cndmask_b32_e64 v9, s18, v9, s4
	s_or_b32 s4, s6, s7
	v_bfe_u32 v10, v0, 16, 1
	v_cndmask_b32_e64 v6, s18, v6, s4
	s_or_b32 s2, s2, s3
	v_bfe_u32 v11, v9, 16, 1
	v_cndmask_b32_e64 v5, s18, v5, s2
	v_add3_u32 v10, v0, v10, 0x7fff
	v_bfe_u32 v12, v6, 16, 1
	v_cmp_o_f32_e64 s2, v0, v0
	v_add3_u32 v11, v9, v11, 0x7fff
	v_bfe_u32 v13, v5, 16, 1
	v_lshrrev_b32_e32 v10, 16, v10
	v_add3_u32 v12, v6, v12, 0x7fff
	v_cmp_o_f32_e64 s3, v9, v9
	v_and_b32_e32 v11, 0xffff0000, v11
	v_add3_u32 v13, v5, v13, 0x7fff
	v_cndmask_b32_e64 v10, 0x7fc0, v10, s2
	v_and_b32_e32 v12, 0xffff0000, v12
	v_cmp_o_f32_e64 s2, v6, v6
	v_cndmask_b32_e64 v9, 0x7fc00000, v11, s3
	v_lshrrev_b32_e32 v0, 16, v13
	s_and_b32 s0, exec_lo, s0
	s_delay_alu instid0(VALU_DEP_3) | instskip(SKIP_3) | instid1(VALU_DEP_2)
	v_cndmask_b32_e64 v6, 0x7fc00000, v12, s2
	v_cmp_o_f32_e64 s2, v5, v5
	v_or_b32_e32 v5, v10, v9
	s_or_b32 s14, s0, s14
	v_cndmask_b32_e64 v0, 0x7fc0, v0, s2
	s_delay_alu instid0(VALU_DEP_2) | instskip(NEXT) | instid1(VALU_DEP_2)
	v_or3_b32 v5, v5, 0, 0
	v_or3_b32 v6, 0, v0, v6
	global_store_b64 v[7:8], v[5:6], off
	s_and_not1_b32 exec_lo, exec_lo, s14
	s_cbranch_execnz .LBB137_24
.LBB137_25:
	s_nop 0
	s_sendmsg sendmsg(MSG_DEALLOC_VGPRS)
	s_endpgm
	.section	.rodata,"a",@progbits
	.p2align	6, 0x0
	.amdhsa_kernel _ZN2at6native12_GLOBAL__N_125multi_tensor_apply_kernelINS1_28TensorListScalarListMetadataIfLi2EEENS1_25BinaryOpScalarListFunctorIN3c108BFloat16ELi2ELi1ELi1EEEJNS0_7minimumIfEEEEEvT_T0_DpT1_
		.amdhsa_group_segment_fixed_size 0
		.amdhsa_private_segment_fixed_size 0
		.amdhsa_kernarg_size 3656
		.amdhsa_user_sgpr_count 15
		.amdhsa_user_sgpr_dispatch_ptr 0
		.amdhsa_user_sgpr_queue_ptr 0
		.amdhsa_user_sgpr_kernarg_segment_ptr 1
		.amdhsa_user_sgpr_dispatch_id 0
		.amdhsa_user_sgpr_private_segment_size 0
		.amdhsa_wavefront_size32 1
		.amdhsa_uses_dynamic_stack 0
		.amdhsa_enable_private_segment 0
		.amdhsa_system_sgpr_workgroup_id_x 1
		.amdhsa_system_sgpr_workgroup_id_y 0
		.amdhsa_system_sgpr_workgroup_id_z 0
		.amdhsa_system_sgpr_workgroup_info 0
		.amdhsa_system_vgpr_workitem_id 0
		.amdhsa_next_free_vgpr 30
		.amdhsa_next_free_sgpr 22
		.amdhsa_reserve_vcc 1
		.amdhsa_float_round_mode_32 0
		.amdhsa_float_round_mode_16_64 0
		.amdhsa_float_denorm_mode_32 3
		.amdhsa_float_denorm_mode_16_64 3
		.amdhsa_dx10_clamp 1
		.amdhsa_ieee_mode 1
		.amdhsa_fp16_overflow 0
		.amdhsa_workgroup_processor_mode 1
		.amdhsa_memory_ordered 1
		.amdhsa_forward_progress 0
		.amdhsa_shared_vgpr_count 0
		.amdhsa_exception_fp_ieee_invalid_op 0
		.amdhsa_exception_fp_denorm_src 0
		.amdhsa_exception_fp_ieee_div_zero 0
		.amdhsa_exception_fp_ieee_overflow 0
		.amdhsa_exception_fp_ieee_underflow 0
		.amdhsa_exception_fp_ieee_inexact 0
		.amdhsa_exception_int_div_zero 0
	.end_amdhsa_kernel
	.section	.text._ZN2at6native12_GLOBAL__N_125multi_tensor_apply_kernelINS1_28TensorListScalarListMetadataIfLi2EEENS1_25BinaryOpScalarListFunctorIN3c108BFloat16ELi2ELi1ELi1EEEJNS0_7minimumIfEEEEEvT_T0_DpT1_,"axG",@progbits,_ZN2at6native12_GLOBAL__N_125multi_tensor_apply_kernelINS1_28TensorListScalarListMetadataIfLi2EEENS1_25BinaryOpScalarListFunctorIN3c108BFloat16ELi2ELi1ELi1EEEJNS0_7minimumIfEEEEEvT_T0_DpT1_,comdat
.Lfunc_end137:
	.size	_ZN2at6native12_GLOBAL__N_125multi_tensor_apply_kernelINS1_28TensorListScalarListMetadataIfLi2EEENS1_25BinaryOpScalarListFunctorIN3c108BFloat16ELi2ELi1ELi1EEEJNS0_7minimumIfEEEEEvT_T0_DpT1_, .Lfunc_end137-_ZN2at6native12_GLOBAL__N_125multi_tensor_apply_kernelINS1_28TensorListScalarListMetadataIfLi2EEENS1_25BinaryOpScalarListFunctorIN3c108BFloat16ELi2ELi1ELi1EEEJNS0_7minimumIfEEEEEvT_T0_DpT1_
                                        ; -- End function
	.section	.AMDGPU.csdata,"",@progbits
; Kernel info:
; codeLenInByte = 2064
; NumSgprs: 24
; NumVgprs: 30
; ScratchSize: 0
; MemoryBound: 0
; FloatMode: 240
; IeeeMode: 1
; LDSByteSize: 0 bytes/workgroup (compile time only)
; SGPRBlocks: 2
; VGPRBlocks: 3
; NumSGPRsForWavesPerEU: 24
; NumVGPRsForWavesPerEU: 30
; Occupancy: 16
; WaveLimiterHint : 0
; COMPUTE_PGM_RSRC2:SCRATCH_EN: 0
; COMPUTE_PGM_RSRC2:USER_SGPR: 15
; COMPUTE_PGM_RSRC2:TRAP_HANDLER: 0
; COMPUTE_PGM_RSRC2:TGID_X_EN: 1
; COMPUTE_PGM_RSRC2:TGID_Y_EN: 0
; COMPUTE_PGM_RSRC2:TGID_Z_EN: 0
; COMPUTE_PGM_RSRC2:TIDIG_COMP_CNT: 0
	.section	.text._ZN2at6native12_GLOBAL__N_125multi_tensor_apply_kernelINS1_28TensorListScalarListMetadataIhLi1EEENS1_25BinaryOpScalarListFunctorIhLi1ELi1ELi0EEEJNS0_7maximumIhEEEEEvT_T0_DpT1_,"axG",@progbits,_ZN2at6native12_GLOBAL__N_125multi_tensor_apply_kernelINS1_28TensorListScalarListMetadataIhLi1EEENS1_25BinaryOpScalarListFunctorIhLi1ELi1ELi0EEEJNS0_7maximumIhEEEEEvT_T0_DpT1_,comdat
	.globl	_ZN2at6native12_GLOBAL__N_125multi_tensor_apply_kernelINS1_28TensorListScalarListMetadataIhLi1EEENS1_25BinaryOpScalarListFunctorIhLi1ELi1ELi0EEEJNS0_7maximumIhEEEEEvT_T0_DpT1_ ; -- Begin function _ZN2at6native12_GLOBAL__N_125multi_tensor_apply_kernelINS1_28TensorListScalarListMetadataIhLi1EEENS1_25BinaryOpScalarListFunctorIhLi1ELi1ELi0EEEJNS0_7maximumIhEEEEEvT_T0_DpT1_
	.p2align	8
	.type	_ZN2at6native12_GLOBAL__N_125multi_tensor_apply_kernelINS1_28TensorListScalarListMetadataIhLi1EEENS1_25BinaryOpScalarListFunctorIhLi1ELi1ELi0EEEJNS0_7maximumIhEEEEEvT_T0_DpT1_,@function
_ZN2at6native12_GLOBAL__N_125multi_tensor_apply_kernelINS1_28TensorListScalarListMetadataIhLi1EEENS1_25BinaryOpScalarListFunctorIhLi1ELi1ELi0EEEJNS0_7maximumIhEEEEEvT_T0_DpT1_: ; @_ZN2at6native12_GLOBAL__N_125multi_tensor_apply_kernelINS1_28TensorListScalarListMetadataIhLi1EEENS1_25BinaryOpScalarListFunctorIhLi1ELi1ELi0EEEJNS0_7maximumIhEEEEEvT_T0_DpT1_
; %bb.0:
	v_mov_b32_e32 v1, s15
	s_mul_i32 s4, s15, 3
	s_mul_hi_u32 s5, s15, 3
	global_load_u8 v3, v1, s[0:1] offset:1632
	s_waitcnt vmcnt(0)
	v_add_co_u32 v1, s2, s0, v3
	s_delay_alu instid0(VALU_DEP_1)
	v_add_co_ci_u32_e64 v2, null, s1, 0, s2
	s_add_u32 s2, s0, s15
	s_addc_u32 s3, s1, 0
	s_add_u32 s2, s2, s4
	global_load_u8 v2, v[1:2], off offset:1536
	v_readfirstlane_b32 s6, v3
	s_addc_u32 s3, s3, s5
	s_load_b32 s4, s[2:3], 0x7a0
	s_delay_alu instid0(VALU_DEP_1)
	s_lshl_b32 s5, s6, 3
	s_clause 0x1
	s_load_b64 s[2:3], s[0:1], s5 offset:0x0
	s_load_b64 s[8:9], s[0:1], s5 offset:0x300
	s_waitcnt lgkmcnt(0)
	s_ashr_i32 s5, s4, 31
	s_delay_alu instid0(SALU_CYCLE_1) | instskip(NEXT) | instid1(SALU_CYCLE_1)
	s_lshl_b64 s[4:5], s[4:5], 16
	s_add_u32 s12, s2, s4
	s_addc_u32 s13, s3, s5
	s_sub_u32 s6, s8, s4
	s_subb_u32 s7, s9, s5
	s_or_b32 s8, s8, s12
	s_delay_alu instid0(SALU_CYCLE_1) | instskip(NEXT) | instid1(SALU_CYCLE_1)
	s_and_b32 s8, s8, 3
	s_cmp_eq_u32 s8, 0
	s_cbranch_scc1 .LBB138_21
; %bb.1:
	v_cmp_lt_i64_e64 s8, s[6:7], 1
	s_delay_alu instid0(VALU_DEP_1)
	s_and_b32 vcc_lo, exec_lo, s8
	s_cbranch_vccnz .LBB138_20
; %bb.2:
	s_load_b32 s8, s[0:1], 0xcb4
	v_add_co_u32 v12, s9, s4, v0
	s_delay_alu instid0(VALU_DEP_1) | instskip(SKIP_1) | instid1(VALU_DEP_3)
	v_add_co_ci_u32_e64 v13, null, s5, 0, s9
	v_cmp_gt_u64_e64 s9, 0x10000, s[6:7]
	v_add_co_u32 v1, vcc_lo, s2, v12
	s_delay_alu instid0(VALU_DEP_3)
	v_add_co_ci_u32_e32 v3, vcc_lo, s3, v13, vcc_lo
	s_waitcnt vmcnt(0)
	v_and_b32_e32 v16, 0xff, v2
	s_waitcnt lgkmcnt(0)
	s_and_b32 s10, s8, 0xffff
	s_and_b32 s8, s9, exec_lo
	s_mul_i32 s15, s10, 3
	s_cselect_b32 s9, s7, 0
	s_cselect_b32 s8, s6, 0x10000
	s_lshl_b32 s11, s10, 1
	s_lshl_b32 s14, s10, 2
	s_add_u32 s16, s4, s15
	v_add_co_u32 v4, s15, s15, v0
	s_delay_alu instid0(VALU_DEP_1)
	v_add_co_ci_u32_e64 v5, null, 0, 0, s15
	s_addc_u32 s15, s5, 0
	s_add_u32 s16, s2, s16
	s_addc_u32 s15, s3, s15
	s_add_u32 s4, s4, s11
	;; [unrolled: 2-line block ×3, first 2 shown]
	s_addc_u32 s5, s3, s5
	v_add_co_u32 v8, s4, s4, v0
	s_add_u32 s2, s2, s10
	v_add_co_u32 v6, s16, s16, v0
	v_add_co_ci_u32_e64 v9, null, s5, 0, s4
	v_add_co_u32 v10, s4, s11, v0
	s_addc_u32 s3, s3, 0
	v_add_co_u32 v12, vcc_lo, s2, v12
	v_add_co_u32 v14, s2, v0, s10
	v_add_co_ci_u32_e64 v7, null, s15, 0, s16
	v_add_co_ci_u32_e64 v11, null, 0, 0, s4
	v_add_co_ci_u32_e32 v13, vcc_lo, s3, v13, vcc_lo
	v_add_co_ci_u32_e64 v15, null, 0, 0, s2
	s_mov_b64 s[10:11], 0
	s_branch .LBB138_4
.LBB138_3:                              ;   in Loop: Header=BB138_4 Depth=1
	s_or_b32 exec_lo, exec_lo, s2
	s_add_u32 s10, s10, s14
	s_addc_u32 s11, s11, 0
	s_delay_alu instid0(SALU_CYCLE_1) | instskip(SKIP_1) | instid1(VALU_DEP_1)
	v_cmp_lt_i64_e64 s2, s[10:11], s[6:7]
	v_cmp_gt_u64_e64 s3, 0x10000, s[10:11]
	s_and_b32 s2, s2, s3
	s_delay_alu instid0(SALU_CYCLE_1)
	s_and_b32 vcc_lo, exec_lo, s2
	s_cbranch_vccz .LBB138_20
.LBB138_4:                              ; =>This Inner Loop Header: Depth=1
	s_waitcnt vmcnt(0)
	v_add_co_u32 v17, s2, v0, s10
	s_delay_alu instid0(VALU_DEP_1) | instskip(NEXT) | instid1(VALU_DEP_1)
	v_add_co_ci_u32_e64 v18, null, 0, s11, s2
	v_cmp_gt_u64_e32 vcc_lo, s[8:9], v[17:18]
	v_mov_b32_e32 v18, 0
	s_and_saveexec_b32 s3, vcc_lo
	s_cbranch_execz .LBB138_6
; %bb.5:                                ;   in Loop: Header=BB138_4 Depth=1
	v_add_co_u32 v17, s2, v1, s10
	s_delay_alu instid0(VALU_DEP_1)
	v_add_co_ci_u32_e64 v18, s2, s11, v3, s2
	global_load_u8 v18, v[17:18], off
.LBB138_6:                              ;   in Loop: Header=BB138_4 Depth=1
	s_or_b32 exec_lo, exec_lo, s3
	v_add_co_u32 v19, s2, v14, s10
	s_delay_alu instid0(VALU_DEP_1) | instskip(NEXT) | instid1(VALU_DEP_1)
	v_add_co_ci_u32_e64 v20, s2, s11, v15, s2
	v_cmp_gt_u64_e64 s2, s[8:9], v[19:20]
	v_mov_b32_e32 v19, 0
	s_delay_alu instid0(VALU_DEP_2)
	s_and_saveexec_b32 s4, s2
	s_cbranch_execz .LBB138_8
; %bb.7:                                ;   in Loop: Header=BB138_4 Depth=1
	v_add_co_u32 v19, s3, v12, s10
	s_delay_alu instid0(VALU_DEP_1)
	v_add_co_ci_u32_e64 v20, s3, s11, v13, s3
	global_load_u8 v19, v[19:20], off
.LBB138_8:                              ;   in Loop: Header=BB138_4 Depth=1
	s_or_b32 exec_lo, exec_lo, s4
	v_add_co_u32 v20, s3, v10, s10
	s_delay_alu instid0(VALU_DEP_1) | instskip(SKIP_1) | instid1(VALU_DEP_2)
	v_add_co_ci_u32_e64 v21, s3, s11, v11, s3
	v_mov_b32_e32 v17, 0
	v_cmp_gt_u64_e64 s3, s[8:9], v[20:21]
	v_mov_b32_e32 v20, 0
	s_delay_alu instid0(VALU_DEP_2)
	s_and_saveexec_b32 s5, s3
	s_cbranch_execz .LBB138_10
; %bb.9:                                ;   in Loop: Header=BB138_4 Depth=1
	v_add_co_u32 v20, s4, v8, s10
	s_delay_alu instid0(VALU_DEP_1)
	v_add_co_ci_u32_e64 v21, s4, s11, v9, s4
	global_load_u8 v20, v[20:21], off
.LBB138_10:                             ;   in Loop: Header=BB138_4 Depth=1
	s_or_b32 exec_lo, exec_lo, s5
	v_add_co_u32 v21, s4, v4, s10
	s_delay_alu instid0(VALU_DEP_1) | instskip(NEXT) | instid1(VALU_DEP_1)
	v_add_co_ci_u32_e64 v22, s4, s11, v5, s4
	v_cmp_gt_u64_e64 s4, s[8:9], v[21:22]
	s_delay_alu instid0(VALU_DEP_1)
	s_and_saveexec_b32 s15, s4
	s_cbranch_execnz .LBB138_15
; %bb.11:                               ;   in Loop: Header=BB138_4 Depth=1
	s_or_b32 exec_lo, exec_lo, s15
	s_and_saveexec_b32 s5, vcc_lo
	s_cbranch_execnz .LBB138_16
.LBB138_12:                             ;   in Loop: Header=BB138_4 Depth=1
	s_or_b32 exec_lo, exec_lo, s5
	s_and_saveexec_b32 s5, s2
	s_cbranch_execnz .LBB138_17
.LBB138_13:                             ;   in Loop: Header=BB138_4 Depth=1
	s_or_b32 exec_lo, exec_lo, s5
	s_and_saveexec_b32 s2, s3
	s_cbranch_execnz .LBB138_18
.LBB138_14:                             ;   in Loop: Header=BB138_4 Depth=1
	s_or_b32 exec_lo, exec_lo, s2
	s_and_saveexec_b32 s2, s4
	s_cbranch_execz .LBB138_3
	s_branch .LBB138_19
.LBB138_15:                             ;   in Loop: Header=BB138_4 Depth=1
	v_add_co_u32 v21, s5, v6, s10
	s_delay_alu instid0(VALU_DEP_1)
	v_add_co_ci_u32_e64 v22, s5, s11, v7, s5
	global_load_u8 v17, v[21:22], off
	s_or_b32 exec_lo, exec_lo, s15
	s_and_saveexec_b32 s5, vcc_lo
	s_cbranch_execz .LBB138_12
.LBB138_16:                             ;   in Loop: Header=BB138_4 Depth=1
	s_waitcnt vmcnt(0)
	v_and_b32_e32 v18, 0xff, v18
	v_add_co_u32 v21, vcc_lo, v1, s10
	v_add_co_ci_u32_e32 v22, vcc_lo, s11, v3, vcc_lo
	s_delay_alu instid0(VALU_DEP_3)
	v_max_u16 v18, v18, v16
	global_store_b8 v[21:22], v18, off
	s_or_b32 exec_lo, exec_lo, s5
	s_and_saveexec_b32 s5, s2
	s_cbranch_execz .LBB138_13
.LBB138_17:                             ;   in Loop: Header=BB138_4 Depth=1
	s_waitcnt vmcnt(0)
	v_and_b32_e32 v18, 0xff, v19
	s_delay_alu instid0(VALU_DEP_1)
	v_max_u16 v21, v18, v16
	v_add_co_u32 v18, vcc_lo, v12, s10
	v_add_co_ci_u32_e32 v19, vcc_lo, s11, v13, vcc_lo
	global_store_b8 v[18:19], v21, off
	s_or_b32 exec_lo, exec_lo, s5
	s_and_saveexec_b32 s2, s3
	s_cbranch_execz .LBB138_14
.LBB138_18:                             ;   in Loop: Header=BB138_4 Depth=1
	s_waitcnt vmcnt(0)
	v_and_b32_e32 v18, 0xff, v20
	s_delay_alu instid0(VALU_DEP_1)
	v_max_u16 v20, v18, v16
	v_add_co_u32 v18, vcc_lo, v8, s10
	v_add_co_ci_u32_e32 v19, vcc_lo, s11, v9, vcc_lo
	global_store_b8 v[18:19], v20, off
	s_or_b32 exec_lo, exec_lo, s2
	s_and_saveexec_b32 s2, s4
	s_cbranch_execz .LBB138_3
.LBB138_19:                             ;   in Loop: Header=BB138_4 Depth=1
	s_waitcnt vmcnt(0)
	v_and_b32_e32 v17, 0xff, v17
	s_delay_alu instid0(VALU_DEP_1)
	v_max_u16 v19, v17, v16
	v_add_co_u32 v17, vcc_lo, v6, s10
	v_add_co_ci_u32_e32 v18, vcc_lo, s11, v7, vcc_lo
	global_store_b8 v[17:18], v19, off
	s_branch .LBB138_3
.LBB138_20:
	s_cbranch_execz .LBB138_22
	s_branch .LBB138_25
.LBB138_21:
.LBB138_22:
	v_dual_mov_b32 v1, 0 :: v_dual_lshlrev_b32 v0, 2, v0
	s_mov_b32 s2, exec_lo
	s_delay_alu instid0(VALU_DEP_1)
	v_cmpx_gt_i64_e64 s[6:7], v[0:1]
	s_cbranch_execz .LBB138_25
; %bb.23:
	s_load_b32 s0, s[0:1], 0xcb4
	s_waitcnt vmcnt(0)
	v_and_b32_e32 v2, 0xff, v2
	s_mov_b32 s2, 0
	s_waitcnt lgkmcnt(0)
	s_and_b32 s0, s0, 0xffff
	s_delay_alu instid0(SALU_CYCLE_1)
	s_lshl_b32 s1, s0, 2
	s_set_inst_prefetch_distance 0x1
	.p2align	6
.LBB138_24:                             ; =>This Inner Loop Header: Depth=1
	v_add_co_u32 v3, vcc_lo, s12, v0
	v_add_co_ci_u32_e32 v4, vcc_lo, s13, v1, vcc_lo
	v_add_co_u32 v0, vcc_lo, s1, v0
	v_add_co_ci_u32_e32 v1, vcc_lo, 0, v1, vcc_lo
	global_load_b32 v5, v[3:4], off
	v_cmp_le_i64_e32 vcc_lo, s[6:7], v[0:1]
	v_cmp_lt_u64_e64 s0, 0xffff, v[0:1]
	s_delay_alu instid0(VALU_DEP_1) | instskip(NEXT) | instid1(SALU_CYCLE_1)
	s_or_b32 s0, vcc_lo, s0
	s_and_b32 s0, exec_lo, s0
	s_delay_alu instid0(SALU_CYCLE_1)
	s_or_b32 s2, s0, s2
	s_waitcnt vmcnt(0)
	v_lshrrev_b32_e32 v6, 8, v5
	v_lshrrev_b32_e32 v7, 16, v5
	v_and_b32_e32 v8, 0xff, v5
	v_lshrrev_b32_e32 v5, 24, v5
	s_delay_alu instid0(VALU_DEP_4) | instskip(NEXT) | instid1(VALU_DEP_4)
	v_and_b32_e32 v6, 0xff, v6
	v_and_b32_e32 v7, 0xff, v7
	s_delay_alu instid0(VALU_DEP_4) | instskip(NEXT) | instid1(VALU_DEP_4)
	v_max_u16 v8, v8, v2
	v_max_u16 v5, v5, v2
	s_delay_alu instid0(VALU_DEP_4) | instskip(NEXT) | instid1(VALU_DEP_4)
	v_max_u16 v6, v6, v2
	v_max_u16 v7, v7, v2
	s_delay_alu instid0(VALU_DEP_4) | instskip(NEXT) | instid1(VALU_DEP_3)
	v_and_b32_e32 v8, 0xffff, v8
	v_and_b32_e32 v6, 0xffff, v6
	s_delay_alu instid0(VALU_DEP_3) | instskip(NEXT) | instid1(VALU_DEP_2)
	v_lshlrev_b32_e32 v7, 16, v7
	v_lshlrev_b32_e32 v6, 8, v6
	s_delay_alu instid0(VALU_DEP_2) | instskip(NEXT) | instid1(VALU_DEP_1)
	v_lshl_or_b32 v5, v5, 24, v7
	v_or3_b32 v5, v5, v6, v8
	global_store_b32 v[3:4], v5, off
	s_and_not1_b32 exec_lo, exec_lo, s2
	s_cbranch_execnz .LBB138_24
.LBB138_25:
	s_set_inst_prefetch_distance 0x2
	s_nop 0
	s_sendmsg sendmsg(MSG_DEALLOC_VGPRS)
	s_endpgm
	.section	.rodata,"a",@progbits
	.p2align	6, 0x0
	.amdhsa_kernel _ZN2at6native12_GLOBAL__N_125multi_tensor_apply_kernelINS1_28TensorListScalarListMetadataIhLi1EEENS1_25BinaryOpScalarListFunctorIhLi1ELi1ELi0EEEJNS0_7maximumIhEEEEEvT_T0_DpT1_
		.amdhsa_group_segment_fixed_size 0
		.amdhsa_private_segment_fixed_size 0
		.amdhsa_kernarg_size 3496
		.amdhsa_user_sgpr_count 15
		.amdhsa_user_sgpr_dispatch_ptr 0
		.amdhsa_user_sgpr_queue_ptr 0
		.amdhsa_user_sgpr_kernarg_segment_ptr 1
		.amdhsa_user_sgpr_dispatch_id 0
		.amdhsa_user_sgpr_private_segment_size 0
		.amdhsa_wavefront_size32 1
		.amdhsa_uses_dynamic_stack 0
		.amdhsa_enable_private_segment 0
		.amdhsa_system_sgpr_workgroup_id_x 1
		.amdhsa_system_sgpr_workgroup_id_y 0
		.amdhsa_system_sgpr_workgroup_id_z 0
		.amdhsa_system_sgpr_workgroup_info 0
		.amdhsa_system_vgpr_workitem_id 0
		.amdhsa_next_free_vgpr 23
		.amdhsa_next_free_sgpr 17
		.amdhsa_reserve_vcc 1
		.amdhsa_float_round_mode_32 0
		.amdhsa_float_round_mode_16_64 0
		.amdhsa_float_denorm_mode_32 3
		.amdhsa_float_denorm_mode_16_64 3
		.amdhsa_dx10_clamp 1
		.amdhsa_ieee_mode 1
		.amdhsa_fp16_overflow 0
		.amdhsa_workgroup_processor_mode 1
		.amdhsa_memory_ordered 1
		.amdhsa_forward_progress 0
		.amdhsa_shared_vgpr_count 0
		.amdhsa_exception_fp_ieee_invalid_op 0
		.amdhsa_exception_fp_denorm_src 0
		.amdhsa_exception_fp_ieee_div_zero 0
		.amdhsa_exception_fp_ieee_overflow 0
		.amdhsa_exception_fp_ieee_underflow 0
		.amdhsa_exception_fp_ieee_inexact 0
		.amdhsa_exception_int_div_zero 0
	.end_amdhsa_kernel
	.section	.text._ZN2at6native12_GLOBAL__N_125multi_tensor_apply_kernelINS1_28TensorListScalarListMetadataIhLi1EEENS1_25BinaryOpScalarListFunctorIhLi1ELi1ELi0EEEJNS0_7maximumIhEEEEEvT_T0_DpT1_,"axG",@progbits,_ZN2at6native12_GLOBAL__N_125multi_tensor_apply_kernelINS1_28TensorListScalarListMetadataIhLi1EEENS1_25BinaryOpScalarListFunctorIhLi1ELi1ELi0EEEJNS0_7maximumIhEEEEEvT_T0_DpT1_,comdat
.Lfunc_end138:
	.size	_ZN2at6native12_GLOBAL__N_125multi_tensor_apply_kernelINS1_28TensorListScalarListMetadataIhLi1EEENS1_25BinaryOpScalarListFunctorIhLi1ELi1ELi0EEEJNS0_7maximumIhEEEEEvT_T0_DpT1_, .Lfunc_end138-_ZN2at6native12_GLOBAL__N_125multi_tensor_apply_kernelINS1_28TensorListScalarListMetadataIhLi1EEENS1_25BinaryOpScalarListFunctorIhLi1ELi1ELi0EEEJNS0_7maximumIhEEEEEvT_T0_DpT1_
                                        ; -- End function
	.section	.AMDGPU.csdata,"",@progbits
; Kernel info:
; codeLenInByte = 1380
; NumSgprs: 19
; NumVgprs: 23
; ScratchSize: 0
; MemoryBound: 0
; FloatMode: 240
; IeeeMode: 1
; LDSByteSize: 0 bytes/workgroup (compile time only)
; SGPRBlocks: 2
; VGPRBlocks: 2
; NumSGPRsForWavesPerEU: 19
; NumVGPRsForWavesPerEU: 23
; Occupancy: 16
; WaveLimiterHint : 0
; COMPUTE_PGM_RSRC2:SCRATCH_EN: 0
; COMPUTE_PGM_RSRC2:USER_SGPR: 15
; COMPUTE_PGM_RSRC2:TRAP_HANDLER: 0
; COMPUTE_PGM_RSRC2:TGID_X_EN: 1
; COMPUTE_PGM_RSRC2:TGID_Y_EN: 0
; COMPUTE_PGM_RSRC2:TGID_Z_EN: 0
; COMPUTE_PGM_RSRC2:TIDIG_COMP_CNT: 0
	.section	.text._ZN2at6native12_GLOBAL__N_125multi_tensor_apply_kernelINS1_28TensorListScalarListMetadataIaLi1EEENS1_25BinaryOpScalarListFunctorIaLi1ELi1ELi0EEEJNS0_7maximumIaEEEEEvT_T0_DpT1_,"axG",@progbits,_ZN2at6native12_GLOBAL__N_125multi_tensor_apply_kernelINS1_28TensorListScalarListMetadataIaLi1EEENS1_25BinaryOpScalarListFunctorIaLi1ELi1ELi0EEEJNS0_7maximumIaEEEEEvT_T0_DpT1_,comdat
	.globl	_ZN2at6native12_GLOBAL__N_125multi_tensor_apply_kernelINS1_28TensorListScalarListMetadataIaLi1EEENS1_25BinaryOpScalarListFunctorIaLi1ELi1ELi0EEEJNS0_7maximumIaEEEEEvT_T0_DpT1_ ; -- Begin function _ZN2at6native12_GLOBAL__N_125multi_tensor_apply_kernelINS1_28TensorListScalarListMetadataIaLi1EEENS1_25BinaryOpScalarListFunctorIaLi1ELi1ELi0EEEJNS0_7maximumIaEEEEEvT_T0_DpT1_
	.p2align	8
	.type	_ZN2at6native12_GLOBAL__N_125multi_tensor_apply_kernelINS1_28TensorListScalarListMetadataIaLi1EEENS1_25BinaryOpScalarListFunctorIaLi1ELi1ELi0EEEJNS0_7maximumIaEEEEEvT_T0_DpT1_,@function
_ZN2at6native12_GLOBAL__N_125multi_tensor_apply_kernelINS1_28TensorListScalarListMetadataIaLi1EEENS1_25BinaryOpScalarListFunctorIaLi1ELi1ELi0EEEJNS0_7maximumIaEEEEEvT_T0_DpT1_: ; @_ZN2at6native12_GLOBAL__N_125multi_tensor_apply_kernelINS1_28TensorListScalarListMetadataIaLi1EEENS1_25BinaryOpScalarListFunctorIaLi1ELi1ELi0EEEJNS0_7maximumIaEEEEEvT_T0_DpT1_
; %bb.0:
	v_mov_b32_e32 v1, s15
	s_mul_i32 s3, s15, 3
	s_mul_hi_u32 s4, s15, 3
	global_load_u8 v3, v1, s[0:1] offset:1632
	s_waitcnt vmcnt(0)
	v_add_co_u32 v1, s2, s0, v3
	s_delay_alu instid0(VALU_DEP_1)
	v_add_co_ci_u32_e64 v2, null, s1, 0, s2
	s_add_u32 s2, s0, s15
	s_addc_u32 s5, s1, 0
	s_add_u32 s2, s2, s3
	global_load_u8 v1, v[1:2], off offset:1536
	v_readfirstlane_b32 s6, v3
	s_addc_u32 s3, s5, s4
	s_load_b32 s4, s[2:3], 0x7a0
	s_delay_alu instid0(VALU_DEP_1)
	s_lshl_b32 s5, s6, 3
	s_clause 0x1
	s_load_b64 s[2:3], s[0:1], s5 offset:0x0
	s_load_b64 s[8:9], s[0:1], s5 offset:0x300
	s_waitcnt lgkmcnt(0)
	s_ashr_i32 s5, s4, 31
	s_delay_alu instid0(SALU_CYCLE_1) | instskip(NEXT) | instid1(SALU_CYCLE_1)
	s_lshl_b64 s[4:5], s[4:5], 16
	s_add_u32 s12, s2, s4
	s_addc_u32 s13, s3, s5
	s_sub_u32 s6, s8, s4
	s_subb_u32 s7, s9, s5
	s_or_b32 s8, s8, s12
	s_delay_alu instid0(SALU_CYCLE_1) | instskip(NEXT) | instid1(SALU_CYCLE_1)
	s_and_b32 s8, s8, 3
	s_cmp_eq_u32 s8, 0
	s_waitcnt vmcnt(0)
	v_readfirstlane_b32 s14, v1
	s_cbranch_scc1 .LBB139_21
; %bb.1:
	v_cmp_lt_i64_e64 s8, s[6:7], 1
	s_delay_alu instid0(VALU_DEP_1)
	s_and_b32 vcc_lo, exec_lo, s8
	s_cbranch_vccnz .LBB139_20
; %bb.2:
	s_load_b32 s8, s[0:1], 0xcb4
	v_add_co_u32 v11, s9, s4, v0
	s_delay_alu instid0(VALU_DEP_1) | instskip(SKIP_1) | instid1(VALU_DEP_3)
	v_add_co_ci_u32_e64 v12, null, s5, 0, s9
	v_cmp_gt_u64_e64 s9, 0x10000, s[6:7]
	v_add_co_u32 v1, vcc_lo, s2, v11
	s_delay_alu instid0(VALU_DEP_3) | instskip(SKIP_2) | instid1(VALU_DEP_3)
	v_add_co_ci_u32_e32 v2, vcc_lo, s3, v12, vcc_lo
	s_waitcnt lgkmcnt(0)
	s_and_b32 s10, s8, 0xffff
	s_and_b32 s8, s9, exec_lo
	s_mul_i32 s16, s10, 3
	s_cselect_b32 s9, s7, 0
	s_cselect_b32 s8, s6, 0x10000
	s_lshl_b32 s11, s10, 1
	s_lshl_b32 s15, s10, 2
	s_add_u32 s17, s4, s16
	v_add_co_u32 v3, s16, s16, v0
	s_delay_alu instid0(VALU_DEP_1)
	v_add_co_ci_u32_e64 v4, null, 0, 0, s16
	s_addc_u32 s16, s5, 0
	s_add_u32 s17, s2, s17
	s_addc_u32 s16, s3, s16
	s_add_u32 s4, s4, s11
	s_addc_u32 s5, s5, 0
	s_add_u32 s4, s2, s4
	s_addc_u32 s5, s3, s5
	v_add_co_u32 v7, s4, s4, v0
	s_add_u32 s2, s2, s10
	v_add_co_u32 v5, s17, s17, v0
	v_add_co_ci_u32_e64 v8, null, s5, 0, s4
	v_add_co_u32 v9, s4, s11, v0
	s_addc_u32 s3, s3, 0
	v_add_co_u32 v11, vcc_lo, s2, v11
	v_add_co_u32 v13, s2, v0, s10
	v_add_co_ci_u32_e64 v6, null, s16, 0, s17
	v_add_co_ci_u32_e64 v10, null, 0, 0, s4
	v_add_co_ci_u32_e32 v12, vcc_lo, s3, v12, vcc_lo
	v_add_co_ci_u32_e64 v14, null, 0, 0, s2
	s_mov_b64 s[10:11], 0
	s_bfe_i32 s16, s14, 0x80000
	s_branch .LBB139_4
.LBB139_3:                              ;   in Loop: Header=BB139_4 Depth=1
	s_or_b32 exec_lo, exec_lo, s2
	s_add_u32 s10, s10, s15
	s_addc_u32 s11, s11, 0
	s_delay_alu instid0(SALU_CYCLE_1) | instskip(SKIP_1) | instid1(VALU_DEP_1)
	v_cmp_lt_i64_e64 s2, s[10:11], s[6:7]
	v_cmp_gt_u64_e64 s3, 0x10000, s[10:11]
	s_and_b32 s2, s2, s3
	s_delay_alu instid0(SALU_CYCLE_1)
	s_and_b32 vcc_lo, exec_lo, s2
	s_cbranch_vccz .LBB139_20
.LBB139_4:                              ; =>This Inner Loop Header: Depth=1
	s_waitcnt vmcnt(0)
	v_add_co_u32 v15, s2, v0, s10
	s_delay_alu instid0(VALU_DEP_1) | instskip(NEXT) | instid1(VALU_DEP_1)
	v_add_co_ci_u32_e64 v16, null, 0, s11, s2
	v_cmp_gt_u64_e32 vcc_lo, s[8:9], v[15:16]
	v_mov_b32_e32 v16, 0
	s_and_saveexec_b32 s3, vcc_lo
	s_cbranch_execz .LBB139_6
; %bb.5:                                ;   in Loop: Header=BB139_4 Depth=1
	v_add_co_u32 v15, s2, v1, s10
	s_delay_alu instid0(VALU_DEP_1)
	v_add_co_ci_u32_e64 v16, s2, s11, v2, s2
	global_load_u8 v16, v[15:16], off
.LBB139_6:                              ;   in Loop: Header=BB139_4 Depth=1
	s_or_b32 exec_lo, exec_lo, s3
	v_add_co_u32 v17, s2, v13, s10
	s_delay_alu instid0(VALU_DEP_1) | instskip(NEXT) | instid1(VALU_DEP_1)
	v_add_co_ci_u32_e64 v18, s2, s11, v14, s2
	v_cmp_gt_u64_e64 s2, s[8:9], v[17:18]
	v_mov_b32_e32 v17, 0
	s_delay_alu instid0(VALU_DEP_2)
	s_and_saveexec_b32 s4, s2
	s_cbranch_execz .LBB139_8
; %bb.7:                                ;   in Loop: Header=BB139_4 Depth=1
	v_add_co_u32 v17, s3, v11, s10
	s_delay_alu instid0(VALU_DEP_1)
	v_add_co_ci_u32_e64 v18, s3, s11, v12, s3
	global_load_u8 v17, v[17:18], off
.LBB139_8:                              ;   in Loop: Header=BB139_4 Depth=1
	s_or_b32 exec_lo, exec_lo, s4
	v_add_co_u32 v18, s3, v9, s10
	s_delay_alu instid0(VALU_DEP_1) | instskip(SKIP_1) | instid1(VALU_DEP_2)
	v_add_co_ci_u32_e64 v19, s3, s11, v10, s3
	v_mov_b32_e32 v15, 0
	v_cmp_gt_u64_e64 s3, s[8:9], v[18:19]
	v_mov_b32_e32 v18, 0
	s_delay_alu instid0(VALU_DEP_2)
	s_and_saveexec_b32 s5, s3
	s_cbranch_execz .LBB139_10
; %bb.9:                                ;   in Loop: Header=BB139_4 Depth=1
	v_add_co_u32 v18, s4, v7, s10
	s_delay_alu instid0(VALU_DEP_1)
	v_add_co_ci_u32_e64 v19, s4, s11, v8, s4
	global_load_u8 v18, v[18:19], off
.LBB139_10:                             ;   in Loop: Header=BB139_4 Depth=1
	s_or_b32 exec_lo, exec_lo, s5
	v_add_co_u32 v19, s4, v3, s10
	s_delay_alu instid0(VALU_DEP_1) | instskip(NEXT) | instid1(VALU_DEP_1)
	v_add_co_ci_u32_e64 v20, s4, s11, v4, s4
	v_cmp_gt_u64_e64 s4, s[8:9], v[19:20]
	s_delay_alu instid0(VALU_DEP_1)
	s_and_saveexec_b32 s17, s4
	s_cbranch_execnz .LBB139_15
; %bb.11:                               ;   in Loop: Header=BB139_4 Depth=1
	s_or_b32 exec_lo, exec_lo, s17
	s_and_saveexec_b32 s5, vcc_lo
	s_cbranch_execnz .LBB139_16
.LBB139_12:                             ;   in Loop: Header=BB139_4 Depth=1
	s_or_b32 exec_lo, exec_lo, s5
	s_and_saveexec_b32 s5, s2
	s_cbranch_execnz .LBB139_17
.LBB139_13:                             ;   in Loop: Header=BB139_4 Depth=1
	s_or_b32 exec_lo, exec_lo, s5
	s_and_saveexec_b32 s2, s3
	s_cbranch_execnz .LBB139_18
.LBB139_14:                             ;   in Loop: Header=BB139_4 Depth=1
	s_or_b32 exec_lo, exec_lo, s2
	s_and_saveexec_b32 s2, s4
	s_cbranch_execz .LBB139_3
	s_branch .LBB139_19
.LBB139_15:                             ;   in Loop: Header=BB139_4 Depth=1
	v_add_co_u32 v19, s5, v5, s10
	s_delay_alu instid0(VALU_DEP_1)
	v_add_co_ci_u32_e64 v20, s5, s11, v6, s5
	global_load_u8 v15, v[19:20], off
	s_or_b32 exec_lo, exec_lo, s17
	s_and_saveexec_b32 s5, vcc_lo
	s_cbranch_execz .LBB139_12
.LBB139_16:                             ;   in Loop: Header=BB139_4 Depth=1
	s_waitcnt vmcnt(0)
	v_bfe_i32 v16, v16, 0, 8
	v_add_co_u32 v19, vcc_lo, v1, s10
	v_add_co_ci_u32_e32 v20, vcc_lo, s11, v2, vcc_lo
	s_delay_alu instid0(VALU_DEP_3)
	v_max_i16 v16, v16, s16
	global_store_b8 v[19:20], v16, off
	s_or_b32 exec_lo, exec_lo, s5
	s_and_saveexec_b32 s5, s2
	s_cbranch_execz .LBB139_13
.LBB139_17:                             ;   in Loop: Header=BB139_4 Depth=1
	s_waitcnt vmcnt(0)
	v_bfe_i32 v16, v17, 0, 8
	s_delay_alu instid0(VALU_DEP_1)
	v_max_i16 v19, v16, s16
	v_add_co_u32 v16, vcc_lo, v11, s10
	v_add_co_ci_u32_e32 v17, vcc_lo, s11, v12, vcc_lo
	global_store_b8 v[16:17], v19, off
	s_or_b32 exec_lo, exec_lo, s5
	s_and_saveexec_b32 s2, s3
	s_cbranch_execz .LBB139_14
.LBB139_18:                             ;   in Loop: Header=BB139_4 Depth=1
	s_waitcnt vmcnt(0)
	v_bfe_i32 v16, v18, 0, 8
	s_delay_alu instid0(VALU_DEP_1)
	v_max_i16 v18, v16, s16
	v_add_co_u32 v16, vcc_lo, v7, s10
	v_add_co_ci_u32_e32 v17, vcc_lo, s11, v8, vcc_lo
	global_store_b8 v[16:17], v18, off
	s_or_b32 exec_lo, exec_lo, s2
	s_and_saveexec_b32 s2, s4
	s_cbranch_execz .LBB139_3
.LBB139_19:                             ;   in Loop: Header=BB139_4 Depth=1
	s_waitcnt vmcnt(0)
	v_bfe_i32 v15, v15, 0, 8
	s_delay_alu instid0(VALU_DEP_1)
	v_max_i16 v17, v15, s16
	v_add_co_u32 v15, vcc_lo, v5, s10
	v_add_co_ci_u32_e32 v16, vcc_lo, s11, v6, vcc_lo
	global_store_b8 v[15:16], v17, off
	s_branch .LBB139_3
.LBB139_20:
	s_cbranch_execz .LBB139_22
	s_branch .LBB139_25
.LBB139_21:
.LBB139_22:
	v_dual_mov_b32 v1, 0 :: v_dual_lshlrev_b32 v0, 2, v0
	s_mov_b32 s2, exec_lo
	s_delay_alu instid0(VALU_DEP_1)
	v_cmpx_gt_i64_e64 s[6:7], v[0:1]
	s_cbranch_execz .LBB139_25
; %bb.23:
	s_load_b32 s0, s[0:1], 0xcb4
	s_mov_b32 s1, 0
	s_bfe_i32 s3, s14, 0x80000
	s_waitcnt lgkmcnt(0)
	s_and_b32 s0, s0, 0xffff
	s_delay_alu instid0(SALU_CYCLE_1)
	s_lshl_b32 s2, s0, 2
.LBB139_24:                             ; =>This Inner Loop Header: Depth=1
	v_add_co_u32 v2, vcc_lo, s12, v0
	v_add_co_ci_u32_e32 v3, vcc_lo, s13, v1, vcc_lo
	v_add_co_u32 v0, vcc_lo, s2, v0
	v_add_co_ci_u32_e32 v1, vcc_lo, 0, v1, vcc_lo
	global_load_b32 v4, v[2:3], off
	v_cmp_le_i64_e32 vcc_lo, s[6:7], v[0:1]
	v_cmp_lt_u64_e64 s0, 0xffff, v[0:1]
	s_delay_alu instid0(VALU_DEP_1) | instskip(NEXT) | instid1(SALU_CYCLE_1)
	s_or_b32 s0, vcc_lo, s0
	s_and_b32 s0, exec_lo, s0
	s_delay_alu instid0(SALU_CYCLE_1)
	s_or_b32 s1, s0, s1
	s_waitcnt vmcnt(0)
	v_lshrrev_b32_e32 v5, 16, v4
	v_lshrrev_b32_e32 v6, 8, v4
	;; [unrolled: 1-line block ×3, first 2 shown]
	v_bfe_i32 v4, v4, 0, 8
	s_delay_alu instid0(VALU_DEP_4) | instskip(NEXT) | instid1(VALU_DEP_4)
	v_bfe_i32 v5, v5, 0, 8
	v_bfe_i32 v6, v6, 0, 8
	s_delay_alu instid0(VALU_DEP_4) | instskip(NEXT) | instid1(VALU_DEP_4)
	v_bfe_i32 v7, v7, 0, 8
	v_max_i16 v4, v4, s3
	s_delay_alu instid0(VALU_DEP_4) | instskip(NEXT) | instid1(VALU_DEP_4)
	v_max_i16 v5, v5, s3
	v_max_i16 v6, v6, s3
	s_delay_alu instid0(VALU_DEP_4) | instskip(NEXT) | instid1(VALU_DEP_4)
	v_max_i16 v7, v7, s3
	v_and_b32_e32 v4, 0xff, v4
	s_delay_alu instid0(VALU_DEP_4) | instskip(NEXT) | instid1(VALU_DEP_4)
	v_and_b32_e32 v5, 0xff, v5
	v_and_b32_e32 v6, 0xff, v6
	s_delay_alu instid0(VALU_DEP_2) | instskip(NEXT) | instid1(VALU_DEP_2)
	v_lshlrev_b32_e32 v5, 16, v5
	v_lshlrev_b32_e32 v6, 8, v6
	s_delay_alu instid0(VALU_DEP_2) | instskip(NEXT) | instid1(VALU_DEP_1)
	v_lshl_or_b32 v5, v7, 24, v5
	v_or3_b32 v4, v5, v6, v4
	global_store_b32 v[2:3], v4, off
	s_and_not1_b32 exec_lo, exec_lo, s1
	s_cbranch_execnz .LBB139_24
.LBB139_25:
	s_nop 0
	s_sendmsg sendmsg(MSG_DEALLOC_VGPRS)
	s_endpgm
	.section	.rodata,"a",@progbits
	.p2align	6, 0x0
	.amdhsa_kernel _ZN2at6native12_GLOBAL__N_125multi_tensor_apply_kernelINS1_28TensorListScalarListMetadataIaLi1EEENS1_25BinaryOpScalarListFunctorIaLi1ELi1ELi0EEEJNS0_7maximumIaEEEEEvT_T0_DpT1_
		.amdhsa_group_segment_fixed_size 0
		.amdhsa_private_segment_fixed_size 0
		.amdhsa_kernarg_size 3496
		.amdhsa_user_sgpr_count 15
		.amdhsa_user_sgpr_dispatch_ptr 0
		.amdhsa_user_sgpr_queue_ptr 0
		.amdhsa_user_sgpr_kernarg_segment_ptr 1
		.amdhsa_user_sgpr_dispatch_id 0
		.amdhsa_user_sgpr_private_segment_size 0
		.amdhsa_wavefront_size32 1
		.amdhsa_uses_dynamic_stack 0
		.amdhsa_enable_private_segment 0
		.amdhsa_system_sgpr_workgroup_id_x 1
		.amdhsa_system_sgpr_workgroup_id_y 0
		.amdhsa_system_sgpr_workgroup_id_z 0
		.amdhsa_system_sgpr_workgroup_info 0
		.amdhsa_system_vgpr_workitem_id 0
		.amdhsa_next_free_vgpr 21
		.amdhsa_next_free_sgpr 18
		.amdhsa_reserve_vcc 1
		.amdhsa_float_round_mode_32 0
		.amdhsa_float_round_mode_16_64 0
		.amdhsa_float_denorm_mode_32 3
		.amdhsa_float_denorm_mode_16_64 3
		.amdhsa_dx10_clamp 1
		.amdhsa_ieee_mode 1
		.amdhsa_fp16_overflow 0
		.amdhsa_workgroup_processor_mode 1
		.amdhsa_memory_ordered 1
		.amdhsa_forward_progress 0
		.amdhsa_shared_vgpr_count 0
		.amdhsa_exception_fp_ieee_invalid_op 0
		.amdhsa_exception_fp_denorm_src 0
		.amdhsa_exception_fp_ieee_div_zero 0
		.amdhsa_exception_fp_ieee_overflow 0
		.amdhsa_exception_fp_ieee_underflow 0
		.amdhsa_exception_fp_ieee_inexact 0
		.amdhsa_exception_int_div_zero 0
	.end_amdhsa_kernel
	.section	.text._ZN2at6native12_GLOBAL__N_125multi_tensor_apply_kernelINS1_28TensorListScalarListMetadataIaLi1EEENS1_25BinaryOpScalarListFunctorIaLi1ELi1ELi0EEEJNS0_7maximumIaEEEEEvT_T0_DpT1_,"axG",@progbits,_ZN2at6native12_GLOBAL__N_125multi_tensor_apply_kernelINS1_28TensorListScalarListMetadataIaLi1EEENS1_25BinaryOpScalarListFunctorIaLi1ELi1ELi0EEEJNS0_7maximumIaEEEEEvT_T0_DpT1_,comdat
.Lfunc_end139:
	.size	_ZN2at6native12_GLOBAL__N_125multi_tensor_apply_kernelINS1_28TensorListScalarListMetadataIaLi1EEENS1_25BinaryOpScalarListFunctorIaLi1ELi1ELi0EEEJNS0_7maximumIaEEEEEvT_T0_DpT1_, .Lfunc_end139-_ZN2at6native12_GLOBAL__N_125multi_tensor_apply_kernelINS1_28TensorListScalarListMetadataIaLi1EEENS1_25BinaryOpScalarListFunctorIaLi1ELi1ELi0EEEJNS0_7maximumIaEEEEEvT_T0_DpT1_
                                        ; -- End function
	.section	.AMDGPU.csdata,"",@progbits
; Kernel info:
; codeLenInByte = 1392
; NumSgprs: 20
; NumVgprs: 21
; ScratchSize: 0
; MemoryBound: 0
; FloatMode: 240
; IeeeMode: 1
; LDSByteSize: 0 bytes/workgroup (compile time only)
; SGPRBlocks: 2
; VGPRBlocks: 2
; NumSGPRsForWavesPerEU: 20
; NumVGPRsForWavesPerEU: 21
; Occupancy: 16
; WaveLimiterHint : 0
; COMPUTE_PGM_RSRC2:SCRATCH_EN: 0
; COMPUTE_PGM_RSRC2:USER_SGPR: 15
; COMPUTE_PGM_RSRC2:TRAP_HANDLER: 0
; COMPUTE_PGM_RSRC2:TGID_X_EN: 1
; COMPUTE_PGM_RSRC2:TGID_Y_EN: 0
; COMPUTE_PGM_RSRC2:TGID_Z_EN: 0
; COMPUTE_PGM_RSRC2:TIDIG_COMP_CNT: 0
	.section	.text._ZN2at6native12_GLOBAL__N_125multi_tensor_apply_kernelINS1_28TensorListScalarListMetadataIiLi1EEENS1_25BinaryOpScalarListFunctorIiLi1ELi1ELi0EEEJNS0_7maximumIiEEEEEvT_T0_DpT1_,"axG",@progbits,_ZN2at6native12_GLOBAL__N_125multi_tensor_apply_kernelINS1_28TensorListScalarListMetadataIiLi1EEENS1_25BinaryOpScalarListFunctorIiLi1ELi1ELi0EEEJNS0_7maximumIiEEEEEvT_T0_DpT1_,comdat
	.globl	_ZN2at6native12_GLOBAL__N_125multi_tensor_apply_kernelINS1_28TensorListScalarListMetadataIiLi1EEENS1_25BinaryOpScalarListFunctorIiLi1ELi1ELi0EEEJNS0_7maximumIiEEEEEvT_T0_DpT1_ ; -- Begin function _ZN2at6native12_GLOBAL__N_125multi_tensor_apply_kernelINS1_28TensorListScalarListMetadataIiLi1EEENS1_25BinaryOpScalarListFunctorIiLi1ELi1ELi0EEEJNS0_7maximumIiEEEEEvT_T0_DpT1_
	.p2align	8
	.type	_ZN2at6native12_GLOBAL__N_125multi_tensor_apply_kernelINS1_28TensorListScalarListMetadataIiLi1EEENS1_25BinaryOpScalarListFunctorIiLi1ELi1ELi0EEEJNS0_7maximumIiEEEEEvT_T0_DpT1_,@function
_ZN2at6native12_GLOBAL__N_125multi_tensor_apply_kernelINS1_28TensorListScalarListMetadataIiLi1EEENS1_25BinaryOpScalarListFunctorIiLi1ELi1ELi0EEEJNS0_7maximumIiEEEEEvT_T0_DpT1_: ; @_ZN2at6native12_GLOBAL__N_125multi_tensor_apply_kernelINS1_28TensorListScalarListMetadataIiLi1EEENS1_25BinaryOpScalarListFunctorIiLi1ELi1ELi0EEEJNS0_7maximumIiEEEEEvT_T0_DpT1_
; %bb.0:
	v_mov_b32_e32 v1, s15
	s_add_u32 s2, s0, s15
	s_mul_i32 s3, s15, 3
	s_mul_hi_u32 s4, s15, 3
	s_addc_u32 s5, s1, 0
	global_load_u8 v1, v1, s[0:1] offset:1920
	s_add_u32 s2, s2, s3
	s_addc_u32 s3, s5, s4
	s_load_b32 s2, s[2:3], 0x8c0
	s_waitcnt vmcnt(0)
	v_readfirstlane_b32 s3, v1
	v_lshlrev_b32_e32 v1, 2, v1
	s_delay_alu instid0(VALU_DEP_2)
	s_lshl_b32 s6, s3, 3
	s_waitcnt lgkmcnt(0)
	s_ashr_i32 s3, s2, 31
	s_clause 0x1
	s_load_b64 s[4:5], s[0:1], s6 offset:0x300
	s_load_b64 s[8:9], s[0:1], s6 offset:0x0
	s_add_u32 s6, s0, s6
	s_addc_u32 s7, s1, 0
	v_sub_co_u32 v1, s6, s6, v1
	s_delay_alu instid0(VALU_DEP_1) | instskip(SKIP_1) | instid1(VALU_DEP_2)
	v_sub_co_ci_u32_e64 v2, null, s7, 0, s6
	s_lshl_b64 s[10:11], s[2:3], 18
	v_readfirstlane_b32 s6, v1
	s_lshl_b64 s[2:3], s[2:3], 16
	s_delay_alu instid0(VALU_DEP_2)
	v_readfirstlane_b32 s7, v2
	s_load_b32 s16, s[6:7], 0x600
	s_waitcnt lgkmcnt(0)
	s_and_b32 s12, s8, 15
	s_sub_u32 s6, s4, s2
	s_subb_u32 s7, s5, s3
	s_and_b32 s2, s4, 3
	s_mov_b32 s3, 0
	s_or_b32 s2, s12, s2
	s_delay_alu instid0(SALU_CYCLE_1)
	s_cmp_eq_u64 s[2:3], 0
	s_cbranch_scc1 .LBB140_21
; %bb.1:
	v_cmp_lt_i64_e64 s2, s[6:7], 1
	s_delay_alu instid0(VALU_DEP_1)
	s_and_b32 vcc_lo, exec_lo, s2
	s_cbranch_vccnz .LBB140_20
; %bb.2:
	s_load_b32 s2, s[0:1], 0xdd4
	v_cmp_gt_u64_e64 s3, 0x10000, s[6:7]
	v_lshlrev_b32_e32 v1, 2, v0
	s_waitcnt lgkmcnt(0)
	s_and_b32 s2, s2, 0xffff
	s_delay_alu instid0(VALU_DEP_2)
	s_and_b32 s3, s3, exec_lo
	v_add_co_u32 v5, s5, v0, s2
	s_cselect_b32 s13, s7, 0
	s_cselect_b32 s12, s6, 0x10000
	s_lshl_b32 s3, s2, 1
	s_lshl_b32 s17, s2, 2
	v_lshlrev_b32_e32 v3, 2, v5
	v_add_co_ci_u32_e64 v6, null, 0, 0, s5
	s_add_u32 s5, s8, s10
	v_add_co_u32 v9, s3, s3, v0
	s_mul_i32 s4, s2, 3
	s_addc_u32 s14, s9, s11
	v_add_co_ci_u32_e64 v10, null, 0, 0, s3
	v_add_co_u32 v1, s3, s5, v1
	v_add_co_u32 v7, s4, s4, v0
	v_add_co_ci_u32_e64 v2, null, s14, 0, s3
	v_add_co_u32 v3, s3, s5, v3
	v_add_co_ci_u32_e64 v8, null, 0, 0, s4
	v_add_co_ci_u32_e64 v4, null, s14, 0, s3
	s_lshl_b32 s18, s2, 4
	s_mul_i32 s19, s2, 12
	s_lshl_b32 s20, s2, 3
	s_mov_b64 s[14:15], 0
	s_branch .LBB140_4
.LBB140_3:                              ;   in Loop: Header=BB140_4 Depth=1
	s_or_b32 exec_lo, exec_lo, s2
	s_add_u32 s14, s14, s17
	s_addc_u32 s15, s15, 0
	v_add_co_u32 v1, vcc_lo, v1, s18
	v_cmp_lt_i64_e64 s2, s[14:15], s[6:7]
	v_cmp_gt_u64_e64 s3, 0x10000, s[14:15]
	v_add_co_ci_u32_e32 v2, vcc_lo, 0, v2, vcc_lo
	v_add_co_u32 v3, vcc_lo, v3, s18
	v_add_co_ci_u32_e32 v4, vcc_lo, 0, v4, vcc_lo
	s_delay_alu instid0(VALU_DEP_4) | instskip(NEXT) | instid1(SALU_CYCLE_1)
	s_and_b32 s2, s2, s3
	s_and_b32 vcc_lo, exec_lo, s2
	s_cbranch_vccz .LBB140_20
.LBB140_4:                              ; =>This Inner Loop Header: Depth=1
	s_waitcnt vmcnt(0)
	v_add_co_u32 v11, s2, v0, s14
	s_delay_alu instid0(VALU_DEP_1) | instskip(NEXT) | instid1(VALU_DEP_1)
	v_add_co_ci_u32_e64 v12, null, 0, s15, s2
	v_cmp_gt_u64_e32 vcc_lo, s[12:13], v[11:12]
	v_mov_b32_e32 v11, 0
	s_and_saveexec_b32 s2, vcc_lo
	s_cbranch_execz .LBB140_6
; %bb.5:                                ;   in Loop: Header=BB140_4 Depth=1
	global_load_b32 v11, v[1:2], off
.LBB140_6:                              ;   in Loop: Header=BB140_4 Depth=1
	s_or_b32 exec_lo, exec_lo, s2
	v_add_co_u32 v12, s2, v5, s14
	s_delay_alu instid0(VALU_DEP_1) | instskip(NEXT) | instid1(VALU_DEP_1)
	v_add_co_ci_u32_e64 v13, s2, s15, v6, s2
	v_cmp_gt_u64_e64 s2, s[12:13], v[12:13]
	v_mov_b32_e32 v13, 0
	s_delay_alu instid0(VALU_DEP_2)
	s_and_saveexec_b32 s3, s2
	s_cbranch_execz .LBB140_8
; %bb.7:                                ;   in Loop: Header=BB140_4 Depth=1
	global_load_b32 v13, v[3:4], off
.LBB140_8:                              ;   in Loop: Header=BB140_4 Depth=1
	s_or_b32 exec_lo, exec_lo, s3
	v_add_co_u32 v14, s3, v9, s14
	s_delay_alu instid0(VALU_DEP_1) | instskip(SKIP_1) | instid1(VALU_DEP_2)
	v_add_co_ci_u32_e64 v15, s3, s15, v10, s3
	v_mov_b32_e32 v12, 0
	v_cmp_gt_u64_e64 s3, s[12:13], v[14:15]
	v_mov_b32_e32 v14, 0
	s_delay_alu instid0(VALU_DEP_2)
	s_and_saveexec_b32 s5, s3
	s_cbranch_execz .LBB140_10
; %bb.9:                                ;   in Loop: Header=BB140_4 Depth=1
	v_add_co_u32 v14, s4, v1, s20
	s_delay_alu instid0(VALU_DEP_1)
	v_add_co_ci_u32_e64 v15, s4, 0, v2, s4
	global_load_b32 v14, v[14:15], off
.LBB140_10:                             ;   in Loop: Header=BB140_4 Depth=1
	s_or_b32 exec_lo, exec_lo, s5
	v_add_co_u32 v15, s4, v7, s14
	s_delay_alu instid0(VALU_DEP_1) | instskip(NEXT) | instid1(VALU_DEP_1)
	v_add_co_ci_u32_e64 v16, s4, s15, v8, s4
	v_cmp_gt_u64_e64 s4, s[12:13], v[15:16]
	s_delay_alu instid0(VALU_DEP_1)
	s_and_saveexec_b32 s21, s4
	s_cbranch_execnz .LBB140_15
; %bb.11:                               ;   in Loop: Header=BB140_4 Depth=1
	s_or_b32 exec_lo, exec_lo, s21
	s_and_saveexec_b32 s5, vcc_lo
	s_cbranch_execnz .LBB140_16
.LBB140_12:                             ;   in Loop: Header=BB140_4 Depth=1
	s_or_b32 exec_lo, exec_lo, s5
	s_and_saveexec_b32 s5, s2
	s_cbranch_execnz .LBB140_17
.LBB140_13:                             ;   in Loop: Header=BB140_4 Depth=1
	s_or_b32 exec_lo, exec_lo, s5
	s_and_saveexec_b32 s2, s3
	s_cbranch_execnz .LBB140_18
.LBB140_14:                             ;   in Loop: Header=BB140_4 Depth=1
	s_or_b32 exec_lo, exec_lo, s2
	s_and_saveexec_b32 s2, s4
	s_cbranch_execz .LBB140_3
	s_branch .LBB140_19
.LBB140_15:                             ;   in Loop: Header=BB140_4 Depth=1
	v_add_co_u32 v15, s5, v1, s19
	s_delay_alu instid0(VALU_DEP_1)
	v_add_co_ci_u32_e64 v16, s5, 0, v2, s5
	global_load_b32 v12, v[15:16], off
	s_or_b32 exec_lo, exec_lo, s21
	s_and_saveexec_b32 s5, vcc_lo
	s_cbranch_execz .LBB140_12
.LBB140_16:                             ;   in Loop: Header=BB140_4 Depth=1
	s_waitcnt vmcnt(0)
	v_max_i32_e32 v11, s16, v11
	global_store_b32 v[1:2], v11, off
	s_or_b32 exec_lo, exec_lo, s5
	s_and_saveexec_b32 s5, s2
	s_cbranch_execz .LBB140_13
.LBB140_17:                             ;   in Loop: Header=BB140_4 Depth=1
	s_waitcnt vmcnt(0)
	v_max_i32_e32 v11, s16, v13
	global_store_b32 v[3:4], v11, off
	s_or_b32 exec_lo, exec_lo, s5
	s_and_saveexec_b32 s2, s3
	s_cbranch_execz .LBB140_14
.LBB140_18:                             ;   in Loop: Header=BB140_4 Depth=1
	s_waitcnt vmcnt(0)
	v_add_co_u32 v13, vcc_lo, v1, s20
	v_max_i32_e32 v11, s16, v14
	v_add_co_ci_u32_e32 v14, vcc_lo, 0, v2, vcc_lo
	global_store_b32 v[13:14], v11, off
	s_or_b32 exec_lo, exec_lo, s2
	s_and_saveexec_b32 s2, s4
	s_cbranch_execz .LBB140_3
.LBB140_19:                             ;   in Loop: Header=BB140_4 Depth=1
	s_waitcnt vmcnt(0)
	v_add_co_u32 v11, vcc_lo, v1, s19
	v_max_i32_e32 v13, s16, v12
	v_add_co_ci_u32_e32 v12, vcc_lo, 0, v2, vcc_lo
	global_store_b32 v[11:12], v13, off
	s_branch .LBB140_3
.LBB140_20:
	s_cbranch_execz .LBB140_22
	s_branch .LBB140_25
.LBB140_21:
.LBB140_22:
	v_dual_mov_b32 v2, 0 :: v_dual_lshlrev_b32 v1, 2, v0
	s_mov_b32 s2, 0
	s_mov_b32 s3, exec_lo
	s_delay_alu instid0(VALU_DEP_1)
	v_cmpx_gt_i64_e64 s[6:7], v[1:2]
	s_cbranch_execz .LBB140_25
; %bb.23:
	s_load_b32 s0, s[0:1], 0xdd4
	v_lshlrev_b32_e32 v1, 4, v0
	s_waitcnt lgkmcnt(0)
	s_and_b32 s0, s0, 0xffff
	s_delay_alu instid0(SALU_CYCLE_1) | instskip(SKIP_3) | instid1(VALU_DEP_1)
	s_lshl_b32 s3, s0, 2
	s_add_u32 s1, s8, s10
	s_addc_u32 s4, s9, s11
	v_add_co_u32 v3, s1, s1, v1
	v_add_co_ci_u32_e64 v4, null, s4, 0, s1
	v_add_lshl_u32 v1, v0, s0, 2
	s_delay_alu instid0(VALU_DEP_3) | instskip(NEXT) | instid1(VALU_DEP_3)
	v_add_co_u32 v3, vcc_lo, v3, 8
	v_add_co_ci_u32_e32 v4, vcc_lo, 0, v4, vcc_lo
	s_lshl_b32 s4, s0, 4
	.p2align	6
.LBB140_24:                             ; =>This Inner Loop Header: Depth=1
	global_load_b128 v[5:8], v[3:4], off offset:-8
	v_cmp_le_i64_e32 vcc_lo, s[6:7], v[1:2]
	v_cmp_lt_u64_e64 s0, 0xffff, v[1:2]
	v_add_co_u32 v1, s1, v1, s3
	s_delay_alu instid0(VALU_DEP_1) | instskip(NEXT) | instid1(VALU_DEP_3)
	v_add_co_ci_u32_e64 v2, s1, 0, v2, s1
	s_or_b32 s0, vcc_lo, s0
	s_delay_alu instid0(SALU_CYCLE_1) | instskip(NEXT) | instid1(SALU_CYCLE_1)
	s_and_b32 s0, exec_lo, s0
	s_or_b32 s2, s0, s2
	s_waitcnt vmcnt(0)
	v_max_i32_e32 v5, s16, v5
	v_max_i32_e32 v6, s16, v6
	;; [unrolled: 1-line block ×4, first 2 shown]
	global_store_b128 v[3:4], v[5:8], off offset:-8
	v_add_co_u32 v3, vcc_lo, v3, s4
	v_add_co_ci_u32_e32 v4, vcc_lo, 0, v4, vcc_lo
	s_and_not1_b32 exec_lo, exec_lo, s2
	s_cbranch_execnz .LBB140_24
.LBB140_25:
	s_nop 0
	s_sendmsg sendmsg(MSG_DEALLOC_VGPRS)
	s_endpgm
	.section	.rodata,"a",@progbits
	.p2align	6, 0x0
	.amdhsa_kernel _ZN2at6native12_GLOBAL__N_125multi_tensor_apply_kernelINS1_28TensorListScalarListMetadataIiLi1EEENS1_25BinaryOpScalarListFunctorIiLi1ELi1ELi0EEEJNS0_7maximumIiEEEEEvT_T0_DpT1_
		.amdhsa_group_segment_fixed_size 0
		.amdhsa_private_segment_fixed_size 0
		.amdhsa_kernarg_size 3784
		.amdhsa_user_sgpr_count 15
		.amdhsa_user_sgpr_dispatch_ptr 0
		.amdhsa_user_sgpr_queue_ptr 0
		.amdhsa_user_sgpr_kernarg_segment_ptr 1
		.amdhsa_user_sgpr_dispatch_id 0
		.amdhsa_user_sgpr_private_segment_size 0
		.amdhsa_wavefront_size32 1
		.amdhsa_uses_dynamic_stack 0
		.amdhsa_enable_private_segment 0
		.amdhsa_system_sgpr_workgroup_id_x 1
		.amdhsa_system_sgpr_workgroup_id_y 0
		.amdhsa_system_sgpr_workgroup_id_z 0
		.amdhsa_system_sgpr_workgroup_info 0
		.amdhsa_system_vgpr_workitem_id 0
		.amdhsa_next_free_vgpr 17
		.amdhsa_next_free_sgpr 22
		.amdhsa_reserve_vcc 1
		.amdhsa_float_round_mode_32 0
		.amdhsa_float_round_mode_16_64 0
		.amdhsa_float_denorm_mode_32 3
		.amdhsa_float_denorm_mode_16_64 3
		.amdhsa_dx10_clamp 1
		.amdhsa_ieee_mode 1
		.amdhsa_fp16_overflow 0
		.amdhsa_workgroup_processor_mode 1
		.amdhsa_memory_ordered 1
		.amdhsa_forward_progress 0
		.amdhsa_shared_vgpr_count 0
		.amdhsa_exception_fp_ieee_invalid_op 0
		.amdhsa_exception_fp_denorm_src 0
		.amdhsa_exception_fp_ieee_div_zero 0
		.amdhsa_exception_fp_ieee_overflow 0
		.amdhsa_exception_fp_ieee_underflow 0
		.amdhsa_exception_fp_ieee_inexact 0
		.amdhsa_exception_int_div_zero 0
	.end_amdhsa_kernel
	.section	.text._ZN2at6native12_GLOBAL__N_125multi_tensor_apply_kernelINS1_28TensorListScalarListMetadataIiLi1EEENS1_25BinaryOpScalarListFunctorIiLi1ELi1ELi0EEEJNS0_7maximumIiEEEEEvT_T0_DpT1_,"axG",@progbits,_ZN2at6native12_GLOBAL__N_125multi_tensor_apply_kernelINS1_28TensorListScalarListMetadataIiLi1EEENS1_25BinaryOpScalarListFunctorIiLi1ELi1ELi0EEEJNS0_7maximumIiEEEEEvT_T0_DpT1_,comdat
.Lfunc_end140:
	.size	_ZN2at6native12_GLOBAL__N_125multi_tensor_apply_kernelINS1_28TensorListScalarListMetadataIiLi1EEENS1_25BinaryOpScalarListFunctorIiLi1ELi1ELi0EEEJNS0_7maximumIiEEEEEvT_T0_DpT1_, .Lfunc_end140-_ZN2at6native12_GLOBAL__N_125multi_tensor_apply_kernelINS1_28TensorListScalarListMetadataIiLi1EEENS1_25BinaryOpScalarListFunctorIiLi1ELi1ELi0EEEJNS0_7maximumIiEEEEEvT_T0_DpT1_
                                        ; -- End function
	.section	.AMDGPU.csdata,"",@progbits
; Kernel info:
; codeLenInByte = 1152
; NumSgprs: 24
; NumVgprs: 17
; ScratchSize: 0
; MemoryBound: 0
; FloatMode: 240
; IeeeMode: 1
; LDSByteSize: 0 bytes/workgroup (compile time only)
; SGPRBlocks: 2
; VGPRBlocks: 2
; NumSGPRsForWavesPerEU: 24
; NumVGPRsForWavesPerEU: 17
; Occupancy: 16
; WaveLimiterHint : 0
; COMPUTE_PGM_RSRC2:SCRATCH_EN: 0
; COMPUTE_PGM_RSRC2:USER_SGPR: 15
; COMPUTE_PGM_RSRC2:TRAP_HANDLER: 0
; COMPUTE_PGM_RSRC2:TGID_X_EN: 1
; COMPUTE_PGM_RSRC2:TGID_Y_EN: 0
; COMPUTE_PGM_RSRC2:TGID_Z_EN: 0
; COMPUTE_PGM_RSRC2:TIDIG_COMP_CNT: 0
	.section	.text._ZN2at6native12_GLOBAL__N_125multi_tensor_apply_kernelINS1_28TensorListScalarListMetadataIlLi1EEENS1_25BinaryOpScalarListFunctorIlLi1ELi1ELi0EEEJNS0_7maximumIlEEEEEvT_T0_DpT1_,"axG",@progbits,_ZN2at6native12_GLOBAL__N_125multi_tensor_apply_kernelINS1_28TensorListScalarListMetadataIlLi1EEENS1_25BinaryOpScalarListFunctorIlLi1ELi1ELi0EEEJNS0_7maximumIlEEEEEvT_T0_DpT1_,comdat
	.globl	_ZN2at6native12_GLOBAL__N_125multi_tensor_apply_kernelINS1_28TensorListScalarListMetadataIlLi1EEENS1_25BinaryOpScalarListFunctorIlLi1ELi1ELi0EEEJNS0_7maximumIlEEEEEvT_T0_DpT1_ ; -- Begin function _ZN2at6native12_GLOBAL__N_125multi_tensor_apply_kernelINS1_28TensorListScalarListMetadataIlLi1EEENS1_25BinaryOpScalarListFunctorIlLi1ELi1ELi0EEEJNS0_7maximumIlEEEEEvT_T0_DpT1_
	.p2align	8
	.type	_ZN2at6native12_GLOBAL__N_125multi_tensor_apply_kernelINS1_28TensorListScalarListMetadataIlLi1EEENS1_25BinaryOpScalarListFunctorIlLi1ELi1ELi0EEEJNS0_7maximumIlEEEEEvT_T0_DpT1_,@function
_ZN2at6native12_GLOBAL__N_125multi_tensor_apply_kernelINS1_28TensorListScalarListMetadataIlLi1EEENS1_25BinaryOpScalarListFunctorIlLi1ELi1ELi0EEEJNS0_7maximumIlEEEEEvT_T0_DpT1_: ; @_ZN2at6native12_GLOBAL__N_125multi_tensor_apply_kernelINS1_28TensorListScalarListMetadataIlLi1EEENS1_25BinaryOpScalarListFunctorIlLi1ELi1ELi0EEEJNS0_7maximumIlEEEEEvT_T0_DpT1_
; %bb.0:
	v_mov_b32_e32 v1, s15
	s_add_u32 s2, s0, s15
	s_mul_hi_u32 s3, s15, 3
	s_mul_i32 s15, s15, 3
	s_addc_u32 s4, s1, 0
	global_load_u8 v1, v1, s[0:1] offset:2304
	s_add_u32 s2, s2, s15
	s_addc_u32 s3, s4, s3
	s_mov_b32 s15, 0
	s_load_b32 s2, s[2:3], 0xa40
	s_waitcnt vmcnt(0)
	v_readfirstlane_b32 s5, v1
	s_delay_alu instid0(VALU_DEP_1)
	s_lshl_b32 s3, s5, 3
	s_clause 0x2
	s_load_b64 s[6:7], s[0:1], s3 offset:0x600
	s_load_b64 s[10:11], s[0:1], s3 offset:0x0
	;; [unrolled: 1-line block ×3, first 2 shown]
	s_waitcnt lgkmcnt(0)
	s_ashr_i32 s3, s2, 31
	s_delay_alu instid0(SALU_CYCLE_1)
	s_lshl_b64 s[12:13], s[2:3], 19
	s_lshl_b64 s[2:3], s[2:3], 16
	s_and_b32 s14, s10, 31
	s_sub_u32 s8, s4, s2
	s_subb_u32 s9, s5, s3
	s_and_b32 s2, s4, 3
	s_mov_b32 s3, s15
	s_delay_alu instid0(SALU_CYCLE_1) | instskip(NEXT) | instid1(SALU_CYCLE_1)
	s_or_b64 s[2:3], s[14:15], s[2:3]
	s_cmp_eq_u64 s[2:3], 0
	s_cbranch_scc1 .LBB141_21
; %bb.1:
	v_cmp_lt_i64_e64 s2, s[8:9], 1
	s_delay_alu instid0(VALU_DEP_1)
	s_and_b32 vcc_lo, exec_lo, s2
	s_cbranch_vccnz .LBB141_20
; %bb.2:
	s_load_b32 s2, s[0:1], 0xf54
	v_cmp_gt_u64_e64 s3, 0x10000, s[8:9]
	v_lshlrev_b32_e32 v1, 3, v0
	s_waitcnt lgkmcnt(0)
	s_and_b32 s2, s2, 0xffff
	s_delay_alu instid0(VALU_DEP_2)
	s_and_b32 s3, s3, exec_lo
	v_add_co_u32 v13, s5, v0, s2
	s_cselect_b32 s15, s9, 0
	s_cselect_b32 s14, s8, 0x10000
	s_lshl_b32 s3, s2, 1
	s_lshl_b32 s18, s2, 2
	v_lshlrev_b32_e32 v3, 3, v13
	v_add_co_ci_u32_e64 v14, null, 0, 0, s5
	s_add_u32 s5, s10, s12
	v_add_co_u32 v17, s3, s3, v0
	s_mul_i32 s4, s2, 3
	s_addc_u32 s16, s11, s13
	v_add_co_ci_u32_e64 v18, null, 0, 0, s3
	v_add_co_u32 v1, s3, s5, v1
	v_add_co_u32 v15, s4, s4, v0
	v_add_co_ci_u32_e64 v2, null, s16, 0, s3
	v_add_co_u32 v3, s3, s5, v3
	v_add_co_ci_u32_e64 v16, null, 0, 0, s4
	v_add_co_ci_u32_e64 v4, null, s16, 0, s3
	s_lshl_b32 s19, s2, 5
	s_mul_i32 s20, s2, 24
	s_lshl_b32 s21, s2, 4
	s_mov_b64 s[16:17], 0
	s_branch .LBB141_4
.LBB141_3:                              ;   in Loop: Header=BB141_4 Depth=1
	s_or_b32 exec_lo, exec_lo, s2
	s_add_u32 s16, s16, s18
	s_addc_u32 s17, s17, 0
	v_add_co_u32 v1, vcc_lo, v1, s19
	v_cmp_lt_i64_e64 s2, s[16:17], s[8:9]
	v_cmp_gt_u64_e64 s3, 0x10000, s[16:17]
	v_add_co_ci_u32_e32 v2, vcc_lo, 0, v2, vcc_lo
	v_add_co_u32 v3, vcc_lo, v3, s19
	v_add_co_ci_u32_e32 v4, vcc_lo, 0, v4, vcc_lo
	s_delay_alu instid0(VALU_DEP_4) | instskip(NEXT) | instid1(SALU_CYCLE_1)
	s_and_b32 s2, s2, s3
	s_and_b32 vcc_lo, exec_lo, s2
	s_cbranch_vccz .LBB141_20
.LBB141_4:                              ; =>This Inner Loop Header: Depth=1
	s_waitcnt vmcnt(0)
	v_add_co_u32 v7, s2, v0, s16
	s_delay_alu instid0(VALU_DEP_1) | instskip(SKIP_2) | instid1(VALU_DEP_3)
	v_add_co_ci_u32_e64 v8, null, 0, s17, s2
	v_mov_b32_e32 v5, 0
	v_mov_b32_e32 v6, 0
	v_cmp_gt_u64_e32 vcc_lo, s[14:15], v[7:8]
	s_delay_alu instid0(VALU_DEP_2)
	v_dual_mov_b32 v10, v6 :: v_dual_mov_b32 v9, v5
	s_and_saveexec_b32 s2, vcc_lo
	s_cbranch_execz .LBB141_6
; %bb.5:                                ;   in Loop: Header=BB141_4 Depth=1
	global_load_b64 v[9:10], v[1:2], off
.LBB141_6:                              ;   in Loop: Header=BB141_4 Depth=1
	s_or_b32 exec_lo, exec_lo, s2
	v_add_co_u32 v7, s2, v13, s16
	s_delay_alu instid0(VALU_DEP_1) | instskip(NEXT) | instid1(VALU_DEP_1)
	v_add_co_ci_u32_e64 v8, s2, s17, v14, s2
	v_cmp_gt_u64_e64 s2, s[14:15], v[7:8]
	s_delay_alu instid0(VALU_DEP_1)
	s_and_saveexec_b32 s3, s2
	s_cbranch_execz .LBB141_8
; %bb.7:                                ;   in Loop: Header=BB141_4 Depth=1
	global_load_b64 v[5:6], v[3:4], off
.LBB141_8:                              ;   in Loop: Header=BB141_4 Depth=1
	s_or_b32 exec_lo, exec_lo, s3
	v_add_co_u32 v11, s3, v17, s16
	s_delay_alu instid0(VALU_DEP_1) | instskip(SKIP_2) | instid1(VALU_DEP_3)
	v_add_co_ci_u32_e64 v12, s3, s17, v18, s3
	v_mov_b32_e32 v7, 0
	v_mov_b32_e32 v8, 0
	v_cmp_gt_u64_e64 s3, s[14:15], v[11:12]
	s_delay_alu instid0(VALU_DEP_2) | instskip(NEXT) | instid1(VALU_DEP_2)
	v_dual_mov_b32 v12, v8 :: v_dual_mov_b32 v11, v7
	s_and_saveexec_b32 s5, s3
	s_cbranch_execz .LBB141_10
; %bb.9:                                ;   in Loop: Header=BB141_4 Depth=1
	v_add_co_u32 v11, s4, v1, s21
	s_delay_alu instid0(VALU_DEP_1)
	v_add_co_ci_u32_e64 v12, s4, 0, v2, s4
	global_load_b64 v[11:12], v[11:12], off
.LBB141_10:                             ;   in Loop: Header=BB141_4 Depth=1
	s_or_b32 exec_lo, exec_lo, s5
	v_add_co_u32 v19, s4, v15, s16
	s_delay_alu instid0(VALU_DEP_1) | instskip(NEXT) | instid1(VALU_DEP_1)
	v_add_co_ci_u32_e64 v20, s4, s17, v16, s4
	v_cmp_gt_u64_e64 s4, s[14:15], v[19:20]
	s_delay_alu instid0(VALU_DEP_1)
	s_and_saveexec_b32 s22, s4
	s_cbranch_execnz .LBB141_15
; %bb.11:                               ;   in Loop: Header=BB141_4 Depth=1
	s_or_b32 exec_lo, exec_lo, s22
	s_and_saveexec_b32 s5, vcc_lo
	s_cbranch_execnz .LBB141_16
.LBB141_12:                             ;   in Loop: Header=BB141_4 Depth=1
	s_or_b32 exec_lo, exec_lo, s5
	s_and_saveexec_b32 s5, s2
	s_cbranch_execnz .LBB141_17
.LBB141_13:                             ;   in Loop: Header=BB141_4 Depth=1
	s_or_b32 exec_lo, exec_lo, s5
	s_and_saveexec_b32 s2, s3
	s_cbranch_execnz .LBB141_18
.LBB141_14:                             ;   in Loop: Header=BB141_4 Depth=1
	s_or_b32 exec_lo, exec_lo, s2
	s_and_saveexec_b32 s2, s4
	s_cbranch_execz .LBB141_3
	s_branch .LBB141_19
.LBB141_15:                             ;   in Loop: Header=BB141_4 Depth=1
	v_add_co_u32 v7, s5, v1, s20
	s_delay_alu instid0(VALU_DEP_1)
	v_add_co_ci_u32_e64 v8, s5, 0, v2, s5
	global_load_b64 v[7:8], v[7:8], off
	s_or_b32 exec_lo, exec_lo, s22
	s_and_saveexec_b32 s5, vcc_lo
	s_cbranch_execz .LBB141_12
.LBB141_16:                             ;   in Loop: Header=BB141_4 Depth=1
	s_waitcnt vmcnt(0)
	v_cmp_lt_i64_e32 vcc_lo, s[6:7], v[9:10]
	v_cndmask_b32_e32 v10, s7, v10, vcc_lo
	v_cndmask_b32_e32 v9, s6, v9, vcc_lo
	global_store_b64 v[1:2], v[9:10], off
	s_or_b32 exec_lo, exec_lo, s5
	s_and_saveexec_b32 s5, s2
	s_cbranch_execz .LBB141_13
.LBB141_17:                             ;   in Loop: Header=BB141_4 Depth=1
	s_waitcnt vmcnt(0)
	v_cmp_lt_i64_e32 vcc_lo, s[6:7], v[5:6]
	v_cndmask_b32_e32 v6, s7, v6, vcc_lo
	v_cndmask_b32_e32 v5, s6, v5, vcc_lo
	global_store_b64 v[3:4], v[5:6], off
	s_or_b32 exec_lo, exec_lo, s5
	s_and_saveexec_b32 s2, s3
	s_cbranch_execz .LBB141_14
.LBB141_18:                             ;   in Loop: Header=BB141_4 Depth=1
	s_waitcnt vmcnt(0)
	v_cmp_lt_i64_e32 vcc_lo, s[6:7], v[11:12]
	v_cndmask_b32_e32 v6, s7, v12, vcc_lo
	v_cndmask_b32_e32 v5, s6, v11, vcc_lo
	v_add_co_u32 v9, vcc_lo, v1, s21
	v_add_co_ci_u32_e32 v10, vcc_lo, 0, v2, vcc_lo
	global_store_b64 v[9:10], v[5:6], off
	s_or_b32 exec_lo, exec_lo, s2
	s_and_saveexec_b32 s2, s4
	s_cbranch_execz .LBB141_3
.LBB141_19:                             ;   in Loop: Header=BB141_4 Depth=1
	s_waitcnt vmcnt(0)
	v_cmp_lt_i64_e32 vcc_lo, s[6:7], v[7:8]
	v_cndmask_b32_e32 v6, s7, v8, vcc_lo
	v_cndmask_b32_e32 v5, s6, v7, vcc_lo
	v_add_co_u32 v7, vcc_lo, v1, s20
	v_add_co_ci_u32_e32 v8, vcc_lo, 0, v2, vcc_lo
	global_store_b64 v[7:8], v[5:6], off
	s_branch .LBB141_3
.LBB141_20:
	s_cbranch_execz .LBB141_22
	s_branch .LBB141_25
.LBB141_21:
.LBB141_22:
	v_dual_mov_b32 v2, 0 :: v_dual_lshlrev_b32 v1, 2, v0
	s_mov_b32 s5, 0
	s_mov_b32 s2, exec_lo
	s_delay_alu instid0(VALU_DEP_1)
	v_cmpx_gt_i64_e64 s[8:9], v[1:2]
	s_cbranch_execz .LBB141_25
; %bb.23:
	s_load_b32 s0, s[0:1], 0xf54
	v_lshlrev_b32_e32 v1, 5, v0
	s_waitcnt lgkmcnt(0)
	s_and_b32 s0, s0, 0xffff
	s_delay_alu instid0(SALU_CYCLE_1) | instskip(SKIP_3) | instid1(VALU_DEP_1)
	s_lshl_b32 s14, s0, 2
	s_add_u32 s1, s10, s12
	s_addc_u32 s2, s11, s13
	v_add_co_u32 v3, s1, s1, v1
	v_add_co_ci_u32_e64 v4, null, s2, 0, s1
	v_add_lshl_u32 v1, v0, s0, 2
	s_delay_alu instid0(VALU_DEP_3) | instskip(NEXT) | instid1(VALU_DEP_3)
	v_add_co_u32 v3, vcc_lo, v3, 16
	v_add_co_ci_u32_e32 v4, vcc_lo, 0, v4, vcc_lo
	s_lshl_b32 s10, s0, 5
	s_set_inst_prefetch_distance 0x1
	.p2align	6
.LBB141_24:                             ; =>This Inner Loop Header: Depth=1
	s_clause 0x1
	global_load_b128 v[5:8], v[3:4], off offset:-16
	global_load_b128 v[9:12], v[3:4], off
	v_cmp_le_i64_e32 vcc_lo, s[8:9], v[1:2]
	v_cmp_lt_u64_e64 s0, 0xffff, v[1:2]
	s_delay_alu instid0(VALU_DEP_1) | instskip(NEXT) | instid1(SALU_CYCLE_1)
	s_or_b32 s0, vcc_lo, s0
	s_and_b32 s0, exec_lo, s0
	s_delay_alu instid0(SALU_CYCLE_1)
	s_or_b32 s5, s0, s5
	s_waitcnt vmcnt(1)
	v_cmp_lt_i64_e64 s1, s[6:7], v[5:6]
	v_cmp_lt_i64_e64 s2, s[6:7], v[7:8]
	s_waitcnt vmcnt(0)
	v_cmp_lt_i64_e64 s3, s[6:7], v[9:10]
	v_cmp_lt_i64_e64 s4, s[6:7], v[11:12]
	s_delay_alu instid0(VALU_DEP_4) | instskip(NEXT) | instid1(VALU_DEP_4)
	v_cndmask_b32_e64 v6, s7, v6, s1
	v_cndmask_b32_e64 v8, s7, v8, s2
	;; [unrolled: 1-line block ×8, first 2 shown]
	v_add_co_u32 v1, s1, v1, s14
	s_clause 0x1
	global_store_b128 v[3:4], v[5:8], off offset:-16
	global_store_b128 v[3:4], v[9:12], off
	v_add_co_u32 v3, vcc_lo, v3, s10
	v_add_co_ci_u32_e64 v2, s1, 0, v2, s1
	v_add_co_ci_u32_e32 v4, vcc_lo, 0, v4, vcc_lo
	s_and_not1_b32 exec_lo, exec_lo, s5
	s_cbranch_execnz .LBB141_24
.LBB141_25:
	s_set_inst_prefetch_distance 0x2
	s_nop 0
	s_sendmsg sendmsg(MSG_DEALLOC_VGPRS)
	s_endpgm
	.section	.rodata,"a",@progbits
	.p2align	6, 0x0
	.amdhsa_kernel _ZN2at6native12_GLOBAL__N_125multi_tensor_apply_kernelINS1_28TensorListScalarListMetadataIlLi1EEENS1_25BinaryOpScalarListFunctorIlLi1ELi1ELi0EEEJNS0_7maximumIlEEEEEvT_T0_DpT1_
		.amdhsa_group_segment_fixed_size 0
		.amdhsa_private_segment_fixed_size 0
		.amdhsa_kernarg_size 4168
		.amdhsa_user_sgpr_count 15
		.amdhsa_user_sgpr_dispatch_ptr 0
		.amdhsa_user_sgpr_queue_ptr 0
		.amdhsa_user_sgpr_kernarg_segment_ptr 1
		.amdhsa_user_sgpr_dispatch_id 0
		.amdhsa_user_sgpr_private_segment_size 0
		.amdhsa_wavefront_size32 1
		.amdhsa_uses_dynamic_stack 0
		.amdhsa_enable_private_segment 0
		.amdhsa_system_sgpr_workgroup_id_x 1
		.amdhsa_system_sgpr_workgroup_id_y 0
		.amdhsa_system_sgpr_workgroup_id_z 0
		.amdhsa_system_sgpr_workgroup_info 0
		.amdhsa_system_vgpr_workitem_id 0
		.amdhsa_next_free_vgpr 21
		.amdhsa_next_free_sgpr 23
		.amdhsa_reserve_vcc 1
		.amdhsa_float_round_mode_32 0
		.amdhsa_float_round_mode_16_64 0
		.amdhsa_float_denorm_mode_32 3
		.amdhsa_float_denorm_mode_16_64 3
		.amdhsa_dx10_clamp 1
		.amdhsa_ieee_mode 1
		.amdhsa_fp16_overflow 0
		.amdhsa_workgroup_processor_mode 1
		.amdhsa_memory_ordered 1
		.amdhsa_forward_progress 0
		.amdhsa_shared_vgpr_count 0
		.amdhsa_exception_fp_ieee_invalid_op 0
		.amdhsa_exception_fp_denorm_src 0
		.amdhsa_exception_fp_ieee_div_zero 0
		.amdhsa_exception_fp_ieee_overflow 0
		.amdhsa_exception_fp_ieee_underflow 0
		.amdhsa_exception_fp_ieee_inexact 0
		.amdhsa_exception_int_div_zero 0
	.end_amdhsa_kernel
	.section	.text._ZN2at6native12_GLOBAL__N_125multi_tensor_apply_kernelINS1_28TensorListScalarListMetadataIlLi1EEENS1_25BinaryOpScalarListFunctorIlLi1ELi1ELi0EEEJNS0_7maximumIlEEEEEvT_T0_DpT1_,"axG",@progbits,_ZN2at6native12_GLOBAL__N_125multi_tensor_apply_kernelINS1_28TensorListScalarListMetadataIlLi1EEENS1_25BinaryOpScalarListFunctorIlLi1ELi1ELi0EEEJNS0_7maximumIlEEEEEvT_T0_DpT1_,comdat
.Lfunc_end141:
	.size	_ZN2at6native12_GLOBAL__N_125multi_tensor_apply_kernelINS1_28TensorListScalarListMetadataIlLi1EEENS1_25BinaryOpScalarListFunctorIlLi1ELi1ELi0EEEJNS0_7maximumIlEEEEEvT_T0_DpT1_, .Lfunc_end141-_ZN2at6native12_GLOBAL__N_125multi_tensor_apply_kernelINS1_28TensorListScalarListMetadataIlLi1EEENS1_25BinaryOpScalarListFunctorIlLi1ELi1ELi0EEEJNS0_7maximumIlEEEEEvT_T0_DpT1_
                                        ; -- End function
	.section	.AMDGPU.csdata,"",@progbits
; Kernel info:
; codeLenInByte = 1284
; NumSgprs: 25
; NumVgprs: 21
; ScratchSize: 0
; MemoryBound: 0
; FloatMode: 240
; IeeeMode: 1
; LDSByteSize: 0 bytes/workgroup (compile time only)
; SGPRBlocks: 3
; VGPRBlocks: 2
; NumSGPRsForWavesPerEU: 25
; NumVGPRsForWavesPerEU: 21
; Occupancy: 16
; WaveLimiterHint : 1
; COMPUTE_PGM_RSRC2:SCRATCH_EN: 0
; COMPUTE_PGM_RSRC2:USER_SGPR: 15
; COMPUTE_PGM_RSRC2:TRAP_HANDLER: 0
; COMPUTE_PGM_RSRC2:TGID_X_EN: 1
; COMPUTE_PGM_RSRC2:TGID_Y_EN: 0
; COMPUTE_PGM_RSRC2:TGID_Z_EN: 0
; COMPUTE_PGM_RSRC2:TIDIG_COMP_CNT: 0
	.section	.text._ZN2at6native12_GLOBAL__N_125multi_tensor_apply_kernelINS1_28TensorListScalarListMetadataIsLi1EEENS1_25BinaryOpScalarListFunctorIsLi1ELi1ELi0EEEJNS0_7maximumIsEEEEEvT_T0_DpT1_,"axG",@progbits,_ZN2at6native12_GLOBAL__N_125multi_tensor_apply_kernelINS1_28TensorListScalarListMetadataIsLi1EEENS1_25BinaryOpScalarListFunctorIsLi1ELi1ELi0EEEJNS0_7maximumIsEEEEEvT_T0_DpT1_,comdat
	.globl	_ZN2at6native12_GLOBAL__N_125multi_tensor_apply_kernelINS1_28TensorListScalarListMetadataIsLi1EEENS1_25BinaryOpScalarListFunctorIsLi1ELi1ELi0EEEJNS0_7maximumIsEEEEEvT_T0_DpT1_ ; -- Begin function _ZN2at6native12_GLOBAL__N_125multi_tensor_apply_kernelINS1_28TensorListScalarListMetadataIsLi1EEENS1_25BinaryOpScalarListFunctorIsLi1ELi1ELi0EEEJNS0_7maximumIsEEEEEvT_T0_DpT1_
	.p2align	8
	.type	_ZN2at6native12_GLOBAL__N_125multi_tensor_apply_kernelINS1_28TensorListScalarListMetadataIsLi1EEENS1_25BinaryOpScalarListFunctorIsLi1ELi1ELi0EEEJNS0_7maximumIsEEEEEvT_T0_DpT1_,@function
_ZN2at6native12_GLOBAL__N_125multi_tensor_apply_kernelINS1_28TensorListScalarListMetadataIsLi1EEENS1_25BinaryOpScalarListFunctorIsLi1ELi1ELi0EEEJNS0_7maximumIsEEEEEvT_T0_DpT1_: ; @_ZN2at6native12_GLOBAL__N_125multi_tensor_apply_kernelINS1_28TensorListScalarListMetadataIsLi1EEENS1_25BinaryOpScalarListFunctorIsLi1ELi1ELi0EEEJNS0_7maximumIsEEEEEvT_T0_DpT1_
; %bb.0:
	v_mov_b32_e32 v1, s15
	s_add_u32 s2, s0, s15
	s_mul_i32 s3, s15, 3
	s_mul_hi_u32 s4, s15, 3
	s_addc_u32 s5, s1, 0
	global_load_u8 v1, v1, s[0:1] offset:1728
	s_add_u32 s2, s2, s3
	s_addc_u32 s3, s5, s4
	s_load_b32 s2, s[2:3], 0x800
	s_waitcnt vmcnt(0)
	v_readfirstlane_b32 s3, v1
	v_mul_lo_u32 v2, v1, -6
	v_mul_hi_i32 v3, v1, -6
	s_delay_alu instid0(VALU_DEP_3) | instskip(SKIP_4) | instid1(VALU_DEP_2)
	s_lshl_b32 s6, s3, 3
	s_waitcnt lgkmcnt(0)
	s_ashr_i32 s3, s2, 31
	s_add_u32 s7, s0, s6
	s_addc_u32 s8, s1, 0
	v_add_co_u32 v1, vcc_lo, s7, v2
	s_delay_alu instid0(VALU_DEP_2)
	v_add_co_ci_u32_e32 v2, vcc_lo, s8, v3, vcc_lo
	s_load_b64 s[4:5], s[0:1], s6 offset:0x300
	s_lshl_b64 s[10:11], s[2:3], 17
	s_lshl_b64 s[2:3], s[2:3], 16
	global_load_u16 v5, v[1:2], off offset:1536
	s_load_b64 s[8:9], s[0:1], s6 offset:0x0
	s_waitcnt lgkmcnt(0)
	s_and_b32 s12, s8, 7
	s_sub_u32 s6, s4, s2
	s_subb_u32 s7, s5, s3
	s_and_b32 s2, s4, 3
	s_mov_b32 s3, 0
	s_or_b32 s2, s12, s2
	s_delay_alu instid0(SALU_CYCLE_1)
	s_cmp_eq_u64 s[2:3], 0
	s_cbranch_scc1 .LBB142_21
; %bb.1:
	v_cmp_lt_i64_e64 s2, s[6:7], 1
	s_delay_alu instid0(VALU_DEP_1)
	s_and_b32 vcc_lo, exec_lo, s2
	s_cbranch_vccnz .LBB142_20
; %bb.2:
	s_load_b32 s2, s[0:1], 0xd14
	v_cmp_gt_u64_e64 s3, 0x10000, s[6:7]
	v_lshlrev_b32_e32 v1, 1, v0
	s_waitcnt lgkmcnt(0)
	s_and_b32 s2, s2, 0xffff
	s_delay_alu instid0(VALU_DEP_2)
	s_and_b32 s3, s3, exec_lo
	v_add_co_u32 v6, s5, v0, s2
	s_cselect_b32 s13, s7, 0
	s_cselect_b32 s12, s6, 0x10000
	s_lshl_b32 s3, s2, 1
	s_lshl_b32 s16, s2, 2
	v_lshlrev_b32_e32 v3, 1, v6
	v_add_co_ci_u32_e64 v7, null, 0, 0, s5
	s_add_u32 s5, s8, s10
	v_add_co_u32 v10, s3, s3, v0
	s_mul_i32 s4, s2, 3
	s_addc_u32 s14, s9, s11
	v_add_co_ci_u32_e64 v11, null, 0, 0, s3
	v_add_co_u32 v1, s3, s5, v1
	v_add_co_u32 v8, s4, s4, v0
	v_add_co_ci_u32_e64 v2, null, s14, 0, s3
	v_add_co_u32 v3, s3, s5, v3
	v_add_co_ci_u32_e64 v9, null, 0, 0, s4
	v_add_co_ci_u32_e64 v4, null, s14, 0, s3
	s_lshl_b32 s17, s2, 3
	s_mul_i32 s18, s2, 6
	s_mov_b64 s[14:15], 0
	s_branch .LBB142_4
.LBB142_3:                              ;   in Loop: Header=BB142_4 Depth=1
	s_or_b32 exec_lo, exec_lo, s2
	s_add_u32 s14, s14, s16
	s_addc_u32 s15, s15, 0
	v_add_co_u32 v1, vcc_lo, v1, s17
	v_cmp_lt_i64_e64 s2, s[14:15], s[6:7]
	v_cmp_gt_u64_e64 s3, 0x10000, s[14:15]
	v_add_co_ci_u32_e32 v2, vcc_lo, 0, v2, vcc_lo
	v_add_co_u32 v3, vcc_lo, v3, s17
	v_add_co_ci_u32_e32 v4, vcc_lo, 0, v4, vcc_lo
	s_delay_alu instid0(VALU_DEP_4) | instskip(NEXT) | instid1(SALU_CYCLE_1)
	s_and_b32 s2, s2, s3
	s_and_b32 vcc_lo, exec_lo, s2
	s_cbranch_vccz .LBB142_20
.LBB142_4:                              ; =>This Inner Loop Header: Depth=1
	s_waitcnt vmcnt(0)
	v_add_co_u32 v12, s2, v0, s14
	s_delay_alu instid0(VALU_DEP_1) | instskip(NEXT) | instid1(VALU_DEP_1)
	v_add_co_ci_u32_e64 v13, null, 0, s15, s2
	v_cmp_gt_u64_e32 vcc_lo, s[12:13], v[12:13]
	v_mov_b32_e32 v12, 0
	s_and_saveexec_b32 s2, vcc_lo
	s_cbranch_execz .LBB142_6
; %bb.5:                                ;   in Loop: Header=BB142_4 Depth=1
	global_load_u16 v12, v[1:2], off
.LBB142_6:                              ;   in Loop: Header=BB142_4 Depth=1
	s_or_b32 exec_lo, exec_lo, s2
	v_add_co_u32 v13, s2, v6, s14
	s_delay_alu instid0(VALU_DEP_1) | instskip(NEXT) | instid1(VALU_DEP_1)
	v_add_co_ci_u32_e64 v14, s2, s15, v7, s2
	v_cmp_gt_u64_e64 s2, s[12:13], v[13:14]
	v_mov_b32_e32 v14, 0
	s_delay_alu instid0(VALU_DEP_2)
	s_and_saveexec_b32 s3, s2
	s_cbranch_execz .LBB142_8
; %bb.7:                                ;   in Loop: Header=BB142_4 Depth=1
	global_load_u16 v14, v[3:4], off
.LBB142_8:                              ;   in Loop: Header=BB142_4 Depth=1
	s_or_b32 exec_lo, exec_lo, s3
	v_add_co_u32 v15, s3, v10, s14
	s_delay_alu instid0(VALU_DEP_1) | instskip(SKIP_1) | instid1(VALU_DEP_2)
	v_add_co_ci_u32_e64 v16, s3, s15, v11, s3
	v_mov_b32_e32 v13, 0
	v_cmp_gt_u64_e64 s3, s[12:13], v[15:16]
	v_mov_b32_e32 v15, 0
	s_delay_alu instid0(VALU_DEP_2)
	s_and_saveexec_b32 s5, s3
	s_cbranch_execz .LBB142_10
; %bb.9:                                ;   in Loop: Header=BB142_4 Depth=1
	v_add_co_u32 v15, s4, v1, s16
	s_delay_alu instid0(VALU_DEP_1)
	v_add_co_ci_u32_e64 v16, s4, 0, v2, s4
	global_load_u16 v15, v[15:16], off
.LBB142_10:                             ;   in Loop: Header=BB142_4 Depth=1
	s_or_b32 exec_lo, exec_lo, s5
	v_add_co_u32 v16, s4, v8, s14
	s_delay_alu instid0(VALU_DEP_1) | instskip(NEXT) | instid1(VALU_DEP_1)
	v_add_co_ci_u32_e64 v17, s4, s15, v9, s4
	v_cmp_gt_u64_e64 s4, s[12:13], v[16:17]
	s_delay_alu instid0(VALU_DEP_1)
	s_and_saveexec_b32 s19, s4
	s_cbranch_execnz .LBB142_15
; %bb.11:                               ;   in Loop: Header=BB142_4 Depth=1
	s_or_b32 exec_lo, exec_lo, s19
	s_and_saveexec_b32 s5, vcc_lo
	s_cbranch_execnz .LBB142_16
.LBB142_12:                             ;   in Loop: Header=BB142_4 Depth=1
	s_or_b32 exec_lo, exec_lo, s5
	s_and_saveexec_b32 s5, s2
	s_cbranch_execnz .LBB142_17
.LBB142_13:                             ;   in Loop: Header=BB142_4 Depth=1
	s_or_b32 exec_lo, exec_lo, s5
	s_and_saveexec_b32 s2, s3
	s_cbranch_execnz .LBB142_18
.LBB142_14:                             ;   in Loop: Header=BB142_4 Depth=1
	s_or_b32 exec_lo, exec_lo, s2
	s_and_saveexec_b32 s2, s4
	s_cbranch_execz .LBB142_3
	s_branch .LBB142_19
.LBB142_15:                             ;   in Loop: Header=BB142_4 Depth=1
	v_add_co_u32 v16, s5, v1, s18
	s_delay_alu instid0(VALU_DEP_1)
	v_add_co_ci_u32_e64 v17, s5, 0, v2, s5
	global_load_u16 v13, v[16:17], off
	s_or_b32 exec_lo, exec_lo, s19
	s_and_saveexec_b32 s5, vcc_lo
	s_cbranch_execz .LBB142_12
.LBB142_16:                             ;   in Loop: Header=BB142_4 Depth=1
	s_waitcnt vmcnt(0)
	v_max_i16 v12, v12, v5
	global_store_b16 v[1:2], v12, off
	s_or_b32 exec_lo, exec_lo, s5
	s_and_saveexec_b32 s5, s2
	s_cbranch_execz .LBB142_13
.LBB142_17:                             ;   in Loop: Header=BB142_4 Depth=1
	s_waitcnt vmcnt(0)
	v_max_i16 v12, v14, v5
	global_store_b16 v[3:4], v12, off
	s_or_b32 exec_lo, exec_lo, s5
	s_and_saveexec_b32 s2, s3
	s_cbranch_execz .LBB142_14
.LBB142_18:                             ;   in Loop: Header=BB142_4 Depth=1
	s_waitcnt vmcnt(0)
	v_add_co_u32 v14, vcc_lo, v1, s16
	v_max_i16 v12, v15, v5
	v_add_co_ci_u32_e32 v15, vcc_lo, 0, v2, vcc_lo
	global_store_b16 v[14:15], v12, off
	s_or_b32 exec_lo, exec_lo, s2
	s_and_saveexec_b32 s2, s4
	s_cbranch_execz .LBB142_3
.LBB142_19:                             ;   in Loop: Header=BB142_4 Depth=1
	s_waitcnt vmcnt(0)
	v_add_co_u32 v12, vcc_lo, v1, s18
	v_max_i16 v14, v13, v5
	v_add_co_ci_u32_e32 v13, vcc_lo, 0, v2, vcc_lo
	global_store_b16 v[12:13], v14, off
	s_branch .LBB142_3
.LBB142_20:
	s_cbranch_execz .LBB142_22
	s_branch .LBB142_25
.LBB142_21:
.LBB142_22:
	v_dual_mov_b32 v2, 0 :: v_dual_lshlrev_b32 v1, 2, v0
	s_mov_b32 s2, 0
	s_mov_b32 s3, exec_lo
	s_delay_alu instid0(VALU_DEP_1)
	v_cmpx_gt_i64_e64 s[6:7], v[1:2]
	s_cbranch_execz .LBB142_25
; %bb.23:
	s_load_b32 s0, s[0:1], 0xd14
	v_lshlrev_b32_e32 v1, 3, v0
	s_waitcnt lgkmcnt(0)
	s_and_b32 s0, s0, 0xffff
	s_add_u32 s1, s8, s10
	s_addc_u32 s3, s9, s11
	v_add_co_u32 v3, s1, s1, v1
	s_delay_alu instid0(VALU_DEP_1)
	v_add_co_ci_u32_e64 v4, null, s3, 0, s1
	v_add_lshl_u32 v1, v0, s0, 2
	s_lshl_b32 s3, s0, 3
	s_lshl_b32 s4, s0, 2
	s_set_inst_prefetch_distance 0x1
	.p2align	6
.LBB142_24:                             ; =>This Inner Loop Header: Depth=1
	global_load_b64 v[6:7], v[3:4], off
	v_cmp_le_i64_e32 vcc_lo, s[6:7], v[1:2]
	v_cmp_lt_u64_e64 s0, 0xffff, v[1:2]
	v_add_co_u32 v1, s1, v1, s4
	s_delay_alu instid0(VALU_DEP_1) | instskip(NEXT) | instid1(VALU_DEP_3)
	v_add_co_ci_u32_e64 v2, s1, 0, v2, s1
	s_or_b32 s0, vcc_lo, s0
	s_delay_alu instid0(SALU_CYCLE_1) | instskip(NEXT) | instid1(SALU_CYCLE_1)
	s_and_b32 s0, exec_lo, s0
	s_or_b32 s2, s0, s2
	s_waitcnt vmcnt(0)
	v_lshrrev_b32_e32 v0, 16, v7
	v_lshrrev_b32_e32 v8, 16, v6
	v_max_i16 v7, v7, v5
	v_max_i16 v6, v6, v5
	s_delay_alu instid0(VALU_DEP_4) | instskip(NEXT) | instid1(VALU_DEP_4)
	v_max_i16 v0, v0, v5
	v_max_i16 v8, v8, v5
	s_delay_alu instid0(VALU_DEP_4) | instskip(NEXT) | instid1(VALU_DEP_4)
	v_and_b32_e32 v7, 0xffff, v7
	v_and_b32_e32 v6, 0xffff, v6
	s_delay_alu instid0(VALU_DEP_4) | instskip(NEXT) | instid1(VALU_DEP_4)
	v_lshlrev_b32_e32 v0, 16, v0
	v_lshlrev_b32_e32 v8, 16, v8
	s_delay_alu instid0(VALU_DEP_2) | instskip(NEXT) | instid1(VALU_DEP_2)
	v_or_b32_e32 v7, v0, v7
	v_or_b32_e32 v6, v8, v6
	global_store_b64 v[3:4], v[6:7], off
	v_add_co_u32 v3, vcc_lo, v3, s3
	v_add_co_ci_u32_e32 v4, vcc_lo, 0, v4, vcc_lo
	s_and_not1_b32 exec_lo, exec_lo, s2
	s_cbranch_execnz .LBB142_24
.LBB142_25:
	s_set_inst_prefetch_distance 0x2
	s_nop 0
	s_sendmsg sendmsg(MSG_DEALLOC_VGPRS)
	s_endpgm
	.section	.rodata,"a",@progbits
	.p2align	6, 0x0
	.amdhsa_kernel _ZN2at6native12_GLOBAL__N_125multi_tensor_apply_kernelINS1_28TensorListScalarListMetadataIsLi1EEENS1_25BinaryOpScalarListFunctorIsLi1ELi1ELi0EEEJNS0_7maximumIsEEEEEvT_T0_DpT1_
		.amdhsa_group_segment_fixed_size 0
		.amdhsa_private_segment_fixed_size 0
		.amdhsa_kernarg_size 3592
		.amdhsa_user_sgpr_count 15
		.amdhsa_user_sgpr_dispatch_ptr 0
		.amdhsa_user_sgpr_queue_ptr 0
		.amdhsa_user_sgpr_kernarg_segment_ptr 1
		.amdhsa_user_sgpr_dispatch_id 0
		.amdhsa_user_sgpr_private_segment_size 0
		.amdhsa_wavefront_size32 1
		.amdhsa_uses_dynamic_stack 0
		.amdhsa_enable_private_segment 0
		.amdhsa_system_sgpr_workgroup_id_x 1
		.amdhsa_system_sgpr_workgroup_id_y 0
		.amdhsa_system_sgpr_workgroup_id_z 0
		.amdhsa_system_sgpr_workgroup_info 0
		.amdhsa_system_vgpr_workitem_id 0
		.amdhsa_next_free_vgpr 18
		.amdhsa_next_free_sgpr 20
		.amdhsa_reserve_vcc 1
		.amdhsa_float_round_mode_32 0
		.amdhsa_float_round_mode_16_64 0
		.amdhsa_float_denorm_mode_32 3
		.amdhsa_float_denorm_mode_16_64 3
		.amdhsa_dx10_clamp 1
		.amdhsa_ieee_mode 1
		.amdhsa_fp16_overflow 0
		.amdhsa_workgroup_processor_mode 1
		.amdhsa_memory_ordered 1
		.amdhsa_forward_progress 0
		.amdhsa_shared_vgpr_count 0
		.amdhsa_exception_fp_ieee_invalid_op 0
		.amdhsa_exception_fp_denorm_src 0
		.amdhsa_exception_fp_ieee_div_zero 0
		.amdhsa_exception_fp_ieee_overflow 0
		.amdhsa_exception_fp_ieee_underflow 0
		.amdhsa_exception_fp_ieee_inexact 0
		.amdhsa_exception_int_div_zero 0
	.end_amdhsa_kernel
	.section	.text._ZN2at6native12_GLOBAL__N_125multi_tensor_apply_kernelINS1_28TensorListScalarListMetadataIsLi1EEENS1_25BinaryOpScalarListFunctorIsLi1ELi1ELi0EEEJNS0_7maximumIsEEEEEvT_T0_DpT1_,"axG",@progbits,_ZN2at6native12_GLOBAL__N_125multi_tensor_apply_kernelINS1_28TensorListScalarListMetadataIsLi1EEENS1_25BinaryOpScalarListFunctorIsLi1ELi1ELi0EEEJNS0_7maximumIsEEEEEvT_T0_DpT1_,comdat
.Lfunc_end142:
	.size	_ZN2at6native12_GLOBAL__N_125multi_tensor_apply_kernelINS1_28TensorListScalarListMetadataIsLi1EEENS1_25BinaryOpScalarListFunctorIsLi1ELi1ELi0EEEJNS0_7maximumIsEEEEEvT_T0_DpT1_, .Lfunc_end142-_ZN2at6native12_GLOBAL__N_125multi_tensor_apply_kernelINS1_28TensorListScalarListMetadataIsLi1EEENS1_25BinaryOpScalarListFunctorIsLi1ELi1ELi0EEEJNS0_7maximumIsEEEEEvT_T0_DpT1_
                                        ; -- End function
	.section	.AMDGPU.csdata,"",@progbits
; Kernel info:
; codeLenInByte = 1220
; NumSgprs: 22
; NumVgprs: 18
; ScratchSize: 0
; MemoryBound: 0
; FloatMode: 240
; IeeeMode: 1
; LDSByteSize: 0 bytes/workgroup (compile time only)
; SGPRBlocks: 2
; VGPRBlocks: 2
; NumSGPRsForWavesPerEU: 22
; NumVGPRsForWavesPerEU: 18
; Occupancy: 16
; WaveLimiterHint : 0
; COMPUTE_PGM_RSRC2:SCRATCH_EN: 0
; COMPUTE_PGM_RSRC2:USER_SGPR: 15
; COMPUTE_PGM_RSRC2:TRAP_HANDLER: 0
; COMPUTE_PGM_RSRC2:TGID_X_EN: 1
; COMPUTE_PGM_RSRC2:TGID_Y_EN: 0
; COMPUTE_PGM_RSRC2:TGID_Z_EN: 0
; COMPUTE_PGM_RSRC2:TIDIG_COMP_CNT: 0
	.section	.text._ZN2at6native12_GLOBAL__N_125multi_tensor_apply_kernelINS1_28TensorListScalarListMetadataIdLi1EEENS1_25BinaryOpScalarListFunctorIdLi1ELi1ELi0EEEJNS0_7maximumIdEEEEEvT_T0_DpT1_,"axG",@progbits,_ZN2at6native12_GLOBAL__N_125multi_tensor_apply_kernelINS1_28TensorListScalarListMetadataIdLi1EEENS1_25BinaryOpScalarListFunctorIdLi1ELi1ELi0EEEJNS0_7maximumIdEEEEEvT_T0_DpT1_,comdat
	.globl	_ZN2at6native12_GLOBAL__N_125multi_tensor_apply_kernelINS1_28TensorListScalarListMetadataIdLi1EEENS1_25BinaryOpScalarListFunctorIdLi1ELi1ELi0EEEJNS0_7maximumIdEEEEEvT_T0_DpT1_ ; -- Begin function _ZN2at6native12_GLOBAL__N_125multi_tensor_apply_kernelINS1_28TensorListScalarListMetadataIdLi1EEENS1_25BinaryOpScalarListFunctorIdLi1ELi1ELi0EEEJNS0_7maximumIdEEEEEvT_T0_DpT1_
	.p2align	8
	.type	_ZN2at6native12_GLOBAL__N_125multi_tensor_apply_kernelINS1_28TensorListScalarListMetadataIdLi1EEENS1_25BinaryOpScalarListFunctorIdLi1ELi1ELi0EEEJNS0_7maximumIdEEEEEvT_T0_DpT1_,@function
_ZN2at6native12_GLOBAL__N_125multi_tensor_apply_kernelINS1_28TensorListScalarListMetadataIdLi1EEENS1_25BinaryOpScalarListFunctorIdLi1ELi1ELi0EEEJNS0_7maximumIdEEEEEvT_T0_DpT1_: ; @_ZN2at6native12_GLOBAL__N_125multi_tensor_apply_kernelINS1_28TensorListScalarListMetadataIdLi1EEENS1_25BinaryOpScalarListFunctorIdLi1ELi1ELi0EEEJNS0_7maximumIdEEEEEvT_T0_DpT1_
; %bb.0:
	v_mov_b32_e32 v1, s15
	s_add_u32 s2, s0, s15
	s_mul_hi_u32 s3, s15, 3
	s_mul_i32 s15, s15, 3
	s_addc_u32 s4, s1, 0
	global_load_u8 v1, v1, s[0:1] offset:2304
	s_add_u32 s2, s2, s15
	s_addc_u32 s3, s4, s3
	s_mov_b32 s15, 0
	s_load_b32 s2, s[2:3], 0xa40
	s_waitcnt vmcnt(0)
	v_readfirstlane_b32 s5, v1
	s_delay_alu instid0(VALU_DEP_1)
	s_lshl_b32 s3, s5, 3
	s_clause 0x2
	s_load_b64 s[10:11], s[0:1], s3 offset:0x600
	s_load_b64 s[6:7], s[0:1], s3 offset:0x0
	;; [unrolled: 1-line block ×3, first 2 shown]
	s_waitcnt lgkmcnt(0)
	s_ashr_i32 s3, s2, 31
	s_delay_alu instid0(SALU_CYCLE_1)
	s_lshl_b64 s[8:9], s[2:3], 19
	s_lshl_b64 s[2:3], s[2:3], 16
	s_and_b32 s14, s6, 31
	s_sub_u32 s12, s4, s2
	s_subb_u32 s13, s5, s3
	s_and_b32 s2, s4, 3
	s_mov_b32 s3, s15
	s_delay_alu instid0(SALU_CYCLE_1) | instskip(NEXT) | instid1(SALU_CYCLE_1)
	s_or_b64 s[2:3], s[14:15], s[2:3]
	s_cmp_eq_u64 s[2:3], 0
	s_cbranch_scc1 .LBB143_21
; %bb.1:
	v_cmp_lt_i64_e64 s2, s[12:13], 1
	s_delay_alu instid0(VALU_DEP_1)
	s_and_b32 vcc_lo, exec_lo, s2
	s_cbranch_vccnz .LBB143_20
; %bb.2:
	s_load_b32 s2, s[0:1], 0xf54
	v_cmp_gt_u64_e64 s3, 0x10000, s[12:13]
	v_lshlrev_b32_e32 v1, 3, v0
	s_waitcnt lgkmcnt(0)
	s_and_b32 s2, s2, 0xffff
	s_delay_alu instid0(VALU_DEP_2)
	s_and_b32 s3, s3, exec_lo
	v_add_co_u32 v13, s5, v0, s2
	s_cselect_b32 s15, s13, 0
	s_cselect_b32 s14, s12, 0x10000
	s_lshl_b32 s3, s2, 1
	s_lshl_b32 s18, s2, 2
	v_lshlrev_b32_e32 v3, 3, v13
	v_add_co_ci_u32_e64 v14, null, 0, 0, s5
	s_add_u32 s5, s6, s8
	v_add_co_u32 v17, s3, s3, v0
	s_mul_i32 s4, s2, 3
	s_addc_u32 s16, s7, s9
	v_add_co_ci_u32_e64 v18, null, 0, 0, s3
	v_add_co_u32 v1, s3, s5, v1
	v_add_co_u32 v15, s4, s4, v0
	v_add_co_ci_u32_e64 v2, null, s16, 0, s3
	v_add_co_u32 v3, s3, s5, v3
	v_add_co_ci_u32_e64 v16, null, 0, 0, s4
	v_add_co_ci_u32_e64 v4, null, s16, 0, s3
	s_lshl_b32 s19, s2, 5
	s_mul_i32 s20, s2, 24
	s_lshl_b32 s21, s2, 4
	s_mov_b64 s[16:17], 0
	s_branch .LBB143_4
.LBB143_3:                              ;   in Loop: Header=BB143_4 Depth=1
	s_or_b32 exec_lo, exec_lo, s3
	s_add_u32 s16, s16, s18
	s_addc_u32 s17, s17, 0
	v_add_co_u32 v1, vcc_lo, v1, s19
	v_cmp_lt_i64_e64 s2, s[16:17], s[12:13]
	v_cmp_gt_u64_e64 s3, 0x10000, s[16:17]
	v_add_co_ci_u32_e32 v2, vcc_lo, 0, v2, vcc_lo
	v_add_co_u32 v3, vcc_lo, v3, s19
	v_add_co_ci_u32_e32 v4, vcc_lo, 0, v4, vcc_lo
	s_delay_alu instid0(VALU_DEP_4) | instskip(NEXT) | instid1(SALU_CYCLE_1)
	s_and_b32 s2, s2, s3
	s_and_b32 vcc_lo, exec_lo, s2
	s_cbranch_vccz .LBB143_20
.LBB143_4:                              ; =>This Inner Loop Header: Depth=1
	s_waitcnt vmcnt(0)
	v_add_co_u32 v7, s2, v0, s16
	s_delay_alu instid0(VALU_DEP_1) | instskip(SKIP_2) | instid1(VALU_DEP_3)
	v_add_co_ci_u32_e64 v8, null, 0, s17, s2
	v_mov_b32_e32 v5, 0
	v_mov_b32_e32 v6, 0
	v_cmp_gt_u64_e32 vcc_lo, s[14:15], v[7:8]
	s_delay_alu instid0(VALU_DEP_2)
	v_dual_mov_b32 v10, v6 :: v_dual_mov_b32 v9, v5
	s_and_saveexec_b32 s2, vcc_lo
	s_cbranch_execz .LBB143_6
; %bb.5:                                ;   in Loop: Header=BB143_4 Depth=1
	global_load_b64 v[9:10], v[1:2], off
.LBB143_6:                              ;   in Loop: Header=BB143_4 Depth=1
	s_or_b32 exec_lo, exec_lo, s2
	v_add_co_u32 v7, s2, v13, s16
	s_delay_alu instid0(VALU_DEP_1) | instskip(NEXT) | instid1(VALU_DEP_1)
	v_add_co_ci_u32_e64 v8, s2, s17, v14, s2
	v_cmp_gt_u64_e64 s2, s[14:15], v[7:8]
	s_delay_alu instid0(VALU_DEP_1)
	s_and_saveexec_b32 s3, s2
	s_cbranch_execz .LBB143_8
; %bb.7:                                ;   in Loop: Header=BB143_4 Depth=1
	global_load_b64 v[5:6], v[3:4], off
.LBB143_8:                              ;   in Loop: Header=BB143_4 Depth=1
	s_or_b32 exec_lo, exec_lo, s3
	v_add_co_u32 v11, s3, v17, s16
	s_delay_alu instid0(VALU_DEP_1) | instskip(SKIP_2) | instid1(VALU_DEP_3)
	v_add_co_ci_u32_e64 v12, s3, s17, v18, s3
	v_mov_b32_e32 v7, 0
	v_mov_b32_e32 v8, 0
	v_cmp_gt_u64_e64 s3, s[14:15], v[11:12]
	s_delay_alu instid0(VALU_DEP_2) | instskip(NEXT) | instid1(VALU_DEP_2)
	v_dual_mov_b32 v12, v8 :: v_dual_mov_b32 v11, v7
	s_and_saveexec_b32 s5, s3
	s_cbranch_execz .LBB143_10
; %bb.9:                                ;   in Loop: Header=BB143_4 Depth=1
	v_add_co_u32 v11, s4, v1, s21
	s_delay_alu instid0(VALU_DEP_1)
	v_add_co_ci_u32_e64 v12, s4, 0, v2, s4
	global_load_b64 v[11:12], v[11:12], off
.LBB143_10:                             ;   in Loop: Header=BB143_4 Depth=1
	s_or_b32 exec_lo, exec_lo, s5
	v_add_co_u32 v19, s4, v15, s16
	s_delay_alu instid0(VALU_DEP_1) | instskip(NEXT) | instid1(VALU_DEP_1)
	v_add_co_ci_u32_e64 v20, s4, s17, v16, s4
	v_cmp_gt_u64_e64 s4, s[14:15], v[19:20]
	s_delay_alu instid0(VALU_DEP_1)
	s_and_saveexec_b32 s22, s4
	s_cbranch_execnz .LBB143_15
; %bb.11:                               ;   in Loop: Header=BB143_4 Depth=1
	s_or_b32 exec_lo, exec_lo, s22
	s_and_saveexec_b32 s22, vcc_lo
	s_cbranch_execnz .LBB143_16
.LBB143_12:                             ;   in Loop: Header=BB143_4 Depth=1
	s_or_b32 exec_lo, exec_lo, s22
	s_and_saveexec_b32 s5, s2
	s_cbranch_execnz .LBB143_17
.LBB143_13:                             ;   in Loop: Header=BB143_4 Depth=1
	s_or_b32 exec_lo, exec_lo, s5
	s_and_saveexec_b32 s5, s3
	s_cbranch_execnz .LBB143_18
.LBB143_14:                             ;   in Loop: Header=BB143_4 Depth=1
	s_or_b32 exec_lo, exec_lo, s5
	s_and_saveexec_b32 s3, s4
	s_cbranch_execz .LBB143_3
	s_branch .LBB143_19
.LBB143_15:                             ;   in Loop: Header=BB143_4 Depth=1
	v_add_co_u32 v7, s5, v1, s20
	s_delay_alu instid0(VALU_DEP_1)
	v_add_co_ci_u32_e64 v8, s5, 0, v2, s5
	global_load_b64 v[7:8], v[7:8], off
	s_or_b32 exec_lo, exec_lo, s22
	s_and_saveexec_b32 s22, vcc_lo
	s_cbranch_execz .LBB143_12
.LBB143_16:                             ;   in Loop: Header=BB143_4 Depth=1
	s_waitcnt vmcnt(0)
	v_cmp_u_f64_e32 vcc_lo, v[9:10], v[9:10]
	v_cmp_lt_f64_e64 s5, s[10:11], v[9:10]
	s_delay_alu instid0(VALU_DEP_1)
	s_or_b32 vcc_lo, vcc_lo, s5
	v_cndmask_b32_e32 v10, s11, v10, vcc_lo
	v_cndmask_b32_e32 v9, s10, v9, vcc_lo
	global_store_b64 v[1:2], v[9:10], off
	s_or_b32 exec_lo, exec_lo, s22
	s_and_saveexec_b32 s5, s2
	s_cbranch_execz .LBB143_13
.LBB143_17:                             ;   in Loop: Header=BB143_4 Depth=1
	s_waitcnt vmcnt(0)
	v_cmp_u_f64_e32 vcc_lo, v[5:6], v[5:6]
	v_cmp_lt_f64_e64 s2, s[10:11], v[5:6]
	s_delay_alu instid0(VALU_DEP_1)
	s_or_b32 vcc_lo, vcc_lo, s2
	v_cndmask_b32_e32 v6, s11, v6, vcc_lo
	v_cndmask_b32_e32 v5, s10, v5, vcc_lo
	global_store_b64 v[3:4], v[5:6], off
	s_or_b32 exec_lo, exec_lo, s5
	s_and_saveexec_b32 s5, s3
	s_cbranch_execz .LBB143_14
.LBB143_18:                             ;   in Loop: Header=BB143_4 Depth=1
	s_waitcnt vmcnt(0)
	v_cmp_u_f64_e32 vcc_lo, v[11:12], v[11:12]
	v_cmp_lt_f64_e64 s2, s[10:11], v[11:12]
	s_delay_alu instid0(VALU_DEP_1)
	s_or_b32 vcc_lo, vcc_lo, s2
	v_cndmask_b32_e32 v6, s11, v12, vcc_lo
	v_cndmask_b32_e32 v5, s10, v11, vcc_lo
	v_add_co_u32 v9, vcc_lo, v1, s21
	v_add_co_ci_u32_e32 v10, vcc_lo, 0, v2, vcc_lo
	global_store_b64 v[9:10], v[5:6], off
	s_or_b32 exec_lo, exec_lo, s5
	s_and_saveexec_b32 s3, s4
	s_cbranch_execz .LBB143_3
.LBB143_19:                             ;   in Loop: Header=BB143_4 Depth=1
	s_waitcnt vmcnt(0)
	v_cmp_u_f64_e32 vcc_lo, v[7:8], v[7:8]
	v_cmp_lt_f64_e64 s2, s[10:11], v[7:8]
	s_delay_alu instid0(VALU_DEP_1)
	s_or_b32 vcc_lo, vcc_lo, s2
	v_cndmask_b32_e32 v6, s11, v8, vcc_lo
	v_cndmask_b32_e32 v5, s10, v7, vcc_lo
	v_add_co_u32 v7, vcc_lo, v1, s20
	v_add_co_ci_u32_e32 v8, vcc_lo, 0, v2, vcc_lo
	global_store_b64 v[7:8], v[5:6], off
	s_branch .LBB143_3
.LBB143_20:
	s_cbranch_execz .LBB143_22
	s_branch .LBB143_25
.LBB143_21:
.LBB143_22:
	v_dual_mov_b32 v2, 0 :: v_dual_lshlrev_b32 v1, 2, v0
	s_mov_b32 s14, 0
	s_mov_b32 s2, exec_lo
	s_delay_alu instid0(VALU_DEP_1)
	v_cmpx_gt_i64_e64 s[12:13], v[1:2]
	s_cbranch_execz .LBB143_25
; %bb.23:
	s_load_b32 s0, s[0:1], 0xf54
	v_lshlrev_b32_e32 v1, 5, v0
	s_waitcnt lgkmcnt(0)
	s_and_b32 s0, s0, 0xffff
	s_delay_alu instid0(SALU_CYCLE_1) | instskip(SKIP_3) | instid1(VALU_DEP_1)
	s_lshl_b32 s15, s0, 2
	s_add_u32 s1, s6, s8
	s_addc_u32 s2, s7, s9
	v_add_co_u32 v3, s1, s1, v1
	v_add_co_ci_u32_e64 v4, null, s2, 0, s1
	v_add_lshl_u32 v1, v0, s0, 2
	s_delay_alu instid0(VALU_DEP_3) | instskip(NEXT) | instid1(VALU_DEP_3)
	v_add_co_u32 v3, vcc_lo, v3, 16
	v_add_co_ci_u32_e32 v4, vcc_lo, 0, v4, vcc_lo
	s_lshl_b32 s9, s0, 5
.LBB143_24:                             ; =>This Inner Loop Header: Depth=1
	s_clause 0x1
	global_load_b128 v[5:8], v[3:4], off offset:-16
	global_load_b128 v[9:12], v[3:4], off
	v_cmp_le_i64_e64 s7, s[12:13], v[1:2]
	v_cmp_lt_u64_e64 s8, 0xffff, v[1:2]
	s_waitcnt vmcnt(1)
	v_cmp_u_f64_e32 vcc_lo, v[5:6], v[5:6]
	v_cmp_lt_f64_e64 s0, s[10:11], v[5:6]
	v_cmp_u_f64_e64 s1, v[7:8], v[7:8]
	v_cmp_lt_f64_e64 s2, s[10:11], v[7:8]
	s_waitcnt vmcnt(0)
	v_cmp_u_f64_e64 s3, v[9:10], v[9:10]
	v_cmp_lt_f64_e64 s4, s[10:11], v[9:10]
	v_cmp_u_f64_e64 s5, v[11:12], v[11:12]
	v_cmp_lt_f64_e64 s6, s[10:11], v[11:12]
	s_or_b32 vcc_lo, vcc_lo, s0
	s_or_b32 s0, s1, s2
	v_cndmask_b32_e32 v6, s11, v6, vcc_lo
	s_delay_alu instid0(VALU_DEP_4) | instskip(SKIP_1) | instid1(VALU_DEP_3)
	s_or_b32 s1, s3, s4
	v_cndmask_b32_e64 v8, s11, v8, s0
	s_or_b32 s2, s5, s6
	v_cndmask_b32_e32 v5, s10, v5, vcc_lo
	v_cndmask_b32_e64 v7, s10, v7, s0
	v_cndmask_b32_e64 v10, s11, v10, s1
	;; [unrolled: 1-line block ×5, first 2 shown]
	v_add_co_u32 v1, vcc_lo, v1, s15
	v_add_co_ci_u32_e32 v2, vcc_lo, 0, v2, vcc_lo
	s_clause 0x1
	global_store_b128 v[3:4], v[5:8], off offset:-16
	global_store_b128 v[3:4], v[9:12], off
	v_add_co_u32 v3, vcc_lo, v3, s9
	s_or_b32 s0, s7, s8
	v_add_co_ci_u32_e32 v4, vcc_lo, 0, v4, vcc_lo
	s_and_b32 s0, exec_lo, s0
	s_delay_alu instid0(SALU_CYCLE_1) | instskip(NEXT) | instid1(SALU_CYCLE_1)
	s_or_b32 s14, s0, s14
	s_and_not1_b32 exec_lo, exec_lo, s14
	s_cbranch_execnz .LBB143_24
.LBB143_25:
	s_nop 0
	s_sendmsg sendmsg(MSG_DEALLOC_VGPRS)
	s_endpgm
	.section	.rodata,"a",@progbits
	.p2align	6, 0x0
	.amdhsa_kernel _ZN2at6native12_GLOBAL__N_125multi_tensor_apply_kernelINS1_28TensorListScalarListMetadataIdLi1EEENS1_25BinaryOpScalarListFunctorIdLi1ELi1ELi0EEEJNS0_7maximumIdEEEEEvT_T0_DpT1_
		.amdhsa_group_segment_fixed_size 0
		.amdhsa_private_segment_fixed_size 0
		.amdhsa_kernarg_size 4168
		.amdhsa_user_sgpr_count 15
		.amdhsa_user_sgpr_dispatch_ptr 0
		.amdhsa_user_sgpr_queue_ptr 0
		.amdhsa_user_sgpr_kernarg_segment_ptr 1
		.amdhsa_user_sgpr_dispatch_id 0
		.amdhsa_user_sgpr_private_segment_size 0
		.amdhsa_wavefront_size32 1
		.amdhsa_uses_dynamic_stack 0
		.amdhsa_enable_private_segment 0
		.amdhsa_system_sgpr_workgroup_id_x 1
		.amdhsa_system_sgpr_workgroup_id_y 0
		.amdhsa_system_sgpr_workgroup_id_z 0
		.amdhsa_system_sgpr_workgroup_info 0
		.amdhsa_system_vgpr_workitem_id 0
		.amdhsa_next_free_vgpr 21
		.amdhsa_next_free_sgpr 23
		.amdhsa_reserve_vcc 1
		.amdhsa_float_round_mode_32 0
		.amdhsa_float_round_mode_16_64 0
		.amdhsa_float_denorm_mode_32 3
		.amdhsa_float_denorm_mode_16_64 3
		.amdhsa_dx10_clamp 1
		.amdhsa_ieee_mode 1
		.amdhsa_fp16_overflow 0
		.amdhsa_workgroup_processor_mode 1
		.amdhsa_memory_ordered 1
		.amdhsa_forward_progress 0
		.amdhsa_shared_vgpr_count 0
		.amdhsa_exception_fp_ieee_invalid_op 0
		.amdhsa_exception_fp_denorm_src 0
		.amdhsa_exception_fp_ieee_div_zero 0
		.amdhsa_exception_fp_ieee_overflow 0
		.amdhsa_exception_fp_ieee_underflow 0
		.amdhsa_exception_fp_ieee_inexact 0
		.amdhsa_exception_int_div_zero 0
	.end_amdhsa_kernel
	.section	.text._ZN2at6native12_GLOBAL__N_125multi_tensor_apply_kernelINS1_28TensorListScalarListMetadataIdLi1EEENS1_25BinaryOpScalarListFunctorIdLi1ELi1ELi0EEEJNS0_7maximumIdEEEEEvT_T0_DpT1_,"axG",@progbits,_ZN2at6native12_GLOBAL__N_125multi_tensor_apply_kernelINS1_28TensorListScalarListMetadataIdLi1EEENS1_25BinaryOpScalarListFunctorIdLi1ELi1ELi0EEEJNS0_7maximumIdEEEEEvT_T0_DpT1_,comdat
.Lfunc_end143:
	.size	_ZN2at6native12_GLOBAL__N_125multi_tensor_apply_kernelINS1_28TensorListScalarListMetadataIdLi1EEENS1_25BinaryOpScalarListFunctorIdLi1ELi1ELi0EEEJNS0_7maximumIdEEEEEvT_T0_DpT1_, .Lfunc_end143-_ZN2at6native12_GLOBAL__N_125multi_tensor_apply_kernelINS1_28TensorListScalarListMetadataIdLi1EEENS1_25BinaryOpScalarListFunctorIdLi1ELi1ELi0EEEJNS0_7maximumIdEEEEEvT_T0_DpT1_
                                        ; -- End function
	.section	.AMDGPU.csdata,"",@progbits
; Kernel info:
; codeLenInByte = 1372
; NumSgprs: 25
; NumVgprs: 21
; ScratchSize: 0
; MemoryBound: 0
; FloatMode: 240
; IeeeMode: 1
; LDSByteSize: 0 bytes/workgroup (compile time only)
; SGPRBlocks: 3
; VGPRBlocks: 2
; NumSGPRsForWavesPerEU: 25
; NumVGPRsForWavesPerEU: 21
; Occupancy: 16
; WaveLimiterHint : 1
; COMPUTE_PGM_RSRC2:SCRATCH_EN: 0
; COMPUTE_PGM_RSRC2:USER_SGPR: 15
; COMPUTE_PGM_RSRC2:TRAP_HANDLER: 0
; COMPUTE_PGM_RSRC2:TGID_X_EN: 1
; COMPUTE_PGM_RSRC2:TGID_Y_EN: 0
; COMPUTE_PGM_RSRC2:TGID_Z_EN: 0
; COMPUTE_PGM_RSRC2:TIDIG_COMP_CNT: 0
	.section	.text._ZN2at6native12_GLOBAL__N_125multi_tensor_apply_kernelINS1_28TensorListScalarListMetadataIfLi1EEENS1_25BinaryOpScalarListFunctorIfLi1ELi1ELi0EEEJNS0_7maximumIfEEEEEvT_T0_DpT1_,"axG",@progbits,_ZN2at6native12_GLOBAL__N_125multi_tensor_apply_kernelINS1_28TensorListScalarListMetadataIfLi1EEENS1_25BinaryOpScalarListFunctorIfLi1ELi1ELi0EEEJNS0_7maximumIfEEEEEvT_T0_DpT1_,comdat
	.globl	_ZN2at6native12_GLOBAL__N_125multi_tensor_apply_kernelINS1_28TensorListScalarListMetadataIfLi1EEENS1_25BinaryOpScalarListFunctorIfLi1ELi1ELi0EEEJNS0_7maximumIfEEEEEvT_T0_DpT1_ ; -- Begin function _ZN2at6native12_GLOBAL__N_125multi_tensor_apply_kernelINS1_28TensorListScalarListMetadataIfLi1EEENS1_25BinaryOpScalarListFunctorIfLi1ELi1ELi0EEEJNS0_7maximumIfEEEEEvT_T0_DpT1_
	.p2align	8
	.type	_ZN2at6native12_GLOBAL__N_125multi_tensor_apply_kernelINS1_28TensorListScalarListMetadataIfLi1EEENS1_25BinaryOpScalarListFunctorIfLi1ELi1ELi0EEEJNS0_7maximumIfEEEEEvT_T0_DpT1_,@function
_ZN2at6native12_GLOBAL__N_125multi_tensor_apply_kernelINS1_28TensorListScalarListMetadataIfLi1EEENS1_25BinaryOpScalarListFunctorIfLi1ELi1ELi0EEEJNS0_7maximumIfEEEEEvT_T0_DpT1_: ; @_ZN2at6native12_GLOBAL__N_125multi_tensor_apply_kernelINS1_28TensorListScalarListMetadataIfLi1EEENS1_25BinaryOpScalarListFunctorIfLi1ELi1ELi0EEEJNS0_7maximumIfEEEEEvT_T0_DpT1_
; %bb.0:
	v_mov_b32_e32 v1, s15
	s_add_u32 s2, s0, s15
	s_mul_i32 s3, s15, 3
	s_mul_hi_u32 s4, s15, 3
	s_addc_u32 s5, s1, 0
	global_load_u8 v1, v1, s[0:1] offset:1920
	s_add_u32 s2, s2, s3
	s_addc_u32 s3, s5, s4
	s_load_b32 s2, s[2:3], 0x8c0
	s_waitcnt vmcnt(0)
	v_readfirstlane_b32 s3, v1
	v_lshlrev_b32_e32 v1, 2, v1
	s_delay_alu instid0(VALU_DEP_2)
	s_lshl_b32 s8, s3, 3
	s_waitcnt lgkmcnt(0)
	s_ashr_i32 s3, s2, 31
	s_clause 0x1
	s_load_b64 s[4:5], s[0:1], s8 offset:0x300
	s_load_b64 s[6:7], s[0:1], s8 offset:0x0
	s_add_u32 s8, s0, s8
	s_addc_u32 s9, s1, 0
	v_sub_co_u32 v1, s8, s8, v1
	s_delay_alu instid0(VALU_DEP_1) | instskip(NEXT) | instid1(VALU_DEP_2)
	v_sub_co_ci_u32_e64 v2, null, s9, 0, s8
	v_readfirstlane_b32 s8, v1
	s_delay_alu instid0(VALU_DEP_2)
	v_readfirstlane_b32 s9, v2
	s_load_b32 s16, s[8:9], 0x600
	s_lshl_b64 s[8:9], s[2:3], 18
	s_lshl_b64 s[2:3], s[2:3], 16
	s_waitcnt lgkmcnt(0)
	s_and_b32 s12, s6, 15
	s_sub_u32 s10, s4, s2
	s_subb_u32 s11, s5, s3
	s_and_b32 s2, s4, 3
	s_mov_b32 s3, 0
	s_or_b32 s2, s12, s2
	s_delay_alu instid0(SALU_CYCLE_1)
	s_cmp_eq_u64 s[2:3], 0
	s_cbranch_scc1 .LBB144_21
; %bb.1:
	v_cmp_lt_i64_e64 s2, s[10:11], 1
	s_delay_alu instid0(VALU_DEP_1)
	s_and_b32 vcc_lo, exec_lo, s2
	s_cbranch_vccnz .LBB144_20
; %bb.2:
	s_load_b32 s2, s[0:1], 0xdd4
	v_cmp_gt_u64_e64 s3, 0x10000, s[10:11]
	v_lshlrev_b32_e32 v1, 2, v0
	s_waitcnt lgkmcnt(0)
	s_and_b32 s2, s2, 0xffff
	s_delay_alu instid0(VALU_DEP_2)
	s_and_b32 s3, s3, exec_lo
	v_add_co_u32 v5, s5, v0, s2
	s_cselect_b32 s13, s11, 0
	s_cselect_b32 s12, s10, 0x10000
	s_lshl_b32 s3, s2, 1
	s_lshl_b32 s17, s2, 2
	v_lshlrev_b32_e32 v3, 2, v5
	v_add_co_ci_u32_e64 v6, null, 0, 0, s5
	s_add_u32 s5, s6, s8
	v_add_co_u32 v9, s3, s3, v0
	s_mul_i32 s4, s2, 3
	s_addc_u32 s14, s7, s9
	v_add_co_ci_u32_e64 v10, null, 0, 0, s3
	v_add_co_u32 v1, s3, s5, v1
	v_add_co_u32 v7, s4, s4, v0
	v_add_co_ci_u32_e64 v2, null, s14, 0, s3
	v_add_co_u32 v3, s3, s5, v3
	v_add_co_ci_u32_e64 v8, null, 0, 0, s4
	v_add_co_ci_u32_e64 v4, null, s14, 0, s3
	s_lshl_b32 s18, s2, 4
	s_mul_i32 s19, s2, 12
	s_lshl_b32 s20, s2, 3
	s_mov_b64 s[14:15], 0
	s_branch .LBB144_4
.LBB144_3:                              ;   in Loop: Header=BB144_4 Depth=1
	s_or_b32 exec_lo, exec_lo, s3
	s_add_u32 s14, s14, s17
	s_addc_u32 s15, s15, 0
	v_add_co_u32 v1, vcc_lo, v1, s18
	v_cmp_lt_i64_e64 s2, s[14:15], s[10:11]
	v_cmp_gt_u64_e64 s3, 0x10000, s[14:15]
	v_add_co_ci_u32_e32 v2, vcc_lo, 0, v2, vcc_lo
	v_add_co_u32 v3, vcc_lo, v3, s18
	v_add_co_ci_u32_e32 v4, vcc_lo, 0, v4, vcc_lo
	s_delay_alu instid0(VALU_DEP_4) | instskip(NEXT) | instid1(SALU_CYCLE_1)
	s_and_b32 s2, s2, s3
	s_and_b32 vcc_lo, exec_lo, s2
	s_cbranch_vccz .LBB144_20
.LBB144_4:                              ; =>This Inner Loop Header: Depth=1
	s_waitcnt vmcnt(0)
	v_add_co_u32 v11, s2, v0, s14
	s_delay_alu instid0(VALU_DEP_1) | instskip(NEXT) | instid1(VALU_DEP_1)
	v_add_co_ci_u32_e64 v12, null, 0, s15, s2
	v_cmp_gt_u64_e32 vcc_lo, s[12:13], v[11:12]
	v_mov_b32_e32 v12, 0
	s_and_saveexec_b32 s2, vcc_lo
	s_cbranch_execz .LBB144_6
; %bb.5:                                ;   in Loop: Header=BB144_4 Depth=1
	global_load_b32 v12, v[1:2], off
.LBB144_6:                              ;   in Loop: Header=BB144_4 Depth=1
	s_or_b32 exec_lo, exec_lo, s2
	v_add_co_u32 v13, s2, v5, s14
	s_delay_alu instid0(VALU_DEP_1) | instskip(NEXT) | instid1(VALU_DEP_1)
	v_add_co_ci_u32_e64 v14, s2, s15, v6, s2
	v_cmp_gt_u64_e64 s2, s[12:13], v[13:14]
	v_mov_b32_e32 v13, 0
	s_delay_alu instid0(VALU_DEP_2)
	s_and_saveexec_b32 s3, s2
	s_cbranch_execz .LBB144_8
; %bb.7:                                ;   in Loop: Header=BB144_4 Depth=1
	global_load_b32 v13, v[3:4], off
.LBB144_8:                              ;   in Loop: Header=BB144_4 Depth=1
	s_or_b32 exec_lo, exec_lo, s3
	v_add_co_u32 v14, s3, v9, s14
	s_delay_alu instid0(VALU_DEP_1) | instskip(SKIP_1) | instid1(VALU_DEP_2)
	v_add_co_ci_u32_e64 v15, s3, s15, v10, s3
	v_mov_b32_e32 v11, 0
	v_cmp_gt_u64_e64 s3, s[12:13], v[14:15]
	v_mov_b32_e32 v14, 0
	s_delay_alu instid0(VALU_DEP_2)
	s_and_saveexec_b32 s5, s3
	s_cbranch_execz .LBB144_10
; %bb.9:                                ;   in Loop: Header=BB144_4 Depth=1
	v_add_co_u32 v14, s4, v1, s20
	s_delay_alu instid0(VALU_DEP_1)
	v_add_co_ci_u32_e64 v15, s4, 0, v2, s4
	global_load_b32 v14, v[14:15], off
.LBB144_10:                             ;   in Loop: Header=BB144_4 Depth=1
	s_or_b32 exec_lo, exec_lo, s5
	v_add_co_u32 v15, s4, v7, s14
	s_delay_alu instid0(VALU_DEP_1) | instskip(NEXT) | instid1(VALU_DEP_1)
	v_add_co_ci_u32_e64 v16, s4, s15, v8, s4
	v_cmp_gt_u64_e64 s4, s[12:13], v[15:16]
	s_delay_alu instid0(VALU_DEP_1)
	s_and_saveexec_b32 s21, s4
	s_cbranch_execnz .LBB144_15
; %bb.11:                               ;   in Loop: Header=BB144_4 Depth=1
	s_or_b32 exec_lo, exec_lo, s21
	s_and_saveexec_b32 s21, vcc_lo
	s_cbranch_execnz .LBB144_16
.LBB144_12:                             ;   in Loop: Header=BB144_4 Depth=1
	s_or_b32 exec_lo, exec_lo, s21
	s_and_saveexec_b32 s5, s2
	s_cbranch_execnz .LBB144_17
.LBB144_13:                             ;   in Loop: Header=BB144_4 Depth=1
	s_or_b32 exec_lo, exec_lo, s5
	s_and_saveexec_b32 s5, s3
	s_cbranch_execnz .LBB144_18
.LBB144_14:                             ;   in Loop: Header=BB144_4 Depth=1
	s_or_b32 exec_lo, exec_lo, s5
	s_and_saveexec_b32 s3, s4
	s_cbranch_execz .LBB144_3
	s_branch .LBB144_19
.LBB144_15:                             ;   in Loop: Header=BB144_4 Depth=1
	v_add_co_u32 v15, s5, v1, s19
	s_delay_alu instid0(VALU_DEP_1)
	v_add_co_ci_u32_e64 v16, s5, 0, v2, s5
	global_load_b32 v11, v[15:16], off
	s_or_b32 exec_lo, exec_lo, s21
	s_and_saveexec_b32 s21, vcc_lo
	s_cbranch_execz .LBB144_12
.LBB144_16:                             ;   in Loop: Header=BB144_4 Depth=1
	s_waitcnt vmcnt(0)
	v_cmp_u_f32_e32 vcc_lo, v12, v12
	v_cmp_lt_f32_e64 s5, s16, v12
	s_delay_alu instid0(VALU_DEP_1)
	s_or_b32 vcc_lo, vcc_lo, s5
	v_cndmask_b32_e32 v12, s16, v12, vcc_lo
	global_store_b32 v[1:2], v12, off
	s_or_b32 exec_lo, exec_lo, s21
	s_and_saveexec_b32 s5, s2
	s_cbranch_execz .LBB144_13
.LBB144_17:                             ;   in Loop: Header=BB144_4 Depth=1
	s_waitcnt vmcnt(0)
	v_cmp_u_f32_e32 vcc_lo, v13, v13
	v_cmp_lt_f32_e64 s2, s16, v13
	s_delay_alu instid0(VALU_DEP_1)
	s_or_b32 vcc_lo, vcc_lo, s2
	v_cndmask_b32_e32 v12, s16, v13, vcc_lo
	global_store_b32 v[3:4], v12, off
	s_or_b32 exec_lo, exec_lo, s5
	s_and_saveexec_b32 s5, s3
	s_cbranch_execz .LBB144_14
.LBB144_18:                             ;   in Loop: Header=BB144_4 Depth=1
	s_waitcnt vmcnt(0)
	v_cmp_u_f32_e32 vcc_lo, v14, v14
	v_cmp_lt_f32_e64 s2, s16, v14
	s_delay_alu instid0(VALU_DEP_1)
	s_or_b32 vcc_lo, vcc_lo, s2
	v_cndmask_b32_e32 v14, s16, v14, vcc_lo
	v_add_co_u32 v12, vcc_lo, v1, s20
	v_add_co_ci_u32_e32 v13, vcc_lo, 0, v2, vcc_lo
	global_store_b32 v[12:13], v14, off
	s_or_b32 exec_lo, exec_lo, s5
	s_and_saveexec_b32 s3, s4
	s_cbranch_execz .LBB144_3
.LBB144_19:                             ;   in Loop: Header=BB144_4 Depth=1
	s_waitcnt vmcnt(0)
	v_cmp_u_f32_e32 vcc_lo, v11, v11
	v_cmp_lt_f32_e64 s2, s16, v11
	s_delay_alu instid0(VALU_DEP_1)
	s_or_b32 vcc_lo, vcc_lo, s2
	v_cndmask_b32_e32 v13, s16, v11, vcc_lo
	v_add_co_u32 v11, vcc_lo, v1, s19
	v_add_co_ci_u32_e32 v12, vcc_lo, 0, v2, vcc_lo
	global_store_b32 v[11:12], v13, off
	s_branch .LBB144_3
.LBB144_20:
	s_cbranch_execz .LBB144_22
	s_branch .LBB144_25
.LBB144_21:
.LBB144_22:
	v_dual_mov_b32 v2, 0 :: v_dual_lshlrev_b32 v1, 2, v0
	s_mov_b32 s12, 0
	s_mov_b32 s2, exec_lo
	s_delay_alu instid0(VALU_DEP_1)
	v_cmpx_gt_i64_e64 s[10:11], v[1:2]
	s_cbranch_execz .LBB144_25
; %bb.23:
	s_load_b32 s0, s[0:1], 0xdd4
	v_lshlrev_b32_e32 v1, 4, v0
	s_waitcnt lgkmcnt(0)
	s_and_b32 s0, s0, 0xffff
	s_delay_alu instid0(SALU_CYCLE_1) | instskip(SKIP_3) | instid1(VALU_DEP_1)
	s_lshl_b32 s13, s0, 2
	s_add_u32 s1, s6, s8
	s_addc_u32 s2, s7, s9
	v_add_co_u32 v3, s1, s1, v1
	v_add_co_ci_u32_e64 v4, null, s2, 0, s1
	v_add_lshl_u32 v1, v0, s0, 2
	s_delay_alu instid0(VALU_DEP_3) | instskip(NEXT) | instid1(VALU_DEP_3)
	v_add_co_u32 v3, vcc_lo, v3, 8
	v_add_co_ci_u32_e32 v4, vcc_lo, 0, v4, vcc_lo
	s_lshl_b32 s9, s0, 4
	s_set_inst_prefetch_distance 0x1
	.p2align	6
.LBB144_24:                             ; =>This Inner Loop Header: Depth=1
	global_load_b128 v[5:8], v[3:4], off offset:-8
	v_cmp_le_i64_e32 vcc_lo, s[10:11], v[1:2]
	v_cmp_lt_u64_e64 s0, 0xffff, v[1:2]
	s_delay_alu instid0(VALU_DEP_1)
	s_or_b32 s0, vcc_lo, s0
	s_waitcnt vmcnt(0)
	v_cmp_u_f32_e64 s1, v5, v5
	v_cmp_lt_f32_e64 s2, s16, v5
	v_cmp_u_f32_e64 s3, v6, v6
	v_cmp_lt_f32_e64 s4, s16, v6
	;; [unrolled: 2-line block ×3, first 2 shown]
	s_or_b32 s1, s1, s2
	v_cmp_u_f32_e64 s7, v8, v8
	v_cmp_lt_f32_e64 s8, s16, v8
	v_cndmask_b32_e64 v5, s16, v5, s1
	s_or_b32 s1, s3, s4
	s_delay_alu instid0(SALU_CYCLE_1) | instskip(SKIP_1) | instid1(SALU_CYCLE_1)
	v_cndmask_b32_e64 v6, s16, v6, s1
	s_or_b32 s1, s5, s6
	v_cndmask_b32_e64 v7, s16, v7, s1
	s_or_b32 s1, s7, s8
	s_and_b32 s0, exec_lo, s0
	v_cndmask_b32_e64 v8, s16, v8, s1
	v_add_co_u32 v1, s1, v1, s13
	s_delay_alu instid0(VALU_DEP_1) | instskip(SKIP_4) | instid1(SALU_CYCLE_1)
	v_add_co_ci_u32_e64 v2, s1, 0, v2, s1
	global_store_b128 v[3:4], v[5:8], off offset:-8
	v_add_co_u32 v3, vcc_lo, v3, s9
	v_add_co_ci_u32_e32 v4, vcc_lo, 0, v4, vcc_lo
	s_or_b32 s12, s0, s12
	s_and_not1_b32 exec_lo, exec_lo, s12
	s_cbranch_execnz .LBB144_24
.LBB144_25:
	s_set_inst_prefetch_distance 0x2
	s_nop 0
	s_sendmsg sendmsg(MSG_DEALLOC_VGPRS)
	s_endpgm
	.section	.rodata,"a",@progbits
	.p2align	6, 0x0
	.amdhsa_kernel _ZN2at6native12_GLOBAL__N_125multi_tensor_apply_kernelINS1_28TensorListScalarListMetadataIfLi1EEENS1_25BinaryOpScalarListFunctorIfLi1ELi1ELi0EEEJNS0_7maximumIfEEEEEvT_T0_DpT1_
		.amdhsa_group_segment_fixed_size 0
		.amdhsa_private_segment_fixed_size 0
		.amdhsa_kernarg_size 3784
		.amdhsa_user_sgpr_count 15
		.amdhsa_user_sgpr_dispatch_ptr 0
		.amdhsa_user_sgpr_queue_ptr 0
		.amdhsa_user_sgpr_kernarg_segment_ptr 1
		.amdhsa_user_sgpr_dispatch_id 0
		.amdhsa_user_sgpr_private_segment_size 0
		.amdhsa_wavefront_size32 1
		.amdhsa_uses_dynamic_stack 0
		.amdhsa_enable_private_segment 0
		.amdhsa_system_sgpr_workgroup_id_x 1
		.amdhsa_system_sgpr_workgroup_id_y 0
		.amdhsa_system_sgpr_workgroup_id_z 0
		.amdhsa_system_sgpr_workgroup_info 0
		.amdhsa_system_vgpr_workitem_id 0
		.amdhsa_next_free_vgpr 17
		.amdhsa_next_free_sgpr 22
		.amdhsa_reserve_vcc 1
		.amdhsa_float_round_mode_32 0
		.amdhsa_float_round_mode_16_64 0
		.amdhsa_float_denorm_mode_32 3
		.amdhsa_float_denorm_mode_16_64 3
		.amdhsa_dx10_clamp 1
		.amdhsa_ieee_mode 1
		.amdhsa_fp16_overflow 0
		.amdhsa_workgroup_processor_mode 1
		.amdhsa_memory_ordered 1
		.amdhsa_forward_progress 0
		.amdhsa_shared_vgpr_count 0
		.amdhsa_exception_fp_ieee_invalid_op 0
		.amdhsa_exception_fp_denorm_src 0
		.amdhsa_exception_fp_ieee_div_zero 0
		.amdhsa_exception_fp_ieee_overflow 0
		.amdhsa_exception_fp_ieee_underflow 0
		.amdhsa_exception_fp_ieee_inexact 0
		.amdhsa_exception_int_div_zero 0
	.end_amdhsa_kernel
	.section	.text._ZN2at6native12_GLOBAL__N_125multi_tensor_apply_kernelINS1_28TensorListScalarListMetadataIfLi1EEENS1_25BinaryOpScalarListFunctorIfLi1ELi1ELi0EEEJNS0_7maximumIfEEEEEvT_T0_DpT1_,"axG",@progbits,_ZN2at6native12_GLOBAL__N_125multi_tensor_apply_kernelINS1_28TensorListScalarListMetadataIfLi1EEENS1_25BinaryOpScalarListFunctorIfLi1ELi1ELi0EEEJNS0_7maximumIfEEEEEvT_T0_DpT1_,comdat
.Lfunc_end144:
	.size	_ZN2at6native12_GLOBAL__N_125multi_tensor_apply_kernelINS1_28TensorListScalarListMetadataIfLi1EEENS1_25BinaryOpScalarListFunctorIfLi1ELi1ELi0EEEJNS0_7maximumIfEEEEEvT_T0_DpT1_, .Lfunc_end144-_ZN2at6native12_GLOBAL__N_125multi_tensor_apply_kernelINS1_28TensorListScalarListMetadataIfLi1EEENS1_25BinaryOpScalarListFunctorIfLi1ELi1ELi0EEEJNS0_7maximumIfEEEEEvT_T0_DpT1_
                                        ; -- End function
	.section	.AMDGPU.csdata,"",@progbits
; Kernel info:
; codeLenInByte = 1340
; NumSgprs: 24
; NumVgprs: 17
; ScratchSize: 0
; MemoryBound: 0
; FloatMode: 240
; IeeeMode: 1
; LDSByteSize: 0 bytes/workgroup (compile time only)
; SGPRBlocks: 2
; VGPRBlocks: 2
; NumSGPRsForWavesPerEU: 24
; NumVGPRsForWavesPerEU: 17
; Occupancy: 16
; WaveLimiterHint : 0
; COMPUTE_PGM_RSRC2:SCRATCH_EN: 0
; COMPUTE_PGM_RSRC2:USER_SGPR: 15
; COMPUTE_PGM_RSRC2:TRAP_HANDLER: 0
; COMPUTE_PGM_RSRC2:TGID_X_EN: 1
; COMPUTE_PGM_RSRC2:TGID_Y_EN: 0
; COMPUTE_PGM_RSRC2:TGID_Z_EN: 0
; COMPUTE_PGM_RSRC2:TIDIG_COMP_CNT: 0
	.section	.text._ZN2at6native12_GLOBAL__N_125multi_tensor_apply_kernelINS1_28TensorListScalarListMetadataIfLi1EEENS1_25BinaryOpScalarListFunctorIN3c104HalfELi1ELi1ELi0EEEJNS0_7maximumIfEEEEEvT_T0_DpT1_,"axG",@progbits,_ZN2at6native12_GLOBAL__N_125multi_tensor_apply_kernelINS1_28TensorListScalarListMetadataIfLi1EEENS1_25BinaryOpScalarListFunctorIN3c104HalfELi1ELi1ELi0EEEJNS0_7maximumIfEEEEEvT_T0_DpT1_,comdat
	.globl	_ZN2at6native12_GLOBAL__N_125multi_tensor_apply_kernelINS1_28TensorListScalarListMetadataIfLi1EEENS1_25BinaryOpScalarListFunctorIN3c104HalfELi1ELi1ELi0EEEJNS0_7maximumIfEEEEEvT_T0_DpT1_ ; -- Begin function _ZN2at6native12_GLOBAL__N_125multi_tensor_apply_kernelINS1_28TensorListScalarListMetadataIfLi1EEENS1_25BinaryOpScalarListFunctorIN3c104HalfELi1ELi1ELi0EEEJNS0_7maximumIfEEEEEvT_T0_DpT1_
	.p2align	8
	.type	_ZN2at6native12_GLOBAL__N_125multi_tensor_apply_kernelINS1_28TensorListScalarListMetadataIfLi1EEENS1_25BinaryOpScalarListFunctorIN3c104HalfELi1ELi1ELi0EEEJNS0_7maximumIfEEEEEvT_T0_DpT1_,@function
_ZN2at6native12_GLOBAL__N_125multi_tensor_apply_kernelINS1_28TensorListScalarListMetadataIfLi1EEENS1_25BinaryOpScalarListFunctorIN3c104HalfELi1ELi1ELi0EEEJNS0_7maximumIfEEEEEvT_T0_DpT1_: ; @_ZN2at6native12_GLOBAL__N_125multi_tensor_apply_kernelINS1_28TensorListScalarListMetadataIfLi1EEENS1_25BinaryOpScalarListFunctorIN3c104HalfELi1ELi1ELi0EEEJNS0_7maximumIfEEEEEvT_T0_DpT1_
; %bb.0:
	v_mov_b32_e32 v1, s15
	s_add_u32 s2, s0, s15
	s_mul_i32 s3, s15, 3
	s_mul_hi_u32 s4, s15, 3
	s_addc_u32 s5, s1, 0
	global_load_u8 v1, v1, s[0:1] offset:1920
	s_add_u32 s2, s2, s3
	s_addc_u32 s3, s5, s4
	s_load_b32 s2, s[2:3], 0x8c0
	s_waitcnt vmcnt(0)
	v_readfirstlane_b32 s3, v1
	v_lshlrev_b32_e32 v1, 2, v1
	s_delay_alu instid0(VALU_DEP_2)
	s_lshl_b32 s8, s3, 3
	s_waitcnt lgkmcnt(0)
	s_ashr_i32 s3, s2, 31
	s_clause 0x1
	s_load_b64 s[4:5], s[0:1], s8 offset:0x300
	s_load_b64 s[6:7], s[0:1], s8 offset:0x0
	s_add_u32 s8, s0, s8
	s_addc_u32 s9, s1, 0
	v_sub_co_u32 v1, s8, s8, v1
	s_delay_alu instid0(VALU_DEP_1) | instskip(SKIP_1) | instid1(VALU_DEP_2)
	v_sub_co_ci_u32_e64 v2, null, s9, 0, s8
	s_lshl_b64 s[10:11], s[2:3], 17
	v_readfirstlane_b32 s8, v1
	s_lshl_b64 s[2:3], s[2:3], 16
	s_delay_alu instid0(VALU_DEP_2)
	v_readfirstlane_b32 s9, v2
	s_load_b32 s16, s[8:9], 0x600
	s_waitcnt lgkmcnt(0)
	s_and_b32 s12, s6, 7
	s_sub_u32 s8, s4, s2
	s_subb_u32 s9, s5, s3
	s_and_b32 s2, s4, 3
	s_mov_b32 s3, 0
	s_or_b32 s2, s12, s2
	s_delay_alu instid0(SALU_CYCLE_1)
	s_cmp_eq_u64 s[2:3], 0
	s_cbranch_scc1 .LBB145_21
; %bb.1:
	v_cmp_lt_i64_e64 s2, s[8:9], 1
	s_delay_alu instid0(VALU_DEP_1)
	s_and_b32 vcc_lo, exec_lo, s2
	s_cbranch_vccnz .LBB145_20
; %bb.2:
	s_load_b32 s2, s[0:1], 0xdd4
	v_cmp_gt_u64_e64 s3, 0x10000, s[8:9]
	v_lshlrev_b32_e32 v1, 1, v0
	v_cvt_f16_f32_e32 v5, s16
	s_waitcnt lgkmcnt(0)
	s_and_b32 s2, s2, 0xffff
	s_delay_alu instid0(VALU_DEP_3)
	s_and_b32 s3, s3, exec_lo
	v_add_co_u32 v6, s5, v0, s2
	s_cselect_b32 s13, s9, 0
	s_cselect_b32 s12, s8, 0x10000
	s_lshl_b32 s3, s2, 1
	s_lshl_b32 s17, s2, 2
	v_lshlrev_b32_e32 v3, 1, v6
	v_add_co_ci_u32_e64 v7, null, 0, 0, s5
	s_add_u32 s5, s6, s10
	v_add_co_u32 v10, s3, s3, v0
	s_mul_i32 s4, s2, 3
	s_addc_u32 s14, s7, s11
	v_add_co_ci_u32_e64 v11, null, 0, 0, s3
	v_add_co_u32 v1, s3, s5, v1
	v_add_co_u32 v8, s4, s4, v0
	v_add_co_ci_u32_e64 v2, null, s14, 0, s3
	v_add_co_u32 v3, s3, s5, v3
	v_add_co_ci_u32_e64 v9, null, 0, 0, s4
	v_add_co_ci_u32_e64 v4, null, s14, 0, s3
	s_lshl_b32 s18, s2, 3
	s_mul_i32 s19, s2, 6
	s_mov_b64 s[14:15], 0
	s_branch .LBB145_4
.LBB145_3:                              ;   in Loop: Header=BB145_4 Depth=1
	s_or_b32 exec_lo, exec_lo, s3
	s_add_u32 s14, s14, s17
	s_addc_u32 s15, s15, 0
	v_add_co_u32 v1, vcc_lo, v1, s18
	v_cmp_lt_i64_e64 s2, s[14:15], s[8:9]
	v_cmp_gt_u64_e64 s3, 0x10000, s[14:15]
	v_add_co_ci_u32_e32 v2, vcc_lo, 0, v2, vcc_lo
	v_add_co_u32 v3, vcc_lo, v3, s18
	v_add_co_ci_u32_e32 v4, vcc_lo, 0, v4, vcc_lo
	s_delay_alu instid0(VALU_DEP_4) | instskip(NEXT) | instid1(SALU_CYCLE_1)
	s_and_b32 s2, s2, s3
	s_and_b32 vcc_lo, exec_lo, s2
	s_cbranch_vccz .LBB145_20
.LBB145_4:                              ; =>This Inner Loop Header: Depth=1
	s_waitcnt vmcnt(0)
	v_add_co_u32 v12, s2, v0, s14
	s_delay_alu instid0(VALU_DEP_1) | instskip(NEXT) | instid1(VALU_DEP_1)
	v_add_co_ci_u32_e64 v13, null, 0, s15, s2
	v_cmp_gt_u64_e32 vcc_lo, s[12:13], v[12:13]
	v_mov_b32_e32 v13, 0
	s_and_saveexec_b32 s2, vcc_lo
	s_cbranch_execz .LBB145_6
; %bb.5:                                ;   in Loop: Header=BB145_4 Depth=1
	global_load_u16 v13, v[1:2], off
.LBB145_6:                              ;   in Loop: Header=BB145_4 Depth=1
	s_or_b32 exec_lo, exec_lo, s2
	v_add_co_u32 v14, s2, v6, s14
	s_delay_alu instid0(VALU_DEP_1) | instskip(NEXT) | instid1(VALU_DEP_1)
	v_add_co_ci_u32_e64 v15, s2, s15, v7, s2
	v_cmp_gt_u64_e64 s2, s[12:13], v[14:15]
	v_mov_b32_e32 v14, 0
	s_delay_alu instid0(VALU_DEP_2)
	s_and_saveexec_b32 s3, s2
	s_cbranch_execz .LBB145_8
; %bb.7:                                ;   in Loop: Header=BB145_4 Depth=1
	global_load_u16 v14, v[3:4], off
.LBB145_8:                              ;   in Loop: Header=BB145_4 Depth=1
	s_or_b32 exec_lo, exec_lo, s3
	v_add_co_u32 v15, s3, v10, s14
	s_delay_alu instid0(VALU_DEP_1) | instskip(SKIP_1) | instid1(VALU_DEP_2)
	v_add_co_ci_u32_e64 v16, s3, s15, v11, s3
	v_mov_b32_e32 v12, 0
	v_cmp_gt_u64_e64 s3, s[12:13], v[15:16]
	v_mov_b32_e32 v15, 0
	s_delay_alu instid0(VALU_DEP_2)
	s_and_saveexec_b32 s5, s3
	s_cbranch_execz .LBB145_10
; %bb.9:                                ;   in Loop: Header=BB145_4 Depth=1
	v_add_co_u32 v15, s4, v1, s17
	s_delay_alu instid0(VALU_DEP_1)
	v_add_co_ci_u32_e64 v16, s4, 0, v2, s4
	global_load_u16 v15, v[15:16], off
.LBB145_10:                             ;   in Loop: Header=BB145_4 Depth=1
	s_or_b32 exec_lo, exec_lo, s5
	v_add_co_u32 v16, s4, v8, s14
	s_delay_alu instid0(VALU_DEP_1) | instskip(NEXT) | instid1(VALU_DEP_1)
	v_add_co_ci_u32_e64 v17, s4, s15, v9, s4
	v_cmp_gt_u64_e64 s4, s[12:13], v[16:17]
	s_delay_alu instid0(VALU_DEP_1)
	s_and_saveexec_b32 s20, s4
	s_cbranch_execnz .LBB145_15
; %bb.11:                               ;   in Loop: Header=BB145_4 Depth=1
	s_or_b32 exec_lo, exec_lo, s20
	s_and_saveexec_b32 s20, vcc_lo
	s_cbranch_execnz .LBB145_16
.LBB145_12:                             ;   in Loop: Header=BB145_4 Depth=1
	s_or_b32 exec_lo, exec_lo, s20
	s_and_saveexec_b32 s5, s2
	s_cbranch_execnz .LBB145_17
.LBB145_13:                             ;   in Loop: Header=BB145_4 Depth=1
	s_or_b32 exec_lo, exec_lo, s5
	s_and_saveexec_b32 s5, s3
	s_cbranch_execnz .LBB145_18
.LBB145_14:                             ;   in Loop: Header=BB145_4 Depth=1
	s_or_b32 exec_lo, exec_lo, s5
	s_and_saveexec_b32 s3, s4
	s_cbranch_execz .LBB145_3
	s_branch .LBB145_19
.LBB145_15:                             ;   in Loop: Header=BB145_4 Depth=1
	v_add_co_u32 v16, s5, v1, s19
	s_delay_alu instid0(VALU_DEP_1)
	v_add_co_ci_u32_e64 v17, s5, 0, v2, s5
	global_load_u16 v12, v[16:17], off
	s_or_b32 exec_lo, exec_lo, s20
	s_and_saveexec_b32 s20, vcc_lo
	s_cbranch_execz .LBB145_12
.LBB145_16:                             ;   in Loop: Header=BB145_4 Depth=1
	s_waitcnt vmcnt(0)
	v_cvt_f32_f16_e32 v16, v13
	v_cmp_u_f16_e32 vcc_lo, v13, v13
	s_delay_alu instid0(VALU_DEP_2) | instskip(NEXT) | instid1(VALU_DEP_1)
	v_cmp_lt_f32_e64 s5, s16, v16
	s_or_b32 vcc_lo, vcc_lo, s5
	v_cndmask_b32_e32 v13, v5, v13, vcc_lo
	global_store_b16 v[1:2], v13, off
	s_or_b32 exec_lo, exec_lo, s20
	s_and_saveexec_b32 s5, s2
	s_cbranch_execz .LBB145_13
.LBB145_17:                             ;   in Loop: Header=BB145_4 Depth=1
	s_waitcnt vmcnt(0)
	v_cvt_f32_f16_e32 v13, v14
	v_cmp_u_f16_e32 vcc_lo, v14, v14
	s_delay_alu instid0(VALU_DEP_2) | instskip(NEXT) | instid1(VALU_DEP_1)
	v_cmp_lt_f32_e64 s2, s16, v13
	s_or_b32 vcc_lo, vcc_lo, s2
	v_cndmask_b32_e32 v13, v5, v14, vcc_lo
	global_store_b16 v[3:4], v13, off
	s_or_b32 exec_lo, exec_lo, s5
	s_and_saveexec_b32 s5, s3
	s_cbranch_execz .LBB145_14
.LBB145_18:                             ;   in Loop: Header=BB145_4 Depth=1
	s_waitcnt vmcnt(0)
	v_cvt_f32_f16_e32 v13, v15
	v_cmp_u_f16_e32 vcc_lo, v15, v15
	s_delay_alu instid0(VALU_DEP_2) | instskip(NEXT) | instid1(VALU_DEP_1)
	v_cmp_lt_f32_e64 s2, s16, v13
	s_or_b32 vcc_lo, vcc_lo, s2
	v_cndmask_b32_e32 v15, v5, v15, vcc_lo
	v_add_co_u32 v13, vcc_lo, v1, s17
	v_add_co_ci_u32_e32 v14, vcc_lo, 0, v2, vcc_lo
	global_store_b16 v[13:14], v15, off
	s_or_b32 exec_lo, exec_lo, s5
	s_and_saveexec_b32 s3, s4
	s_cbranch_execz .LBB145_3
.LBB145_19:                             ;   in Loop: Header=BB145_4 Depth=1
	s_waitcnt vmcnt(0)
	v_cvt_f32_f16_e32 v13, v12
	v_cmp_u_f16_e32 vcc_lo, v12, v12
	s_delay_alu instid0(VALU_DEP_2) | instskip(NEXT) | instid1(VALU_DEP_1)
	v_cmp_lt_f32_e64 s2, s16, v13
	s_or_b32 vcc_lo, vcc_lo, s2
	v_cndmask_b32_e32 v14, v5, v12, vcc_lo
	v_add_co_u32 v12, vcc_lo, v1, s19
	v_add_co_ci_u32_e32 v13, vcc_lo, 0, v2, vcc_lo
	global_store_b16 v[12:13], v14, off
	s_branch .LBB145_3
.LBB145_20:
	s_cbranch_execz .LBB145_22
	s_branch .LBB145_25
.LBB145_21:
.LBB145_22:
	v_dual_mov_b32 v2, 0 :: v_dual_lshlrev_b32 v1, 2, v0
	s_mov_b32 s12, 0
	s_mov_b32 s2, exec_lo
	s_delay_alu instid0(VALU_DEP_1)
	v_cmpx_gt_i64_e64 s[8:9], v[1:2]
	s_cbranch_execz .LBB145_25
; %bb.23:
	s_load_b32 s0, s[0:1], 0xdd4
	v_lshlrev_b32_e32 v3, 3, v0
	v_cvt_f16_f32_e32 v1, s16
	s_delay_alu instid0(VALU_DEP_1)
	v_pack_b32_f16 v5, v1, v1
	s_waitcnt lgkmcnt(0)
	s_and_b32 s0, s0, 0xffff
	s_add_u32 s1, s6, s10
	s_addc_u32 s2, s7, s11
	v_add_co_u32 v3, s1, s1, v3
	s_delay_alu instid0(VALU_DEP_1) | instskip(SKIP_1) | instid1(VALU_DEP_3)
	v_add_co_ci_u32_e64 v4, null, s2, 0, s1
	v_add_lshl_u32 v1, v0, s0, 2
	v_add_co_u32 v3, vcc_lo, v3, 4
	s_delay_alu instid0(VALU_DEP_3)
	v_add_co_ci_u32_e32 v4, vcc_lo, 0, v4, vcc_lo
	v_lshrrev_b32_e32 v0, 16, v5
	s_mov_b32 s7, s16
	s_lshl_b32 s10, s0, 3
	s_lshl_b32 s11, s0, 2
.LBB145_24:                             ; =>This Inner Loop Header: Depth=1
	global_load_b64 v[6:7], v[3:4], off offset:-4
	s_waitcnt vmcnt(0)
	v_lshrrev_b32_e32 v10, 16, v7
	v_cvt_f32_f16_e32 v9, v6
	v_lshrrev_b32_e32 v8, 16, v6
	v_cvt_f32_f16_e32 v11, v7
	v_cmp_u_f16_e32 vcc_lo, v6, v6
	v_cvt_f32_f16_e32 v13, v10
	v_cmp_lt_f32_e64 s2, s16, v9
	v_cvt_f32_f16_e32 v12, v8
	v_cmp_u_f16_e64 s0, v7, v7
	v_cmp_lt_f32_e64 s4, s16, v11
	v_cmp_u_f16_e64 s3, v10, v10
	v_cmp_lt_f32_e64 s6, s7, v13
	s_or_b32 vcc_lo, vcc_lo, s2
	v_cmp_u_f16_e64 s1, v8, v8
	v_cmp_lt_f32_e64 s5, s7, v12
	v_cndmask_b32_e32 v6, v5, v6, vcc_lo
	s_or_b32 vcc_lo, s0, s4
	v_cmp_lt_u64_e64 s0, 0xffff, v[1:2]
	v_cndmask_b32_e32 v7, v5, v7, vcc_lo
	s_or_b32 vcc_lo, s3, s6
	v_cndmask_b32_e32 v9, v0, v10, vcc_lo
	s_or_b32 vcc_lo, s1, s5
	v_cndmask_b32_e32 v8, v0, v8, vcc_lo
	v_cmp_le_i64_e32 vcc_lo, s[8:9], v[1:2]
	s_delay_alu instid0(VALU_DEP_3) | instskip(SKIP_1) | instid1(VALU_DEP_4)
	v_perm_b32 v7, v9, v7, 0x5040100
	v_add_co_u32 v1, s1, v1, s11
	v_perm_b32 v6, v8, v6, 0x5040100
	v_add_co_ci_u32_e64 v2, s1, 0, v2, s1
	s_or_b32 s0, vcc_lo, s0
	global_store_b64 v[3:4], v[6:7], off offset:-4
	v_add_co_u32 v3, vcc_lo, v3, s10
	v_add_co_ci_u32_e32 v4, vcc_lo, 0, v4, vcc_lo
	s_and_b32 s0, exec_lo, s0
	s_delay_alu instid0(SALU_CYCLE_1) | instskip(NEXT) | instid1(SALU_CYCLE_1)
	s_or_b32 s12, s0, s12
	s_and_not1_b32 exec_lo, exec_lo, s12
	s_cbranch_execnz .LBB145_24
.LBB145_25:
	s_nop 0
	s_sendmsg sendmsg(MSG_DEALLOC_VGPRS)
	s_endpgm
	.section	.rodata,"a",@progbits
	.p2align	6, 0x0
	.amdhsa_kernel _ZN2at6native12_GLOBAL__N_125multi_tensor_apply_kernelINS1_28TensorListScalarListMetadataIfLi1EEENS1_25BinaryOpScalarListFunctorIN3c104HalfELi1ELi1ELi0EEEJNS0_7maximumIfEEEEEvT_T0_DpT1_
		.amdhsa_group_segment_fixed_size 0
		.amdhsa_private_segment_fixed_size 0
		.amdhsa_kernarg_size 3784
		.amdhsa_user_sgpr_count 15
		.amdhsa_user_sgpr_dispatch_ptr 0
		.amdhsa_user_sgpr_queue_ptr 0
		.amdhsa_user_sgpr_kernarg_segment_ptr 1
		.amdhsa_user_sgpr_dispatch_id 0
		.amdhsa_user_sgpr_private_segment_size 0
		.amdhsa_wavefront_size32 1
		.amdhsa_uses_dynamic_stack 0
		.amdhsa_enable_private_segment 0
		.amdhsa_system_sgpr_workgroup_id_x 1
		.amdhsa_system_sgpr_workgroup_id_y 0
		.amdhsa_system_sgpr_workgroup_id_z 0
		.amdhsa_system_sgpr_workgroup_info 0
		.amdhsa_system_vgpr_workitem_id 0
		.amdhsa_next_free_vgpr 18
		.amdhsa_next_free_sgpr 21
		.amdhsa_reserve_vcc 1
		.amdhsa_float_round_mode_32 0
		.amdhsa_float_round_mode_16_64 0
		.amdhsa_float_denorm_mode_32 3
		.amdhsa_float_denorm_mode_16_64 3
		.amdhsa_dx10_clamp 1
		.amdhsa_ieee_mode 1
		.amdhsa_fp16_overflow 0
		.amdhsa_workgroup_processor_mode 1
		.amdhsa_memory_ordered 1
		.amdhsa_forward_progress 0
		.amdhsa_shared_vgpr_count 0
		.amdhsa_exception_fp_ieee_invalid_op 0
		.amdhsa_exception_fp_denorm_src 0
		.amdhsa_exception_fp_ieee_div_zero 0
		.amdhsa_exception_fp_ieee_overflow 0
		.amdhsa_exception_fp_ieee_underflow 0
		.amdhsa_exception_fp_ieee_inexact 0
		.amdhsa_exception_int_div_zero 0
	.end_amdhsa_kernel
	.section	.text._ZN2at6native12_GLOBAL__N_125multi_tensor_apply_kernelINS1_28TensorListScalarListMetadataIfLi1EEENS1_25BinaryOpScalarListFunctorIN3c104HalfELi1ELi1ELi0EEEJNS0_7maximumIfEEEEEvT_T0_DpT1_,"axG",@progbits,_ZN2at6native12_GLOBAL__N_125multi_tensor_apply_kernelINS1_28TensorListScalarListMetadataIfLi1EEENS1_25BinaryOpScalarListFunctorIN3c104HalfELi1ELi1ELi0EEEJNS0_7maximumIfEEEEEvT_T0_DpT1_,comdat
.Lfunc_end145:
	.size	_ZN2at6native12_GLOBAL__N_125multi_tensor_apply_kernelINS1_28TensorListScalarListMetadataIfLi1EEENS1_25BinaryOpScalarListFunctorIN3c104HalfELi1ELi1ELi0EEEJNS0_7maximumIfEEEEEvT_T0_DpT1_, .Lfunc_end145-_ZN2at6native12_GLOBAL__N_125multi_tensor_apply_kernelINS1_28TensorListScalarListMetadataIfLi1EEENS1_25BinaryOpScalarListFunctorIN3c104HalfELi1ELi1ELi0EEEJNS0_7maximumIfEEEEEvT_T0_DpT1_
                                        ; -- End function
	.section	.AMDGPU.csdata,"",@progbits
; Kernel info:
; codeLenInByte = 1396
; NumSgprs: 23
; NumVgprs: 18
; ScratchSize: 0
; MemoryBound: 0
; FloatMode: 240
; IeeeMode: 1
; LDSByteSize: 0 bytes/workgroup (compile time only)
; SGPRBlocks: 2
; VGPRBlocks: 2
; NumSGPRsForWavesPerEU: 23
; NumVGPRsForWavesPerEU: 18
; Occupancy: 16
; WaveLimiterHint : 0
; COMPUTE_PGM_RSRC2:SCRATCH_EN: 0
; COMPUTE_PGM_RSRC2:USER_SGPR: 15
; COMPUTE_PGM_RSRC2:TRAP_HANDLER: 0
; COMPUTE_PGM_RSRC2:TGID_X_EN: 1
; COMPUTE_PGM_RSRC2:TGID_Y_EN: 0
; COMPUTE_PGM_RSRC2:TGID_Z_EN: 0
; COMPUTE_PGM_RSRC2:TIDIG_COMP_CNT: 0
	.section	.text._ZN2at6native12_GLOBAL__N_125multi_tensor_apply_kernelINS1_28TensorListScalarListMetadataIfLi1EEENS1_25BinaryOpScalarListFunctorIN3c108BFloat16ELi1ELi1ELi0EEEJNS0_7maximumIfEEEEEvT_T0_DpT1_,"axG",@progbits,_ZN2at6native12_GLOBAL__N_125multi_tensor_apply_kernelINS1_28TensorListScalarListMetadataIfLi1EEENS1_25BinaryOpScalarListFunctorIN3c108BFloat16ELi1ELi1ELi0EEEJNS0_7maximumIfEEEEEvT_T0_DpT1_,comdat
	.globl	_ZN2at6native12_GLOBAL__N_125multi_tensor_apply_kernelINS1_28TensorListScalarListMetadataIfLi1EEENS1_25BinaryOpScalarListFunctorIN3c108BFloat16ELi1ELi1ELi0EEEJNS0_7maximumIfEEEEEvT_T0_DpT1_ ; -- Begin function _ZN2at6native12_GLOBAL__N_125multi_tensor_apply_kernelINS1_28TensorListScalarListMetadataIfLi1EEENS1_25BinaryOpScalarListFunctorIN3c108BFloat16ELi1ELi1ELi0EEEJNS0_7maximumIfEEEEEvT_T0_DpT1_
	.p2align	8
	.type	_ZN2at6native12_GLOBAL__N_125multi_tensor_apply_kernelINS1_28TensorListScalarListMetadataIfLi1EEENS1_25BinaryOpScalarListFunctorIN3c108BFloat16ELi1ELi1ELi0EEEJNS0_7maximumIfEEEEEvT_T0_DpT1_,@function
_ZN2at6native12_GLOBAL__N_125multi_tensor_apply_kernelINS1_28TensorListScalarListMetadataIfLi1EEENS1_25BinaryOpScalarListFunctorIN3c108BFloat16ELi1ELi1ELi0EEEJNS0_7maximumIfEEEEEvT_T0_DpT1_: ; @_ZN2at6native12_GLOBAL__N_125multi_tensor_apply_kernelINS1_28TensorListScalarListMetadataIfLi1EEENS1_25BinaryOpScalarListFunctorIN3c108BFloat16ELi1ELi1ELi0EEEJNS0_7maximumIfEEEEEvT_T0_DpT1_
; %bb.0:
	v_mov_b32_e32 v1, s15
	s_add_u32 s2, s0, s15
	s_mul_i32 s3, s15, 3
	s_mul_hi_u32 s4, s15, 3
	s_addc_u32 s5, s1, 0
	global_load_u8 v1, v1, s[0:1] offset:1920
	s_add_u32 s2, s2, s3
	s_addc_u32 s3, s5, s4
	s_load_b32 s2, s[2:3], 0x8c0
	s_waitcnt vmcnt(0)
	v_readfirstlane_b32 s3, v1
	v_lshlrev_b32_e32 v1, 2, v1
	s_delay_alu instid0(VALU_DEP_2)
	s_lshl_b32 s6, s3, 3
	s_waitcnt lgkmcnt(0)
	s_ashr_i32 s3, s2, 31
	s_clause 0x1
	s_load_b64 s[4:5], s[0:1], s6 offset:0x300
	s_load_b64 s[8:9], s[0:1], s6 offset:0x0
	s_add_u32 s6, s0, s6
	s_addc_u32 s7, s1, 0
	v_sub_co_u32 v1, s6, s6, v1
	s_delay_alu instid0(VALU_DEP_1) | instskip(SKIP_1) | instid1(VALU_DEP_2)
	v_sub_co_ci_u32_e64 v2, null, s7, 0, s6
	s_lshl_b64 s[10:11], s[2:3], 17
	v_readfirstlane_b32 s6, v1
	s_lshl_b64 s[2:3], s[2:3], 16
	s_delay_alu instid0(VALU_DEP_2)
	v_readfirstlane_b32 s7, v2
	s_load_b32 s16, s[6:7], 0x600
	s_waitcnt lgkmcnt(0)
	s_and_b32 s12, s8, 7
	s_sub_u32 s6, s4, s2
	s_subb_u32 s7, s5, s3
	s_and_b32 s2, s4, 3
	s_mov_b32 s3, 0
	s_or_b32 s2, s12, s2
	s_delay_alu instid0(SALU_CYCLE_1)
	s_cmp_eq_u64 s[2:3], 0
	s_cbranch_scc1 .LBB146_21
; %bb.1:
	v_cmp_lt_i64_e64 s2, s[6:7], 1
	s_delay_alu instid0(VALU_DEP_1)
	s_and_b32 vcc_lo, exec_lo, s2
	s_cbranch_vccnz .LBB146_20
; %bb.2:
	s_load_b32 s2, s[0:1], 0xdd4
	v_cmp_gt_u64_e64 s3, 0x10000, s[6:7]
	v_lshlrev_b32_e32 v1, 1, v0
	s_waitcnt lgkmcnt(0)
	s_and_b32 s2, s2, 0xffff
	s_delay_alu instid0(VALU_DEP_2)
	s_and_b32 s3, s3, exec_lo
	v_add_co_u32 v5, s5, v0, s2
	s_cselect_b32 s13, s7, 0
	s_cselect_b32 s12, s6, 0x10000
	s_lshl_b32 s3, s2, 1
	s_lshl_b32 s17, s2, 2
	v_lshlrev_b32_e32 v3, 1, v5
	v_add_co_ci_u32_e64 v6, null, 0, 0, s5
	s_add_u32 s5, s8, s10
	v_add_co_u32 v9, s3, s3, v0
	s_mul_i32 s4, s2, 3
	s_addc_u32 s14, s9, s11
	v_add_co_ci_u32_e64 v10, null, 0, 0, s3
	v_add_co_u32 v1, s3, s5, v1
	v_add_co_u32 v7, s4, s4, v0
	v_add_co_ci_u32_e64 v2, null, s14, 0, s3
	v_add_co_u32 v3, s3, s5, v3
	v_add_co_ci_u32_e64 v8, null, 0, 0, s4
	v_add_co_ci_u32_e64 v4, null, s14, 0, s3
	s_lshl_b32 s18, s2, 3
	s_mul_i32 s19, s2, 6
	s_mov_b64 s[14:15], 0
	s_branch .LBB146_4
.LBB146_3:                              ;   in Loop: Header=BB146_4 Depth=1
	s_or_b32 exec_lo, exec_lo, s3
	s_add_u32 s14, s14, s17
	s_addc_u32 s15, s15, 0
	v_add_co_u32 v1, vcc_lo, v1, s18
	v_cmp_lt_i64_e64 s2, s[14:15], s[6:7]
	v_cmp_gt_u64_e64 s3, 0x10000, s[14:15]
	v_add_co_ci_u32_e32 v2, vcc_lo, 0, v2, vcc_lo
	v_add_co_u32 v3, vcc_lo, v3, s18
	v_add_co_ci_u32_e32 v4, vcc_lo, 0, v4, vcc_lo
	s_delay_alu instid0(VALU_DEP_4) | instskip(NEXT) | instid1(SALU_CYCLE_1)
	s_and_b32 s2, s2, s3
	s_and_b32 vcc_lo, exec_lo, s2
	s_cbranch_vccz .LBB146_20
.LBB146_4:                              ; =>This Inner Loop Header: Depth=1
	s_waitcnt vmcnt(0)
	v_add_co_u32 v11, s2, v0, s14
	s_delay_alu instid0(VALU_DEP_1) | instskip(SKIP_1) | instid1(VALU_DEP_2)
	v_add_co_ci_u32_e64 v12, null, 0, s15, s2
	v_mov_b32_e32 v13, 0
	v_cmp_gt_u64_e64 s4, s[12:13], v[11:12]
	s_delay_alu instid0(VALU_DEP_1)
	s_and_saveexec_b32 s2, s4
	s_cbranch_execz .LBB146_6
; %bb.5:                                ;   in Loop: Header=BB146_4 Depth=1
	global_load_u16 v13, v[1:2], off
.LBB146_6:                              ;   in Loop: Header=BB146_4 Depth=1
	s_or_b32 exec_lo, exec_lo, s2
	v_add_co_u32 v11, vcc_lo, v5, s14
	v_add_co_ci_u32_e32 v12, vcc_lo, s15, v6, vcc_lo
	s_delay_alu instid0(VALU_DEP_1) | instskip(SKIP_1) | instid1(VALU_DEP_2)
	v_cmp_gt_u64_e64 s3, s[12:13], v[11:12]
	v_mov_b32_e32 v12, 0
	s_and_saveexec_b32 s2, s3
	s_cbranch_execz .LBB146_8
; %bb.7:                                ;   in Loop: Header=BB146_4 Depth=1
	global_load_u16 v12, v[3:4], off
.LBB146_8:                              ;   in Loop: Header=BB146_4 Depth=1
	s_or_b32 exec_lo, exec_lo, s2
	v_add_co_u32 v14, vcc_lo, v9, s14
	v_add_co_ci_u32_e32 v15, vcc_lo, s15, v10, vcc_lo
	v_mov_b32_e32 v11, 0
	s_delay_alu instid0(VALU_DEP_2) | instskip(SKIP_1) | instid1(VALU_DEP_2)
	v_cmp_gt_u64_e64 s2, s[12:13], v[14:15]
	v_mov_b32_e32 v14, 0
	s_and_saveexec_b32 s5, s2
	s_cbranch_execz .LBB146_10
; %bb.9:                                ;   in Loop: Header=BB146_4 Depth=1
	v_add_co_u32 v14, vcc_lo, v1, s17
	v_add_co_ci_u32_e32 v15, vcc_lo, 0, v2, vcc_lo
	global_load_u16 v14, v[14:15], off
.LBB146_10:                             ;   in Loop: Header=BB146_4 Depth=1
	s_or_b32 exec_lo, exec_lo, s5
	v_add_co_u32 v15, vcc_lo, v7, s14
	v_add_co_ci_u32_e32 v16, vcc_lo, s15, v8, vcc_lo
	s_delay_alu instid0(VALU_DEP_1)
	v_cmp_gt_u64_e32 vcc_lo, s[12:13], v[15:16]
	s_and_saveexec_b32 s20, vcc_lo
	s_cbranch_execnz .LBB146_15
; %bb.11:                               ;   in Loop: Header=BB146_4 Depth=1
	s_or_b32 exec_lo, exec_lo, s20
	s_and_saveexec_b32 s20, s4
	s_cbranch_execnz .LBB146_16
.LBB146_12:                             ;   in Loop: Header=BB146_4 Depth=1
	s_or_b32 exec_lo, exec_lo, s20
	s_and_saveexec_b32 s5, s3
	s_cbranch_execnz .LBB146_17
.LBB146_13:                             ;   in Loop: Header=BB146_4 Depth=1
	s_or_b32 exec_lo, exec_lo, s5
	s_and_saveexec_b32 s4, s2
	s_cbranch_execnz .LBB146_18
.LBB146_14:                             ;   in Loop: Header=BB146_4 Depth=1
	s_or_b32 exec_lo, exec_lo, s4
	s_and_saveexec_b32 s3, vcc_lo
	s_cbranch_execz .LBB146_3
	s_branch .LBB146_19
.LBB146_15:                             ;   in Loop: Header=BB146_4 Depth=1
	v_add_co_u32 v15, s5, v1, s19
	s_delay_alu instid0(VALU_DEP_1)
	v_add_co_ci_u32_e64 v16, s5, 0, v2, s5
	global_load_u16 v11, v[15:16], off
	s_or_b32 exec_lo, exec_lo, s20
	s_and_saveexec_b32 s20, s4
	s_cbranch_execz .LBB146_12
.LBB146_16:                             ;   in Loop: Header=BB146_4 Depth=1
	s_waitcnt vmcnt(0)
	v_lshlrev_b32_e32 v13, 16, v13
	s_delay_alu instid0(VALU_DEP_1) | instskip(SKIP_1) | instid1(VALU_DEP_1)
	v_cmp_u_f32_e64 s4, v13, v13
	v_cmp_lt_f32_e64 s5, s16, v13
	s_or_b32 s4, s4, s5
	s_delay_alu instid0(SALU_CYCLE_1) | instskip(NEXT) | instid1(VALU_DEP_1)
	v_cndmask_b32_e64 v13, s16, v13, s4
	v_bfe_u32 v15, v13, 16, 1
	v_cmp_o_f32_e64 s4, v13, v13
	s_delay_alu instid0(VALU_DEP_2) | instskip(NEXT) | instid1(VALU_DEP_1)
	v_add3_u32 v15, v13, v15, 0x7fff
	v_lshrrev_b32_e32 v15, 16, v15
	s_delay_alu instid0(VALU_DEP_1)
	v_cndmask_b32_e64 v13, 0x7fc0, v15, s4
	global_store_b16 v[1:2], v13, off
	s_or_b32 exec_lo, exec_lo, s20
	s_and_saveexec_b32 s5, s3
	s_cbranch_execz .LBB146_13
.LBB146_17:                             ;   in Loop: Header=BB146_4 Depth=1
	s_waitcnt vmcnt(0)
	v_lshlrev_b32_e32 v12, 16, v12
	s_delay_alu instid0(VALU_DEP_1) | instskip(SKIP_1) | instid1(VALU_DEP_1)
	v_cmp_u_f32_e64 s3, v12, v12
	v_cmp_lt_f32_e64 s4, s16, v12
	s_or_b32 s3, s3, s4
	s_delay_alu instid0(SALU_CYCLE_1) | instskip(NEXT) | instid1(VALU_DEP_1)
	v_cndmask_b32_e64 v12, s16, v12, s3
	v_bfe_u32 v13, v12, 16, 1
	v_cmp_o_f32_e64 s3, v12, v12
	s_delay_alu instid0(VALU_DEP_2) | instskip(NEXT) | instid1(VALU_DEP_1)
	v_add3_u32 v13, v12, v13, 0x7fff
	v_lshrrev_b32_e32 v13, 16, v13
	s_delay_alu instid0(VALU_DEP_1)
	v_cndmask_b32_e64 v12, 0x7fc0, v13, s3
	global_store_b16 v[3:4], v12, off
	s_or_b32 exec_lo, exec_lo, s5
	s_and_saveexec_b32 s4, s2
	s_cbranch_execz .LBB146_14
.LBB146_18:                             ;   in Loop: Header=BB146_4 Depth=1
	s_waitcnt vmcnt(0)
	v_lshlrev_b32_e32 v12, 16, v14
	s_delay_alu instid0(VALU_DEP_1) | instskip(SKIP_1) | instid1(VALU_DEP_1)
	v_cmp_u_f32_e64 s2, v12, v12
	v_cmp_lt_f32_e64 s3, s16, v12
	s_or_b32 s2, s2, s3
	s_delay_alu instid0(SALU_CYCLE_1) | instskip(NEXT) | instid1(VALU_DEP_1)
	v_cndmask_b32_e64 v12, s16, v12, s2
	v_bfe_u32 v13, v12, 16, 1
	v_cmp_o_f32_e64 s2, v12, v12
	s_delay_alu instid0(VALU_DEP_2) | instskip(NEXT) | instid1(VALU_DEP_1)
	v_add3_u32 v13, v12, v13, 0x7fff
	v_lshrrev_b32_e32 v13, 16, v13
	s_delay_alu instid0(VALU_DEP_1) | instskip(SKIP_1) | instid1(VALU_DEP_1)
	v_cndmask_b32_e64 v14, 0x7fc0, v13, s2
	v_add_co_u32 v12, s2, v1, s17
	v_add_co_ci_u32_e64 v13, s2, 0, v2, s2
	global_store_b16 v[12:13], v14, off
	s_or_b32 exec_lo, exec_lo, s4
	s_and_saveexec_b32 s3, vcc_lo
	s_cbranch_execz .LBB146_3
.LBB146_19:                             ;   in Loop: Header=BB146_4 Depth=1
	s_waitcnt vmcnt(0)
	v_lshlrev_b32_e32 v11, 16, v11
	s_delay_alu instid0(VALU_DEP_1) | instskip(SKIP_1) | instid1(VALU_DEP_1)
	v_cmp_u_f32_e32 vcc_lo, v11, v11
	v_cmp_lt_f32_e64 s2, s16, v11
	s_or_b32 vcc_lo, vcc_lo, s2
	v_cndmask_b32_e32 v11, s16, v11, vcc_lo
	s_delay_alu instid0(VALU_DEP_1) | instskip(SKIP_1) | instid1(VALU_DEP_2)
	v_bfe_u32 v12, v11, 16, 1
	v_cmp_o_f32_e32 vcc_lo, v11, v11
	v_add3_u32 v12, v11, v12, 0x7fff
	s_delay_alu instid0(VALU_DEP_1) | instskip(NEXT) | instid1(VALU_DEP_1)
	v_lshrrev_b32_e32 v12, 16, v12
	v_cndmask_b32_e32 v13, 0x7fc0, v12, vcc_lo
	v_add_co_u32 v11, vcc_lo, v1, s19
	v_add_co_ci_u32_e32 v12, vcc_lo, 0, v2, vcc_lo
	global_store_b16 v[11:12], v13, off
	s_branch .LBB146_3
.LBB146_20:
	s_cbranch_execz .LBB146_22
	s_branch .LBB146_25
.LBB146_21:
.LBB146_22:
	v_dual_mov_b32 v2, 0 :: v_dual_lshlrev_b32 v1, 2, v0
	s_mov_b32 s5, 0
	s_mov_b32 s2, exec_lo
	s_delay_alu instid0(VALU_DEP_1)
	v_cmpx_gt_i64_e64 s[6:7], v[1:2]
	s_cbranch_execz .LBB146_25
; %bb.23:
	s_load_b32 s0, s[0:1], 0xdd4
	v_lshlrev_b32_e32 v1, 3, v0
	s_waitcnt lgkmcnt(0)
	s_and_b32 s0, s0, 0xffff
	s_add_u32 s1, s8, s10
	s_addc_u32 s2, s9, s11
	v_add_co_u32 v3, s1, s1, v1
	s_delay_alu instid0(VALU_DEP_1)
	v_add_co_ci_u32_e64 v4, null, s2, 0, s1
	v_add_lshl_u32 v1, v0, s0, 2
	s_lshl_b32 s8, s0, 3
	s_lshl_b32 s9, s0, 2
.LBB146_24:                             ; =>This Inner Loop Header: Depth=1
	global_load_b64 v[5:6], v[3:4], off
	s_waitcnt vmcnt(0)
	v_and_b32_e32 v7, 0xffff0000, v5
	s_delay_alu instid0(VALU_DEP_1) | instskip(SKIP_1) | instid1(VALU_DEP_1)
	v_cmp_u_f32_e64 s1, v7, v7
	v_cmp_lt_f32_e64 s2, s16, v7
	s_or_b32 s1, s1, s2
	s_delay_alu instid0(SALU_CYCLE_1) | instskip(NEXT) | instid1(VALU_DEP_1)
	v_cndmask_b32_e64 v7, s16, v7, s1
	v_bfe_u32 v8, v7, 16, 1
	s_delay_alu instid0(VALU_DEP_1) | instskip(NEXT) | instid1(VALU_DEP_1)
	v_add3_u32 v8, v7, v8, 0x7fff
	v_and_b32_e32 v8, 0xffff0000, v8
	v_lshlrev_b32_e32 v0, 16, v5
	v_alignbit_b32 v5, v6, v5, 16
	v_and_b32_e32 v6, 0xffff0000, v6
	s_delay_alu instid0(VALU_DEP_3) | instskip(SKIP_1) | instid1(VALU_DEP_4)
	v_cmp_u_f32_e32 vcc_lo, v0, v0
	v_cmp_lt_f32_e64 s0, s16, v0
	v_and_b32_e32 v5, 0xffff0000, v5
	s_delay_alu instid0(VALU_DEP_4) | instskip(SKIP_1) | instid1(VALU_DEP_4)
	v_cmp_u_f32_e64 s3, v6, v6
	v_cmp_lt_f32_e64 s4, s16, v6
	s_or_b32 vcc_lo, vcc_lo, s0
	s_delay_alu instid0(VALU_DEP_3) | instskip(SKIP_3) | instid1(SALU_CYCLE_1)
	v_cmp_lt_f32_e64 s0, s16, v5
	v_cndmask_b32_e32 v0, s16, v0, vcc_lo
	v_cmp_u_f32_e32 vcc_lo, v5, v5
	s_or_b32 s1, s3, s4
	v_cndmask_b32_e64 v6, s16, v6, s1
	s_delay_alu instid0(VALU_DEP_3)
	v_bfe_u32 v9, v0, 16, 1
	s_or_b32 vcc_lo, vcc_lo, s0
	v_cmp_lt_u64_e64 s0, 0xffff, v[1:2]
	v_cndmask_b32_e32 v5, s16, v5, vcc_lo
	v_bfe_u32 v10, v6, 16, 1
	v_add3_u32 v9, v0, v9, 0x7fff
	v_cmp_o_f32_e32 vcc_lo, v7, v7
	s_delay_alu instid0(VALU_DEP_4) | instskip(NEXT) | instid1(VALU_DEP_4)
	v_bfe_u32 v11, v5, 16, 1
	v_add3_u32 v10, v6, v10, 0x7fff
	s_delay_alu instid0(VALU_DEP_4)
	v_lshrrev_b32_e32 v9, 16, v9
	v_cndmask_b32_e32 v7, 0x7fc00000, v8, vcc_lo
	v_cmp_o_f32_e32 vcc_lo, v0, v0
	v_add3_u32 v11, v5, v11, 0x7fff
	v_and_b32_e32 v10, 0xffff0000, v10
	v_cndmask_b32_e32 v0, 0x7fc0, v9, vcc_lo
	v_cmp_o_f32_e32 vcc_lo, v6, v6
	s_delay_alu instid0(VALU_DEP_4) | instskip(NEXT) | instid1(VALU_DEP_3)
	v_lshrrev_b32_e32 v11, 16, v11
	v_or_b32_e32 v0, v0, v7
	v_cndmask_b32_e32 v6, 0x7fc00000, v10, vcc_lo
	v_cmp_o_f32_e32 vcc_lo, v5, v5
	s_delay_alu instid0(VALU_DEP_4) | instskip(SKIP_2) | instid1(VALU_DEP_1)
	v_cndmask_b32_e32 v5, 0x7fc0, v11, vcc_lo
	v_cmp_le_i64_e32 vcc_lo, s[6:7], v[1:2]
	v_add_co_u32 v1, s1, v1, s9
	v_add_co_ci_u32_e64 v2, s1, 0, v2, s1
	s_delay_alu instid0(VALU_DEP_4) | instskip(SKIP_2) | instid1(SALU_CYCLE_1)
	v_or3_b32 v6, 0, v5, v6
	v_or3_b32 v5, v0, 0, 0
	s_or_b32 s0, vcc_lo, s0
	s_and_b32 s0, exec_lo, s0
	global_store_b64 v[3:4], v[5:6], off
	v_add_co_u32 v3, vcc_lo, v3, s8
	v_add_co_ci_u32_e32 v4, vcc_lo, 0, v4, vcc_lo
	s_or_b32 s5, s0, s5
	s_delay_alu instid0(SALU_CYCLE_1)
	s_and_not1_b32 exec_lo, exec_lo, s5
	s_cbranch_execnz .LBB146_24
.LBB146_25:
	s_nop 0
	s_sendmsg sendmsg(MSG_DEALLOC_VGPRS)
	s_endpgm
	.section	.rodata,"a",@progbits
	.p2align	6, 0x0
	.amdhsa_kernel _ZN2at6native12_GLOBAL__N_125multi_tensor_apply_kernelINS1_28TensorListScalarListMetadataIfLi1EEENS1_25BinaryOpScalarListFunctorIN3c108BFloat16ELi1ELi1ELi0EEEJNS0_7maximumIfEEEEEvT_T0_DpT1_
		.amdhsa_group_segment_fixed_size 0
		.amdhsa_private_segment_fixed_size 0
		.amdhsa_kernarg_size 3784
		.amdhsa_user_sgpr_count 15
		.amdhsa_user_sgpr_dispatch_ptr 0
		.amdhsa_user_sgpr_queue_ptr 0
		.amdhsa_user_sgpr_kernarg_segment_ptr 1
		.amdhsa_user_sgpr_dispatch_id 0
		.amdhsa_user_sgpr_private_segment_size 0
		.amdhsa_wavefront_size32 1
		.amdhsa_uses_dynamic_stack 0
		.amdhsa_enable_private_segment 0
		.amdhsa_system_sgpr_workgroup_id_x 1
		.amdhsa_system_sgpr_workgroup_id_y 0
		.amdhsa_system_sgpr_workgroup_id_z 0
		.amdhsa_system_sgpr_workgroup_info 0
		.amdhsa_system_vgpr_workitem_id 0
		.amdhsa_next_free_vgpr 17
		.amdhsa_next_free_sgpr 21
		.amdhsa_reserve_vcc 1
		.amdhsa_float_round_mode_32 0
		.amdhsa_float_round_mode_16_64 0
		.amdhsa_float_denorm_mode_32 3
		.amdhsa_float_denorm_mode_16_64 3
		.amdhsa_dx10_clamp 1
		.amdhsa_ieee_mode 1
		.amdhsa_fp16_overflow 0
		.amdhsa_workgroup_processor_mode 1
		.amdhsa_memory_ordered 1
		.amdhsa_forward_progress 0
		.amdhsa_shared_vgpr_count 0
		.amdhsa_exception_fp_ieee_invalid_op 0
		.amdhsa_exception_fp_denorm_src 0
		.amdhsa_exception_fp_ieee_div_zero 0
		.amdhsa_exception_fp_ieee_overflow 0
		.amdhsa_exception_fp_ieee_underflow 0
		.amdhsa_exception_fp_ieee_inexact 0
		.amdhsa_exception_int_div_zero 0
	.end_amdhsa_kernel
	.section	.text._ZN2at6native12_GLOBAL__N_125multi_tensor_apply_kernelINS1_28TensorListScalarListMetadataIfLi1EEENS1_25BinaryOpScalarListFunctorIN3c108BFloat16ELi1ELi1ELi0EEEJNS0_7maximumIfEEEEEvT_T0_DpT1_,"axG",@progbits,_ZN2at6native12_GLOBAL__N_125multi_tensor_apply_kernelINS1_28TensorListScalarListMetadataIfLi1EEENS1_25BinaryOpScalarListFunctorIN3c108BFloat16ELi1ELi1ELi0EEEJNS0_7maximumIfEEEEEvT_T0_DpT1_,comdat
.Lfunc_end146:
	.size	_ZN2at6native12_GLOBAL__N_125multi_tensor_apply_kernelINS1_28TensorListScalarListMetadataIfLi1EEENS1_25BinaryOpScalarListFunctorIN3c108BFloat16ELi1ELi1ELi0EEEJNS0_7maximumIfEEEEEvT_T0_DpT1_, .Lfunc_end146-_ZN2at6native12_GLOBAL__N_125multi_tensor_apply_kernelINS1_28TensorListScalarListMetadataIfLi1EEENS1_25BinaryOpScalarListFunctorIN3c108BFloat16ELi1ELi1ELi0EEEJNS0_7maximumIfEEEEEvT_T0_DpT1_
                                        ; -- End function
	.section	.AMDGPU.csdata,"",@progbits
; Kernel info:
; codeLenInByte = 1772
; NumSgprs: 23
; NumVgprs: 17
; ScratchSize: 0
; MemoryBound: 0
; FloatMode: 240
; IeeeMode: 1
; LDSByteSize: 0 bytes/workgroup (compile time only)
; SGPRBlocks: 2
; VGPRBlocks: 2
; NumSGPRsForWavesPerEU: 23
; NumVGPRsForWavesPerEU: 17
; Occupancy: 16
; WaveLimiterHint : 0
; COMPUTE_PGM_RSRC2:SCRATCH_EN: 0
; COMPUTE_PGM_RSRC2:USER_SGPR: 15
; COMPUTE_PGM_RSRC2:TRAP_HANDLER: 0
; COMPUTE_PGM_RSRC2:TGID_X_EN: 1
; COMPUTE_PGM_RSRC2:TGID_Y_EN: 0
; COMPUTE_PGM_RSRC2:TGID_Z_EN: 0
; COMPUTE_PGM_RSRC2:TIDIG_COMP_CNT: 0
	.section	.text._ZN2at6native12_GLOBAL__N_125multi_tensor_apply_kernelINS1_28TensorListScalarListMetadataIhLi2EEENS1_25BinaryOpScalarListFunctorIhLi2ELi1ELi1EEEJNS0_7maximumIhEEEEEvT_T0_DpT1_,"axG",@progbits,_ZN2at6native12_GLOBAL__N_125multi_tensor_apply_kernelINS1_28TensorListScalarListMetadataIhLi2EEENS1_25BinaryOpScalarListFunctorIhLi2ELi1ELi1EEEJNS0_7maximumIhEEEEEvT_T0_DpT1_,comdat
	.globl	_ZN2at6native12_GLOBAL__N_125multi_tensor_apply_kernelINS1_28TensorListScalarListMetadataIhLi2EEENS1_25BinaryOpScalarListFunctorIhLi2ELi1ELi1EEEJNS0_7maximumIhEEEEEvT_T0_DpT1_ ; -- Begin function _ZN2at6native12_GLOBAL__N_125multi_tensor_apply_kernelINS1_28TensorListScalarListMetadataIhLi2EEENS1_25BinaryOpScalarListFunctorIhLi2ELi1ELi1EEEJNS0_7maximumIhEEEEEvT_T0_DpT1_
	.p2align	8
	.type	_ZN2at6native12_GLOBAL__N_125multi_tensor_apply_kernelINS1_28TensorListScalarListMetadataIhLi2EEENS1_25BinaryOpScalarListFunctorIhLi2ELi1ELi1EEEJNS0_7maximumIhEEEEEvT_T0_DpT1_,@function
_ZN2at6native12_GLOBAL__N_125multi_tensor_apply_kernelINS1_28TensorListScalarListMetadataIhLi2EEENS1_25BinaryOpScalarListFunctorIhLi2ELi1ELi1EEEJNS0_7maximumIhEEEEEvT_T0_DpT1_: ; @_ZN2at6native12_GLOBAL__N_125multi_tensor_apply_kernelINS1_28TensorListScalarListMetadataIhLi2EEENS1_25BinaryOpScalarListFunctorIhLi2ELi1ELi1EEEJNS0_7maximumIhEEEEEvT_T0_DpT1_
; %bb.0:
	v_mov_b32_e32 v1, s15
	s_mul_i32 s4, s15, 3
	s_mul_hi_u32 s5, s15, 3
	global_load_u8 v3, v1, s[0:1] offset:1600
	s_waitcnt vmcnt(0)
	v_add_co_u32 v1, s2, s0, v3
	s_delay_alu instid0(VALU_DEP_1)
	v_add_co_ci_u32_e64 v2, null, s1, 0, s2
	s_add_u32 s2, s0, s15
	s_addc_u32 s3, s1, 0
	s_add_u32 s2, s2, s4
	global_load_u8 v2, v[1:2], off offset:1536
	s_addc_u32 s3, s3, s5
	v_readfirstlane_b32 s4, v3
	s_load_b32 s6, s[2:3], 0x780
	s_delay_alu instid0(VALU_DEP_1)
	s_lshl_b32 s7, s4, 3
	s_clause 0x2
	s_load_b64 s[4:5], s[0:1], s7 offset:0x0
	s_load_b64 s[2:3], s[0:1], s7 offset:0x200
	;; [unrolled: 1-line block ×3, first 2 shown]
	s_waitcnt lgkmcnt(0)
	s_ashr_i32 s7, s6, 31
	s_delay_alu instid0(SALU_CYCLE_1) | instskip(NEXT) | instid1(SALU_CYCLE_1)
	s_lshl_b64 s[12:13], s[6:7], 16
	s_add_u32 s6, s4, s12
	s_addc_u32 s7, s5, s13
	s_add_u32 s14, s2, s12
	s_addc_u32 s15, s3, s13
	s_or_b64 s[10:11], s[8:9], s[6:7]
	s_delay_alu instid0(SALU_CYCLE_1) | instskip(NEXT) | instid1(SALU_CYCLE_1)
	s_or_b32 s10, s14, s10
	s_and_b32 s10, s10, 3
	s_sub_u32 s8, s8, s12
	s_subb_u32 s9, s9, s13
	s_cmp_eq_u32 s10, 0
	s_mov_b32 s10, -1
	s_cbranch_scc1 .LBB147_21
; %bb.1:
	v_cmp_lt_i64_e64 s10, s[8:9], 1
	s_delay_alu instid0(VALU_DEP_1)
	s_and_b32 vcc_lo, exec_lo, s10
	s_cbranch_vccnz .LBB147_20
; %bb.2:
	s_load_b32 s10, s[0:1], 0xc94
	v_add_co_u32 v16, s11, s12, v0
	s_delay_alu instid0(VALU_DEP_1) | instskip(SKIP_1) | instid1(VALU_DEP_3)
	v_add_co_ci_u32_e64 v17, null, s13, 0, s11
	v_cmp_gt_u64_e64 s11, 0x10000, s[8:9]
	v_add_co_u32 v1, vcc_lo, s4, v16
	s_delay_alu instid0(VALU_DEP_3)
	v_add_co_ci_u32_e32 v3, vcc_lo, s5, v17, vcc_lo
	v_add_co_u32 v4, vcc_lo, s2, v16
	v_add_co_ci_u32_e32 v5, vcc_lo, s3, v17, vcc_lo
	s_waitcnt vmcnt(0)
	v_and_b32_e32 v24, 0xff, v2
	s_waitcnt lgkmcnt(0)
	s_and_b32 s17, s10, 0xffff
	s_and_b32 s10, s11, exec_lo
	s_mul_i32 s19, s17, 3
	s_cselect_b32 s11, s9, 0
	s_cselect_b32 s10, s8, 0x10000
	s_lshl_b32 s18, s17, 1
	s_lshl_b32 s16, s17, 2
	s_add_u32 s20, s12, s19
	s_addc_u32 s21, s13, 0
	v_add_co_u32 v8, s20, s20, v0
	s_delay_alu instid0(VALU_DEP_1) | instskip(SKIP_1) | instid1(VALU_DEP_2)
	v_add_co_ci_u32_e64 v9, null, s21, 0, s20
	s_add_u32 s12, s12, s18
	v_add_co_u32 v6, vcc_lo, s4, v8
	s_addc_u32 s13, s13, 0
	v_add_co_u32 v14, s12, s12, v0
	v_add_co_ci_u32_e32 v7, vcc_lo, s5, v9, vcc_lo
	v_add_co_u32 v8, vcc_lo, s2, v8
	v_add_co_ci_u32_e64 v15, null, s13, 0, s12
	v_add_co_ci_u32_e32 v9, vcc_lo, s3, v9, vcc_lo
	v_add_co_u32 v12, vcc_lo, s4, v14
	s_delay_alu instid0(VALU_DEP_3)
	v_add_co_ci_u32_e32 v13, vcc_lo, s5, v15, vcc_lo
	v_add_co_u32 v14, vcc_lo, s2, v14
	v_add_co_ci_u32_e32 v15, vcc_lo, s3, v15, vcc_lo
	v_add_co_u32 v20, vcc_lo, v16, s17
	v_add_co_ci_u32_e32 v21, vcc_lo, 0, v17, vcc_lo
	v_add_co_u32 v10, s12, s19, v0
	s_delay_alu instid0(VALU_DEP_3) | instskip(NEXT) | instid1(VALU_DEP_3)
	v_add_co_u32 v18, vcc_lo, s4, v20
	v_add_co_ci_u32_e32 v19, vcc_lo, s5, v21, vcc_lo
	v_add_co_ci_u32_e64 v11, null, 0, 0, s12
	v_add_co_u32 v16, s12, s18, v0
	v_add_co_u32 v20, vcc_lo, s2, v20
	v_add_co_u32 v22, s2, v0, s17
	v_add_co_ci_u32_e64 v17, null, 0, 0, s12
	v_add_co_ci_u32_e32 v21, vcc_lo, s3, v21, vcc_lo
	v_add_co_ci_u32_e64 v23, null, 0, 0, s2
	s_mov_b64 s[12:13], 0
	s_branch .LBB147_4
.LBB147_3:                              ;   in Loop: Header=BB147_4 Depth=1
	s_or_b32 exec_lo, exec_lo, s2
	s_add_u32 s12, s12, s16
	s_addc_u32 s13, s13, 0
	s_delay_alu instid0(SALU_CYCLE_1) | instskip(SKIP_1) | instid1(VALU_DEP_1)
	v_cmp_lt_i64_e64 s2, s[12:13], s[8:9]
	v_cmp_gt_u64_e64 s3, 0x10000, s[12:13]
	s_and_b32 s2, s2, s3
	s_delay_alu instid0(SALU_CYCLE_1)
	s_and_b32 vcc_lo, exec_lo, s2
	s_cbranch_vccz .LBB147_20
.LBB147_4:                              ; =>This Inner Loop Header: Depth=1
	s_waitcnt vmcnt(0)
	v_add_co_u32 v25, s2, v0, s12
	s_delay_alu instid0(VALU_DEP_1) | instskip(NEXT) | instid1(VALU_DEP_1)
	v_add_co_ci_u32_e64 v26, null, 0, s13, s2
	v_cmp_gt_u64_e32 vcc_lo, s[10:11], v[25:26]
	v_mov_b32_e32 v26, 0
	s_and_saveexec_b32 s3, vcc_lo
	s_cbranch_execz .LBB147_6
; %bb.5:                                ;   in Loop: Header=BB147_4 Depth=1
	v_add_co_u32 v25, s2, v1, s12
	s_delay_alu instid0(VALU_DEP_1)
	v_add_co_ci_u32_e64 v26, s2, s13, v3, s2
	global_load_u8 v26, v[25:26], off
.LBB147_6:                              ;   in Loop: Header=BB147_4 Depth=1
	s_or_b32 exec_lo, exec_lo, s3
	v_add_co_u32 v27, s2, v22, s12
	s_delay_alu instid0(VALU_DEP_1) | instskip(NEXT) | instid1(VALU_DEP_1)
	v_add_co_ci_u32_e64 v28, s2, s13, v23, s2
	v_cmp_gt_u64_e64 s2, s[10:11], v[27:28]
	v_mov_b32_e32 v27, 0
	s_delay_alu instid0(VALU_DEP_2)
	s_and_saveexec_b32 s4, s2
	s_cbranch_execz .LBB147_8
; %bb.7:                                ;   in Loop: Header=BB147_4 Depth=1
	v_add_co_u32 v27, s3, v18, s12
	s_delay_alu instid0(VALU_DEP_1)
	v_add_co_ci_u32_e64 v28, s3, s13, v19, s3
	global_load_u8 v27, v[27:28], off
.LBB147_8:                              ;   in Loop: Header=BB147_4 Depth=1
	s_or_b32 exec_lo, exec_lo, s4
	v_add_co_u32 v28, s3, v16, s12
	s_delay_alu instid0(VALU_DEP_1) | instskip(SKIP_1) | instid1(VALU_DEP_2)
	v_add_co_ci_u32_e64 v29, s3, s13, v17, s3
	v_mov_b32_e32 v25, 0
	v_cmp_gt_u64_e64 s3, s[10:11], v[28:29]
	v_mov_b32_e32 v28, 0
	s_delay_alu instid0(VALU_DEP_2)
	s_and_saveexec_b32 s5, s3
	s_cbranch_execz .LBB147_10
; %bb.9:                                ;   in Loop: Header=BB147_4 Depth=1
	v_add_co_u32 v28, s4, v12, s12
	s_delay_alu instid0(VALU_DEP_1)
	v_add_co_ci_u32_e64 v29, s4, s13, v13, s4
	global_load_u8 v28, v[28:29], off
.LBB147_10:                             ;   in Loop: Header=BB147_4 Depth=1
	s_or_b32 exec_lo, exec_lo, s5
	v_add_co_u32 v29, s4, v10, s12
	s_delay_alu instid0(VALU_DEP_1) | instskip(NEXT) | instid1(VALU_DEP_1)
	v_add_co_ci_u32_e64 v30, s4, s13, v11, s4
	v_cmp_gt_u64_e64 s4, s[10:11], v[29:30]
	s_delay_alu instid0(VALU_DEP_1)
	s_and_saveexec_b32 s17, s4
	s_cbranch_execnz .LBB147_15
; %bb.11:                               ;   in Loop: Header=BB147_4 Depth=1
	s_or_b32 exec_lo, exec_lo, s17
	s_and_saveexec_b32 s5, vcc_lo
	s_cbranch_execnz .LBB147_16
.LBB147_12:                             ;   in Loop: Header=BB147_4 Depth=1
	s_or_b32 exec_lo, exec_lo, s5
	s_and_saveexec_b32 s5, s2
	s_cbranch_execnz .LBB147_17
.LBB147_13:                             ;   in Loop: Header=BB147_4 Depth=1
	s_or_b32 exec_lo, exec_lo, s5
	s_and_saveexec_b32 s2, s3
	s_cbranch_execnz .LBB147_18
.LBB147_14:                             ;   in Loop: Header=BB147_4 Depth=1
	s_or_b32 exec_lo, exec_lo, s2
	s_and_saveexec_b32 s2, s4
	s_cbranch_execz .LBB147_3
	s_branch .LBB147_19
.LBB147_15:                             ;   in Loop: Header=BB147_4 Depth=1
	v_add_co_u32 v29, s5, v6, s12
	s_delay_alu instid0(VALU_DEP_1)
	v_add_co_ci_u32_e64 v30, s5, s13, v7, s5
	global_load_u8 v25, v[29:30], off
	s_or_b32 exec_lo, exec_lo, s17
	s_and_saveexec_b32 s5, vcc_lo
	s_cbranch_execz .LBB147_12
.LBB147_16:                             ;   in Loop: Header=BB147_4 Depth=1
	s_waitcnt vmcnt(0)
	v_and_b32_e32 v26, 0xff, v26
	v_add_co_u32 v29, vcc_lo, v4, s12
	v_add_co_ci_u32_e32 v30, vcc_lo, s13, v5, vcc_lo
	s_delay_alu instid0(VALU_DEP_3)
	v_max_u16 v26, v26, v24
	global_store_b8 v[29:30], v26, off
	s_or_b32 exec_lo, exec_lo, s5
	s_and_saveexec_b32 s5, s2
	s_cbranch_execz .LBB147_13
.LBB147_17:                             ;   in Loop: Header=BB147_4 Depth=1
	s_waitcnt vmcnt(0)
	v_and_b32_e32 v26, 0xff, v27
	s_delay_alu instid0(VALU_DEP_1)
	v_max_u16 v29, v26, v24
	v_add_co_u32 v26, vcc_lo, v20, s12
	v_add_co_ci_u32_e32 v27, vcc_lo, s13, v21, vcc_lo
	global_store_b8 v[26:27], v29, off
	s_or_b32 exec_lo, exec_lo, s5
	s_and_saveexec_b32 s2, s3
	s_cbranch_execz .LBB147_14
.LBB147_18:                             ;   in Loop: Header=BB147_4 Depth=1
	s_waitcnt vmcnt(0)
	v_and_b32_e32 v26, 0xff, v28
	s_delay_alu instid0(VALU_DEP_1)
	v_max_u16 v28, v26, v24
	v_add_co_u32 v26, vcc_lo, v14, s12
	v_add_co_ci_u32_e32 v27, vcc_lo, s13, v15, vcc_lo
	global_store_b8 v[26:27], v28, off
	s_or_b32 exec_lo, exec_lo, s2
	s_and_saveexec_b32 s2, s4
	s_cbranch_execz .LBB147_3
.LBB147_19:                             ;   in Loop: Header=BB147_4 Depth=1
	s_waitcnt vmcnt(0)
	v_and_b32_e32 v25, 0xff, v25
	s_delay_alu instid0(VALU_DEP_1)
	v_max_u16 v27, v25, v24
	v_add_co_u32 v25, vcc_lo, v8, s12
	v_add_co_ci_u32_e32 v26, vcc_lo, s13, v9, vcc_lo
	global_store_b8 v[25:26], v27, off
	s_branch .LBB147_3
.LBB147_20:
	s_mov_b32 s10, 0
.LBB147_21:
	s_delay_alu instid0(SALU_CYCLE_1)
	s_and_not1_b32 vcc_lo, exec_lo, s10
	s_cbranch_vccnz .LBB147_25
; %bb.22:
	v_dual_mov_b32 v1, 0 :: v_dual_lshlrev_b32 v0, 2, v0
	s_mov_b32 s2, exec_lo
	s_delay_alu instid0(VALU_DEP_1)
	v_cmpx_gt_i64_e64 s[8:9], v[0:1]
	s_cbranch_execz .LBB147_25
; %bb.23:
	s_load_b32 s0, s[0:1], 0xc94
	s_waitcnt vmcnt(0)
	v_and_b32_e32 v2, 0xff, v2
	s_mov_b32 s2, 0
	s_waitcnt lgkmcnt(0)
	s_and_b32 s0, s0, 0xffff
	s_delay_alu instid0(SALU_CYCLE_1)
	s_lshl_b32 s1, s0, 2
.LBB147_24:                             ; =>This Inner Loop Header: Depth=1
	v_add_co_u32 v3, vcc_lo, s6, v0
	v_add_co_ci_u32_e32 v4, vcc_lo, s7, v1, vcc_lo
	global_load_b32 v5, v[3:4], off
	v_add_co_u32 v3, vcc_lo, s14, v0
	v_add_co_ci_u32_e32 v4, vcc_lo, s15, v1, vcc_lo
	v_add_co_u32 v0, vcc_lo, s1, v0
	v_add_co_ci_u32_e32 v1, vcc_lo, 0, v1, vcc_lo
	s_delay_alu instid0(VALU_DEP_1) | instskip(SKIP_1) | instid1(VALU_DEP_1)
	v_cmp_le_i64_e32 vcc_lo, s[8:9], v[0:1]
	v_cmp_lt_u64_e64 s0, 0xffff, v[0:1]
	s_or_b32 s0, vcc_lo, s0
	s_delay_alu instid0(SALU_CYCLE_1) | instskip(NEXT) | instid1(SALU_CYCLE_1)
	s_and_b32 s0, exec_lo, s0
	s_or_b32 s2, s0, s2
	s_waitcnt vmcnt(0)
	v_lshrrev_b32_e32 v6, 8, v5
	v_lshrrev_b32_e32 v7, 16, v5
	v_and_b32_e32 v8, 0xff, v5
	v_lshrrev_b32_e32 v5, 24, v5
	s_delay_alu instid0(VALU_DEP_4) | instskip(NEXT) | instid1(VALU_DEP_4)
	v_and_b32_e32 v6, 0xff, v6
	v_and_b32_e32 v7, 0xff, v7
	s_delay_alu instid0(VALU_DEP_4) | instskip(NEXT) | instid1(VALU_DEP_4)
	v_max_u16 v8, v8, v2
	v_max_u16 v5, v5, v2
	s_delay_alu instid0(VALU_DEP_4) | instskip(NEXT) | instid1(VALU_DEP_4)
	v_max_u16 v6, v6, v2
	v_max_u16 v7, v7, v2
	s_delay_alu instid0(VALU_DEP_4) | instskip(NEXT) | instid1(VALU_DEP_3)
	v_and_b32_e32 v8, 0xffff, v8
	v_and_b32_e32 v6, 0xffff, v6
	s_delay_alu instid0(VALU_DEP_3) | instskip(NEXT) | instid1(VALU_DEP_2)
	v_lshlrev_b32_e32 v7, 16, v7
	v_lshlrev_b32_e32 v6, 8, v6
	s_delay_alu instid0(VALU_DEP_2) | instskip(NEXT) | instid1(VALU_DEP_1)
	v_lshl_or_b32 v5, v5, 24, v7
	v_or3_b32 v5, v5, v6, v8
	global_store_b32 v[3:4], v5, off
	s_and_not1_b32 exec_lo, exec_lo, s2
	s_cbranch_execnz .LBB147_24
.LBB147_25:
	s_nop 0
	s_sendmsg sendmsg(MSG_DEALLOC_VGPRS)
	s_endpgm
	.section	.rodata,"a",@progbits
	.p2align	6, 0x0
	.amdhsa_kernel _ZN2at6native12_GLOBAL__N_125multi_tensor_apply_kernelINS1_28TensorListScalarListMetadataIhLi2EEENS1_25BinaryOpScalarListFunctorIhLi2ELi1ELi1EEEJNS0_7maximumIhEEEEEvT_T0_DpT1_
		.amdhsa_group_segment_fixed_size 0
		.amdhsa_private_segment_fixed_size 0
		.amdhsa_kernarg_size 3464
		.amdhsa_user_sgpr_count 15
		.amdhsa_user_sgpr_dispatch_ptr 0
		.amdhsa_user_sgpr_queue_ptr 0
		.amdhsa_user_sgpr_kernarg_segment_ptr 1
		.amdhsa_user_sgpr_dispatch_id 0
		.amdhsa_user_sgpr_private_segment_size 0
		.amdhsa_wavefront_size32 1
		.amdhsa_uses_dynamic_stack 0
		.amdhsa_enable_private_segment 0
		.amdhsa_system_sgpr_workgroup_id_x 1
		.amdhsa_system_sgpr_workgroup_id_y 0
		.amdhsa_system_sgpr_workgroup_id_z 0
		.amdhsa_system_sgpr_workgroup_info 0
		.amdhsa_system_vgpr_workitem_id 0
		.amdhsa_next_free_vgpr 31
		.amdhsa_next_free_sgpr 22
		.amdhsa_reserve_vcc 1
		.amdhsa_float_round_mode_32 0
		.amdhsa_float_round_mode_16_64 0
		.amdhsa_float_denorm_mode_32 3
		.amdhsa_float_denorm_mode_16_64 3
		.amdhsa_dx10_clamp 1
		.amdhsa_ieee_mode 1
		.amdhsa_fp16_overflow 0
		.amdhsa_workgroup_processor_mode 1
		.amdhsa_memory_ordered 1
		.amdhsa_forward_progress 0
		.amdhsa_shared_vgpr_count 0
		.amdhsa_exception_fp_ieee_invalid_op 0
		.amdhsa_exception_fp_denorm_src 0
		.amdhsa_exception_fp_ieee_div_zero 0
		.amdhsa_exception_fp_ieee_overflow 0
		.amdhsa_exception_fp_ieee_underflow 0
		.amdhsa_exception_fp_ieee_inexact 0
		.amdhsa_exception_int_div_zero 0
	.end_amdhsa_kernel
	.section	.text._ZN2at6native12_GLOBAL__N_125multi_tensor_apply_kernelINS1_28TensorListScalarListMetadataIhLi2EEENS1_25BinaryOpScalarListFunctorIhLi2ELi1ELi1EEEJNS0_7maximumIhEEEEEvT_T0_DpT1_,"axG",@progbits,_ZN2at6native12_GLOBAL__N_125multi_tensor_apply_kernelINS1_28TensorListScalarListMetadataIhLi2EEENS1_25BinaryOpScalarListFunctorIhLi2ELi1ELi1EEEJNS0_7maximumIhEEEEEvT_T0_DpT1_,comdat
.Lfunc_end147:
	.size	_ZN2at6native12_GLOBAL__N_125multi_tensor_apply_kernelINS1_28TensorListScalarListMetadataIhLi2EEENS1_25BinaryOpScalarListFunctorIhLi2ELi1ELi1EEEJNS0_7maximumIhEEEEEvT_T0_DpT1_, .Lfunc_end147-_ZN2at6native12_GLOBAL__N_125multi_tensor_apply_kernelINS1_28TensorListScalarListMetadataIhLi2EEENS1_25BinaryOpScalarListFunctorIhLi2ELi1ELi1EEEJNS0_7maximumIhEEEEEvT_T0_DpT1_
                                        ; -- End function
	.section	.AMDGPU.csdata,"",@progbits
; Kernel info:
; codeLenInByte = 1484
; NumSgprs: 24
; NumVgprs: 31
; ScratchSize: 0
; MemoryBound: 0
; FloatMode: 240
; IeeeMode: 1
; LDSByteSize: 0 bytes/workgroup (compile time only)
; SGPRBlocks: 2
; VGPRBlocks: 3
; NumSGPRsForWavesPerEU: 24
; NumVGPRsForWavesPerEU: 31
; Occupancy: 16
; WaveLimiterHint : 0
; COMPUTE_PGM_RSRC2:SCRATCH_EN: 0
; COMPUTE_PGM_RSRC2:USER_SGPR: 15
; COMPUTE_PGM_RSRC2:TRAP_HANDLER: 0
; COMPUTE_PGM_RSRC2:TGID_X_EN: 1
; COMPUTE_PGM_RSRC2:TGID_Y_EN: 0
; COMPUTE_PGM_RSRC2:TGID_Z_EN: 0
; COMPUTE_PGM_RSRC2:TIDIG_COMP_CNT: 0
	.section	.text._ZN2at6native12_GLOBAL__N_125multi_tensor_apply_kernelINS1_28TensorListScalarListMetadataIaLi2EEENS1_25BinaryOpScalarListFunctorIaLi2ELi1ELi1EEEJNS0_7maximumIaEEEEEvT_T0_DpT1_,"axG",@progbits,_ZN2at6native12_GLOBAL__N_125multi_tensor_apply_kernelINS1_28TensorListScalarListMetadataIaLi2EEENS1_25BinaryOpScalarListFunctorIaLi2ELi1ELi1EEEJNS0_7maximumIaEEEEEvT_T0_DpT1_,comdat
	.globl	_ZN2at6native12_GLOBAL__N_125multi_tensor_apply_kernelINS1_28TensorListScalarListMetadataIaLi2EEENS1_25BinaryOpScalarListFunctorIaLi2ELi1ELi1EEEJNS0_7maximumIaEEEEEvT_T0_DpT1_ ; -- Begin function _ZN2at6native12_GLOBAL__N_125multi_tensor_apply_kernelINS1_28TensorListScalarListMetadataIaLi2EEENS1_25BinaryOpScalarListFunctorIaLi2ELi1ELi1EEEJNS0_7maximumIaEEEEEvT_T0_DpT1_
	.p2align	8
	.type	_ZN2at6native12_GLOBAL__N_125multi_tensor_apply_kernelINS1_28TensorListScalarListMetadataIaLi2EEENS1_25BinaryOpScalarListFunctorIaLi2ELi1ELi1EEEJNS0_7maximumIaEEEEEvT_T0_DpT1_,@function
_ZN2at6native12_GLOBAL__N_125multi_tensor_apply_kernelINS1_28TensorListScalarListMetadataIaLi2EEENS1_25BinaryOpScalarListFunctorIaLi2ELi1ELi1EEEJNS0_7maximumIaEEEEEvT_T0_DpT1_: ; @_ZN2at6native12_GLOBAL__N_125multi_tensor_apply_kernelINS1_28TensorListScalarListMetadataIaLi2EEENS1_25BinaryOpScalarListFunctorIaLi2ELi1ELi1EEEJNS0_7maximumIaEEEEEvT_T0_DpT1_
; %bb.0:
	v_mov_b32_e32 v1, s15
	s_mul_hi_u32 s3, s15, 3
	global_load_u8 v3, v1, s[0:1] offset:1600
	s_waitcnt vmcnt(0)
	v_add_co_u32 v1, s2, s0, v3
	s_delay_alu instid0(VALU_DEP_1)
	v_add_co_ci_u32_e64 v2, null, s1, 0, s2
	s_add_u32 s2, s0, s15
	s_mul_i32 s15, s15, 3
	s_addc_u32 s4, s1, 0
	global_load_u8 v1, v[1:2], off offset:1536
	s_add_u32 s2, s2, s15
	s_addc_u32 s3, s4, s3
	v_readfirstlane_b32 s5, v3
	s_load_b32 s6, s[2:3], 0x780
	s_delay_alu instid0(VALU_DEP_1)
	s_lshl_b32 s7, s5, 3
	s_clause 0x2
	s_load_b64 s[4:5], s[0:1], s7 offset:0x0
	s_load_b64 s[2:3], s[0:1], s7 offset:0x200
	;; [unrolled: 1-line block ×3, first 2 shown]
	s_waitcnt lgkmcnt(0)
	s_ashr_i32 s7, s6, 31
	s_delay_alu instid0(SALU_CYCLE_1) | instskip(NEXT) | instid1(SALU_CYCLE_1)
	s_lshl_b64 s[12:13], s[6:7], 16
	s_add_u32 s6, s4, s12
	s_addc_u32 s7, s5, s13
	s_add_u32 s14, s2, s12
	s_addc_u32 s15, s3, s13
	s_or_b64 s[10:11], s[8:9], s[6:7]
	s_delay_alu instid0(SALU_CYCLE_1) | instskip(NEXT) | instid1(SALU_CYCLE_1)
	s_or_b32 s10, s14, s10
	s_and_b32 s10, s10, 3
	s_sub_u32 s8, s8, s12
	s_subb_u32 s9, s9, s13
	s_cmp_eq_u32 s10, 0
	s_mov_b32 s10, -1
	s_waitcnt vmcnt(0)
	v_readfirstlane_b32 s16, v1
	s_cbranch_scc1 .LBB148_21
; %bb.1:
	v_cmp_lt_i64_e64 s10, s[8:9], 1
	s_delay_alu instid0(VALU_DEP_1)
	s_and_b32 vcc_lo, exec_lo, s10
	s_cbranch_vccnz .LBB148_20
; %bb.2:
	s_load_b32 s10, s[0:1], 0xc94
	v_add_co_u32 v15, s11, s12, v0
	s_delay_alu instid0(VALU_DEP_1) | instskip(SKIP_1) | instid1(VALU_DEP_3)
	v_add_co_ci_u32_e64 v16, null, s13, 0, s11
	v_cmp_gt_u64_e64 s11, 0x10000, s[8:9]
	v_add_co_u32 v1, vcc_lo, s4, v15
	s_delay_alu instid0(VALU_DEP_3)
	v_add_co_ci_u32_e32 v2, vcc_lo, s5, v16, vcc_lo
	v_add_co_u32 v3, vcc_lo, s2, v15
	v_add_co_ci_u32_e32 v4, vcc_lo, s3, v16, vcc_lo
	s_waitcnt lgkmcnt(0)
	s_and_b32 s18, s10, 0xffff
	s_and_b32 s10, s11, exec_lo
	s_mul_i32 s20, s18, 3
	s_cselect_b32 s11, s9, 0
	s_cselect_b32 s10, s8, 0x10000
	s_lshl_b32 s19, s18, 1
	s_lshl_b32 s17, s18, 2
	s_add_u32 s21, s12, s20
	s_addc_u32 s22, s13, 0
	v_add_co_u32 v7, s21, s21, v0
	s_delay_alu instid0(VALU_DEP_1) | instskip(SKIP_1) | instid1(VALU_DEP_2)
	v_add_co_ci_u32_e64 v8, null, s22, 0, s21
	s_add_u32 s12, s12, s19
	v_add_co_u32 v5, vcc_lo, s4, v7
	s_addc_u32 s13, s13, 0
	v_add_co_u32 v13, s12, s12, v0
	v_add_co_ci_u32_e32 v6, vcc_lo, s5, v8, vcc_lo
	v_add_co_u32 v7, vcc_lo, s2, v7
	v_add_co_ci_u32_e64 v14, null, s13, 0, s12
	v_add_co_ci_u32_e32 v8, vcc_lo, s3, v8, vcc_lo
	v_add_co_u32 v11, vcc_lo, s4, v13
	s_delay_alu instid0(VALU_DEP_3)
	v_add_co_ci_u32_e32 v12, vcc_lo, s5, v14, vcc_lo
	v_add_co_u32 v13, vcc_lo, s2, v13
	v_add_co_ci_u32_e32 v14, vcc_lo, s3, v14, vcc_lo
	v_add_co_u32 v19, vcc_lo, v15, s18
	v_add_co_ci_u32_e32 v20, vcc_lo, 0, v16, vcc_lo
	v_add_co_u32 v9, s12, s20, v0
	s_delay_alu instid0(VALU_DEP_3) | instskip(NEXT) | instid1(VALU_DEP_3)
	v_add_co_u32 v17, vcc_lo, s4, v19
	v_add_co_ci_u32_e32 v18, vcc_lo, s5, v20, vcc_lo
	v_add_co_ci_u32_e64 v10, null, 0, 0, s12
	v_add_co_u32 v15, s12, s19, v0
	v_add_co_u32 v19, vcc_lo, s2, v19
	v_add_co_u32 v21, s2, v0, s18
	v_add_co_ci_u32_e64 v16, null, 0, 0, s12
	v_add_co_ci_u32_e32 v20, vcc_lo, s3, v20, vcc_lo
	v_add_co_ci_u32_e64 v22, null, 0, 0, s2
	s_mov_b64 s[12:13], 0
	s_bfe_i32 s18, s16, 0x80000
	s_branch .LBB148_4
.LBB148_3:                              ;   in Loop: Header=BB148_4 Depth=1
	s_or_b32 exec_lo, exec_lo, s2
	s_add_u32 s12, s12, s17
	s_addc_u32 s13, s13, 0
	s_delay_alu instid0(SALU_CYCLE_1) | instskip(SKIP_1) | instid1(VALU_DEP_1)
	v_cmp_lt_i64_e64 s2, s[12:13], s[8:9]
	v_cmp_gt_u64_e64 s3, 0x10000, s[12:13]
	s_and_b32 s2, s2, s3
	s_delay_alu instid0(SALU_CYCLE_1)
	s_and_b32 vcc_lo, exec_lo, s2
	s_cbranch_vccz .LBB148_20
.LBB148_4:                              ; =>This Inner Loop Header: Depth=1
	s_waitcnt vmcnt(0)
	v_add_co_u32 v23, s2, v0, s12
	s_delay_alu instid0(VALU_DEP_1) | instskip(NEXT) | instid1(VALU_DEP_1)
	v_add_co_ci_u32_e64 v24, null, 0, s13, s2
	v_cmp_gt_u64_e32 vcc_lo, s[10:11], v[23:24]
	v_mov_b32_e32 v24, 0
	s_and_saveexec_b32 s3, vcc_lo
	s_cbranch_execz .LBB148_6
; %bb.5:                                ;   in Loop: Header=BB148_4 Depth=1
	v_add_co_u32 v23, s2, v1, s12
	s_delay_alu instid0(VALU_DEP_1)
	v_add_co_ci_u32_e64 v24, s2, s13, v2, s2
	global_load_u8 v24, v[23:24], off
.LBB148_6:                              ;   in Loop: Header=BB148_4 Depth=1
	s_or_b32 exec_lo, exec_lo, s3
	v_add_co_u32 v25, s2, v21, s12
	s_delay_alu instid0(VALU_DEP_1) | instskip(NEXT) | instid1(VALU_DEP_1)
	v_add_co_ci_u32_e64 v26, s2, s13, v22, s2
	v_cmp_gt_u64_e64 s2, s[10:11], v[25:26]
	v_mov_b32_e32 v25, 0
	s_delay_alu instid0(VALU_DEP_2)
	s_and_saveexec_b32 s4, s2
	s_cbranch_execz .LBB148_8
; %bb.7:                                ;   in Loop: Header=BB148_4 Depth=1
	v_add_co_u32 v25, s3, v17, s12
	s_delay_alu instid0(VALU_DEP_1)
	v_add_co_ci_u32_e64 v26, s3, s13, v18, s3
	global_load_u8 v25, v[25:26], off
.LBB148_8:                              ;   in Loop: Header=BB148_4 Depth=1
	s_or_b32 exec_lo, exec_lo, s4
	v_add_co_u32 v26, s3, v15, s12
	s_delay_alu instid0(VALU_DEP_1) | instskip(SKIP_1) | instid1(VALU_DEP_2)
	v_add_co_ci_u32_e64 v27, s3, s13, v16, s3
	v_mov_b32_e32 v23, 0
	v_cmp_gt_u64_e64 s3, s[10:11], v[26:27]
	v_mov_b32_e32 v26, 0
	s_delay_alu instid0(VALU_DEP_2)
	s_and_saveexec_b32 s5, s3
	s_cbranch_execz .LBB148_10
; %bb.9:                                ;   in Loop: Header=BB148_4 Depth=1
	v_add_co_u32 v26, s4, v11, s12
	s_delay_alu instid0(VALU_DEP_1)
	v_add_co_ci_u32_e64 v27, s4, s13, v12, s4
	global_load_u8 v26, v[26:27], off
.LBB148_10:                             ;   in Loop: Header=BB148_4 Depth=1
	s_or_b32 exec_lo, exec_lo, s5
	v_add_co_u32 v27, s4, v9, s12
	s_delay_alu instid0(VALU_DEP_1) | instskip(NEXT) | instid1(VALU_DEP_1)
	v_add_co_ci_u32_e64 v28, s4, s13, v10, s4
	v_cmp_gt_u64_e64 s4, s[10:11], v[27:28]
	s_delay_alu instid0(VALU_DEP_1)
	s_and_saveexec_b32 s19, s4
	s_cbranch_execnz .LBB148_15
; %bb.11:                               ;   in Loop: Header=BB148_4 Depth=1
	s_or_b32 exec_lo, exec_lo, s19
	s_and_saveexec_b32 s5, vcc_lo
	s_cbranch_execnz .LBB148_16
.LBB148_12:                             ;   in Loop: Header=BB148_4 Depth=1
	s_or_b32 exec_lo, exec_lo, s5
	s_and_saveexec_b32 s5, s2
	s_cbranch_execnz .LBB148_17
.LBB148_13:                             ;   in Loop: Header=BB148_4 Depth=1
	s_or_b32 exec_lo, exec_lo, s5
	s_and_saveexec_b32 s2, s3
	s_cbranch_execnz .LBB148_18
.LBB148_14:                             ;   in Loop: Header=BB148_4 Depth=1
	s_or_b32 exec_lo, exec_lo, s2
	s_and_saveexec_b32 s2, s4
	s_cbranch_execz .LBB148_3
	s_branch .LBB148_19
.LBB148_15:                             ;   in Loop: Header=BB148_4 Depth=1
	v_add_co_u32 v27, s5, v5, s12
	s_delay_alu instid0(VALU_DEP_1)
	v_add_co_ci_u32_e64 v28, s5, s13, v6, s5
	global_load_u8 v23, v[27:28], off
	s_or_b32 exec_lo, exec_lo, s19
	s_and_saveexec_b32 s5, vcc_lo
	s_cbranch_execz .LBB148_12
.LBB148_16:                             ;   in Loop: Header=BB148_4 Depth=1
	s_waitcnt vmcnt(0)
	v_bfe_i32 v24, v24, 0, 8
	v_add_co_u32 v27, vcc_lo, v3, s12
	v_add_co_ci_u32_e32 v28, vcc_lo, s13, v4, vcc_lo
	s_delay_alu instid0(VALU_DEP_3)
	v_max_i16 v24, v24, s18
	global_store_b8 v[27:28], v24, off
	s_or_b32 exec_lo, exec_lo, s5
	s_and_saveexec_b32 s5, s2
	s_cbranch_execz .LBB148_13
.LBB148_17:                             ;   in Loop: Header=BB148_4 Depth=1
	s_waitcnt vmcnt(0)
	v_bfe_i32 v24, v25, 0, 8
	s_delay_alu instid0(VALU_DEP_1)
	v_max_i16 v27, v24, s18
	v_add_co_u32 v24, vcc_lo, v19, s12
	v_add_co_ci_u32_e32 v25, vcc_lo, s13, v20, vcc_lo
	global_store_b8 v[24:25], v27, off
	s_or_b32 exec_lo, exec_lo, s5
	s_and_saveexec_b32 s2, s3
	s_cbranch_execz .LBB148_14
.LBB148_18:                             ;   in Loop: Header=BB148_4 Depth=1
	s_waitcnt vmcnt(0)
	v_bfe_i32 v24, v26, 0, 8
	s_delay_alu instid0(VALU_DEP_1)
	v_max_i16 v26, v24, s18
	v_add_co_u32 v24, vcc_lo, v13, s12
	v_add_co_ci_u32_e32 v25, vcc_lo, s13, v14, vcc_lo
	global_store_b8 v[24:25], v26, off
	s_or_b32 exec_lo, exec_lo, s2
	s_and_saveexec_b32 s2, s4
	s_cbranch_execz .LBB148_3
.LBB148_19:                             ;   in Loop: Header=BB148_4 Depth=1
	s_waitcnt vmcnt(0)
	v_bfe_i32 v23, v23, 0, 8
	s_delay_alu instid0(VALU_DEP_1)
	v_max_i16 v25, v23, s18
	v_add_co_u32 v23, vcc_lo, v7, s12
	v_add_co_ci_u32_e32 v24, vcc_lo, s13, v8, vcc_lo
	global_store_b8 v[23:24], v25, off
	s_branch .LBB148_3
.LBB148_20:
	s_mov_b32 s10, 0
.LBB148_21:
	s_delay_alu instid0(SALU_CYCLE_1)
	s_and_not1_b32 vcc_lo, exec_lo, s10
	s_cbranch_vccnz .LBB148_25
; %bb.22:
	v_dual_mov_b32 v1, 0 :: v_dual_lshlrev_b32 v0, 2, v0
	s_mov_b32 s2, exec_lo
	s_delay_alu instid0(VALU_DEP_1)
	v_cmpx_gt_i64_e64 s[8:9], v[0:1]
	s_cbranch_execz .LBB148_25
; %bb.23:
	s_load_b32 s0, s[0:1], 0xc94
	s_mov_b32 s1, 0
	s_bfe_i32 s3, s16, 0x80000
	s_waitcnt lgkmcnt(0)
	s_and_b32 s0, s0, 0xffff
	s_delay_alu instid0(SALU_CYCLE_1)
	s_lshl_b32 s2, s0, 2
.LBB148_24:                             ; =>This Inner Loop Header: Depth=1
	v_add_co_u32 v2, vcc_lo, s6, v0
	v_add_co_ci_u32_e32 v3, vcc_lo, s7, v1, vcc_lo
	global_load_b32 v4, v[2:3], off
	v_add_co_u32 v2, vcc_lo, s14, v0
	v_add_co_ci_u32_e32 v3, vcc_lo, s15, v1, vcc_lo
	v_add_co_u32 v0, vcc_lo, s2, v0
	v_add_co_ci_u32_e32 v1, vcc_lo, 0, v1, vcc_lo
	s_delay_alu instid0(VALU_DEP_1) | instskip(SKIP_1) | instid1(VALU_DEP_1)
	v_cmp_le_i64_e32 vcc_lo, s[8:9], v[0:1]
	v_cmp_lt_u64_e64 s0, 0xffff, v[0:1]
	s_or_b32 s0, vcc_lo, s0
	s_delay_alu instid0(SALU_CYCLE_1) | instskip(NEXT) | instid1(SALU_CYCLE_1)
	s_and_b32 s0, exec_lo, s0
	s_or_b32 s1, s0, s1
	s_waitcnt vmcnt(0)
	v_lshrrev_b32_e32 v5, 16, v4
	v_lshrrev_b32_e32 v6, 8, v4
	;; [unrolled: 1-line block ×3, first 2 shown]
	v_bfe_i32 v4, v4, 0, 8
	s_delay_alu instid0(VALU_DEP_4) | instskip(NEXT) | instid1(VALU_DEP_4)
	v_bfe_i32 v5, v5, 0, 8
	v_bfe_i32 v6, v6, 0, 8
	s_delay_alu instid0(VALU_DEP_4) | instskip(NEXT) | instid1(VALU_DEP_4)
	v_bfe_i32 v7, v7, 0, 8
	v_max_i16 v4, v4, s3
	s_delay_alu instid0(VALU_DEP_4) | instskip(NEXT) | instid1(VALU_DEP_4)
	v_max_i16 v5, v5, s3
	v_max_i16 v6, v6, s3
	s_delay_alu instid0(VALU_DEP_4) | instskip(NEXT) | instid1(VALU_DEP_4)
	v_max_i16 v7, v7, s3
	v_and_b32_e32 v4, 0xff, v4
	s_delay_alu instid0(VALU_DEP_4) | instskip(NEXT) | instid1(VALU_DEP_4)
	v_and_b32_e32 v5, 0xff, v5
	v_and_b32_e32 v6, 0xff, v6
	s_delay_alu instid0(VALU_DEP_2) | instskip(NEXT) | instid1(VALU_DEP_2)
	v_lshlrev_b32_e32 v5, 16, v5
	v_lshlrev_b32_e32 v6, 8, v6
	s_delay_alu instid0(VALU_DEP_2) | instskip(NEXT) | instid1(VALU_DEP_1)
	v_lshl_or_b32 v5, v7, 24, v5
	v_or3_b32 v4, v5, v6, v4
	global_store_b32 v[2:3], v4, off
	s_and_not1_b32 exec_lo, exec_lo, s1
	s_cbranch_execnz .LBB148_24
.LBB148_25:
	s_nop 0
	s_sendmsg sendmsg(MSG_DEALLOC_VGPRS)
	s_endpgm
	.section	.rodata,"a",@progbits
	.p2align	6, 0x0
	.amdhsa_kernel _ZN2at6native12_GLOBAL__N_125multi_tensor_apply_kernelINS1_28TensorListScalarListMetadataIaLi2EEENS1_25BinaryOpScalarListFunctorIaLi2ELi1ELi1EEEJNS0_7maximumIaEEEEEvT_T0_DpT1_
		.amdhsa_group_segment_fixed_size 0
		.amdhsa_private_segment_fixed_size 0
		.amdhsa_kernarg_size 3464
		.amdhsa_user_sgpr_count 15
		.amdhsa_user_sgpr_dispatch_ptr 0
		.amdhsa_user_sgpr_queue_ptr 0
		.amdhsa_user_sgpr_kernarg_segment_ptr 1
		.amdhsa_user_sgpr_dispatch_id 0
		.amdhsa_user_sgpr_private_segment_size 0
		.amdhsa_wavefront_size32 1
		.amdhsa_uses_dynamic_stack 0
		.amdhsa_enable_private_segment 0
		.amdhsa_system_sgpr_workgroup_id_x 1
		.amdhsa_system_sgpr_workgroup_id_y 0
		.amdhsa_system_sgpr_workgroup_id_z 0
		.amdhsa_system_sgpr_workgroup_info 0
		.amdhsa_system_vgpr_workitem_id 0
		.amdhsa_next_free_vgpr 29
		.amdhsa_next_free_sgpr 23
		.amdhsa_reserve_vcc 1
		.amdhsa_float_round_mode_32 0
		.amdhsa_float_round_mode_16_64 0
		.amdhsa_float_denorm_mode_32 3
		.amdhsa_float_denorm_mode_16_64 3
		.amdhsa_dx10_clamp 1
		.amdhsa_ieee_mode 1
		.amdhsa_fp16_overflow 0
		.amdhsa_workgroup_processor_mode 1
		.amdhsa_memory_ordered 1
		.amdhsa_forward_progress 0
		.amdhsa_shared_vgpr_count 0
		.amdhsa_exception_fp_ieee_invalid_op 0
		.amdhsa_exception_fp_denorm_src 0
		.amdhsa_exception_fp_ieee_div_zero 0
		.amdhsa_exception_fp_ieee_overflow 0
		.amdhsa_exception_fp_ieee_underflow 0
		.amdhsa_exception_fp_ieee_inexact 0
		.amdhsa_exception_int_div_zero 0
	.end_amdhsa_kernel
	.section	.text._ZN2at6native12_GLOBAL__N_125multi_tensor_apply_kernelINS1_28TensorListScalarListMetadataIaLi2EEENS1_25BinaryOpScalarListFunctorIaLi2ELi1ELi1EEEJNS0_7maximumIaEEEEEvT_T0_DpT1_,"axG",@progbits,_ZN2at6native12_GLOBAL__N_125multi_tensor_apply_kernelINS1_28TensorListScalarListMetadataIaLi2EEENS1_25BinaryOpScalarListFunctorIaLi2ELi1ELi1EEEJNS0_7maximumIaEEEEEvT_T0_DpT1_,comdat
.Lfunc_end148:
	.size	_ZN2at6native12_GLOBAL__N_125multi_tensor_apply_kernelINS1_28TensorListScalarListMetadataIaLi2EEENS1_25BinaryOpScalarListFunctorIaLi2ELi1ELi1EEEJNS0_7maximumIaEEEEEvT_T0_DpT1_, .Lfunc_end148-_ZN2at6native12_GLOBAL__N_125multi_tensor_apply_kernelINS1_28TensorListScalarListMetadataIaLi2EEENS1_25BinaryOpScalarListFunctorIaLi2ELi1ELi1EEEJNS0_7maximumIaEEEEEvT_T0_DpT1_
                                        ; -- End function
	.section	.AMDGPU.csdata,"",@progbits
; Kernel info:
; codeLenInByte = 1504
; NumSgprs: 25
; NumVgprs: 29
; ScratchSize: 0
; MemoryBound: 0
; FloatMode: 240
; IeeeMode: 1
; LDSByteSize: 0 bytes/workgroup (compile time only)
; SGPRBlocks: 3
; VGPRBlocks: 3
; NumSGPRsForWavesPerEU: 25
; NumVGPRsForWavesPerEU: 29
; Occupancy: 16
; WaveLimiterHint : 0
; COMPUTE_PGM_RSRC2:SCRATCH_EN: 0
; COMPUTE_PGM_RSRC2:USER_SGPR: 15
; COMPUTE_PGM_RSRC2:TRAP_HANDLER: 0
; COMPUTE_PGM_RSRC2:TGID_X_EN: 1
; COMPUTE_PGM_RSRC2:TGID_Y_EN: 0
; COMPUTE_PGM_RSRC2:TGID_Z_EN: 0
; COMPUTE_PGM_RSRC2:TIDIG_COMP_CNT: 0
	.section	.text._ZN2at6native12_GLOBAL__N_125multi_tensor_apply_kernelINS1_28TensorListScalarListMetadataIiLi2EEENS1_25BinaryOpScalarListFunctorIiLi2ELi1ELi1EEEJNS0_7maximumIiEEEEEvT_T0_DpT1_,"axG",@progbits,_ZN2at6native12_GLOBAL__N_125multi_tensor_apply_kernelINS1_28TensorListScalarListMetadataIiLi2EEENS1_25BinaryOpScalarListFunctorIiLi2ELi1ELi1EEEJNS0_7maximumIiEEEEEvT_T0_DpT1_,comdat
	.globl	_ZN2at6native12_GLOBAL__N_125multi_tensor_apply_kernelINS1_28TensorListScalarListMetadataIiLi2EEENS1_25BinaryOpScalarListFunctorIiLi2ELi1ELi1EEEJNS0_7maximumIiEEEEEvT_T0_DpT1_ ; -- Begin function _ZN2at6native12_GLOBAL__N_125multi_tensor_apply_kernelINS1_28TensorListScalarListMetadataIiLi2EEENS1_25BinaryOpScalarListFunctorIiLi2ELi1ELi1EEEJNS0_7maximumIiEEEEEvT_T0_DpT1_
	.p2align	8
	.type	_ZN2at6native12_GLOBAL__N_125multi_tensor_apply_kernelINS1_28TensorListScalarListMetadataIiLi2EEENS1_25BinaryOpScalarListFunctorIiLi2ELi1ELi1EEEJNS0_7maximumIiEEEEEvT_T0_DpT1_,@function
_ZN2at6native12_GLOBAL__N_125multi_tensor_apply_kernelINS1_28TensorListScalarListMetadataIiLi2EEENS1_25BinaryOpScalarListFunctorIiLi2ELi1ELi1EEEJNS0_7maximumIiEEEEEvT_T0_DpT1_: ; @_ZN2at6native12_GLOBAL__N_125multi_tensor_apply_kernelINS1_28TensorListScalarListMetadataIiLi2EEENS1_25BinaryOpScalarListFunctorIiLi2ELi1ELi1EEEJNS0_7maximumIiEEEEEvT_T0_DpT1_
; %bb.0:
	v_mov_b32_e32 v1, s15
	s_add_u32 s2, s0, s15
	s_mul_hi_u32 s3, s15, 3
	s_mul_i32 s15, s15, 3
	s_addc_u32 s4, s1, 0
	global_load_u8 v1, v1, s[0:1] offset:1792
	s_add_u32 s2, s2, s15
	s_addc_u32 s3, s4, s3
	s_mov_b32 s13, 0
	s_load_b32 s6, s[2:3], 0x840
	s_waitcnt lgkmcnt(0)
	s_ashr_i32 s7, s6, 31
	s_waitcnt vmcnt(0)
	v_readfirstlane_b32 s2, v1
	v_lshlrev_b32_e32 v1, 2, v1
	s_delay_alu instid0(VALU_DEP_2)
	s_lshl_b32 s8, s2, 3
	s_clause 0x2
	s_load_b64 s[10:11], s[0:1], s8 offset:0x400
	s_load_b64 s[4:5], s[0:1], s8 offset:0x0
	;; [unrolled: 1-line block ×3, first 2 shown]
	s_add_u32 s8, s0, s8
	s_addc_u32 s9, s1, 0
	v_sub_co_u32 v1, s8, s8, v1
	s_delay_alu instid0(VALU_DEP_1) | instskip(NEXT) | instid1(VALU_DEP_2)
	v_sub_co_ci_u32_e64 v2, null, s9, 0, s8
	v_readfirstlane_b32 s8, v1
	s_delay_alu instid0(VALU_DEP_2)
	v_readfirstlane_b32 s9, v2
	s_load_b32 s14, s[8:9], 0x600
	s_lshl_b64 s[8:9], s[6:7], 18
	s_waitcnt lgkmcnt(0)
	s_add_u32 s15, s4, s8
	s_addc_u32 s16, s5, s9
	s_and_b32 s12, s15, 15
	s_add_u32 s17, s2, s8
	s_addc_u32 s18, s3, s9
	s_and_b32 s19, s10, 3
	s_and_b32 s20, s17, 15
	s_or_b32 s12, s12, s19
	s_lshl_b64 s[6:7], s[6:7], 16
	s_or_b32 s12, s20, s12
	s_sub_u32 s6, s10, s6
	s_subb_u32 s7, s11, s7
	s_cmp_eq_u64 s[12:13], 0
	s_mov_b32 s10, -1
	s_cbranch_scc1 .LBB149_21
; %bb.1:
	v_cmp_lt_i64_e64 s10, s[6:7], 1
	s_delay_alu instid0(VALU_DEP_1)
	s_and_b32 vcc_lo, exec_lo, s10
	s_cbranch_vccnz .LBB149_20
; %bb.2:
	s_load_b32 s10, s[0:1], 0xd54
	v_dual_mov_b32 v10, 0 :: v_dual_lshlrev_b32 v9, 2, v0
	v_cmp_gt_u64_e64 s11, 0x10000, s[6:7]
	s_delay_alu instid0(VALU_DEP_2) | instskip(NEXT) | instid1(VALU_DEP_1)
	v_add_co_u32 v1, s12, s4, v9
	v_add_co_ci_u32_e64 v2, null, s5, 0, s12
	v_add_co_u32 v3, s12, s2, v9
	s_delay_alu instid0(VALU_DEP_1)
	v_add_co_ci_u32_e64 v4, null, s3, 0, s12
	s_waitcnt lgkmcnt(0)
	s_and_b32 s12, s10, 0xffff
	s_and_b32 s10, s11, exec_lo
	v_mad_u64_u32 v[7:8], null, s12, 12, v[9:10]
	s_cselect_b32 s11, s7, 0
	s_cselect_b32 s10, s6, 0x10000
	s_mul_i32 s19, s12, 3
	s_lshl_b32 s20, s12, 3
	s_lshl_b32 s13, s12, 1
	v_add_co_u32 v14, s20, s20, v9
	v_add_co_u32 v9, s19, s19, v0
	s_delay_alu instid0(VALU_DEP_1)
	v_add_co_ci_u32_e64 v10, null, 0, 0, s19
	v_add_co_u32 v13, s19, v0, s12
	v_add_co_u32 v5, vcc_lo, s4, v7
	v_add_co_ci_u32_e32 v6, vcc_lo, s5, v8, vcc_lo
	v_add_co_u32 v7, vcc_lo, s2, v7
	v_add_co_ci_u32_e64 v15, null, 0, 0, s20
	v_lshlrev_b32_e32 v21, 2, v13
	v_add_co_ci_u32_e32 v8, vcc_lo, s3, v8, vcc_lo
	v_add_co_u32 v11, vcc_lo, s4, v14
	s_delay_alu instid0(VALU_DEP_4)
	v_add_co_ci_u32_e32 v12, vcc_lo, s5, v15, vcc_lo
	v_add_co_u32 v14, vcc_lo, s2, v14
	v_add_co_u32 v17, s13, s13, v0
	v_add_co_u32 v19, s4, s4, v21
	;; [unrolled: 1-line block ×3, first 2 shown]
	v_add_co_ci_u32_e32 v15, vcc_lo, s3, v15, vcc_lo
	v_add_co_ci_u32_e64 v16, null, 0, 0, s19
	v_add_co_ci_u32_e64 v18, null, 0, 0, s13
	;; [unrolled: 1-line block ×4, first 2 shown]
	s_lshl_b32 s19, s12, 2
	s_lshl_b32 s20, s12, 4
	s_mov_b64 s[12:13], 0
	s_branch .LBB149_4
.LBB149_3:                              ;   in Loop: Header=BB149_4 Depth=1
	s_or_b32 exec_lo, exec_lo, s2
	v_add_co_u32 v1, vcc_lo, v1, s20
	v_add_co_ci_u32_e32 v2, vcc_lo, 0, v2, vcc_lo
	v_add_co_u32 v3, vcc_lo, v3, s20
	v_add_co_ci_u32_e32 v4, vcc_lo, 0, v4, vcc_lo
	;; [unrolled: 2-line block ×5, first 2 shown]
	s_add_u32 s12, s12, s19
	v_add_co_u32 v14, vcc_lo, v14, s20
	s_addc_u32 s13, s13, 0
	v_add_co_ci_u32_e32 v15, vcc_lo, 0, v15, vcc_lo
	v_cmp_lt_i64_e64 s2, s[12:13], s[6:7]
	v_cmp_gt_u64_e64 s3, 0x10000, s[12:13]
	v_add_co_u32 v19, vcc_lo, v19, s20
	v_add_co_ci_u32_e32 v20, vcc_lo, 0, v20, vcc_lo
	v_add_co_u32 v21, vcc_lo, v21, s20
	v_add_co_ci_u32_e32 v22, vcc_lo, 0, v22, vcc_lo
	s_and_b32 s2, s2, s3
	s_delay_alu instid0(SALU_CYCLE_1)
	s_and_b32 vcc_lo, exec_lo, s2
	s_cbranch_vccz .LBB149_20
.LBB149_4:                              ; =>This Inner Loop Header: Depth=1
	s_waitcnt vmcnt(0)
	v_add_co_u32 v23, s2, v0, s12
	s_delay_alu instid0(VALU_DEP_1) | instskip(NEXT) | instid1(VALU_DEP_1)
	v_add_co_ci_u32_e64 v24, null, 0, s13, s2
	v_cmp_gt_u64_e32 vcc_lo, s[10:11], v[23:24]
	v_mov_b32_e32 v23, 0
	s_and_saveexec_b32 s3, vcc_lo
	s_cbranch_execz .LBB149_6
; %bb.5:                                ;   in Loop: Header=BB149_4 Depth=1
	v_add_co_u32 v23, s2, v1, s8
	s_delay_alu instid0(VALU_DEP_1)
	v_add_co_ci_u32_e64 v24, s2, s9, v2, s2
	global_load_b32 v23, v[23:24], off
.LBB149_6:                              ;   in Loop: Header=BB149_4 Depth=1
	s_or_b32 exec_lo, exec_lo, s3
	v_add_co_u32 v24, s2, v13, s12
	s_delay_alu instid0(VALU_DEP_1) | instskip(NEXT) | instid1(VALU_DEP_1)
	v_add_co_ci_u32_e64 v25, s2, s13, v16, s2
	v_cmp_gt_u64_e64 s2, s[10:11], v[24:25]
	v_mov_b32_e32 v25, 0
	s_delay_alu instid0(VALU_DEP_2)
	s_and_saveexec_b32 s4, s2
	s_cbranch_execz .LBB149_8
; %bb.7:                                ;   in Loop: Header=BB149_4 Depth=1
	v_add_co_u32 v24, s3, v19, s8
	s_delay_alu instid0(VALU_DEP_1)
	v_add_co_ci_u32_e64 v25, s3, s9, v20, s3
	global_load_b32 v25, v[24:25], off
.LBB149_8:                              ;   in Loop: Header=BB149_4 Depth=1
	s_or_b32 exec_lo, exec_lo, s4
	v_add_co_u32 v26, s3, v17, s12
	s_delay_alu instid0(VALU_DEP_1) | instskip(SKIP_1) | instid1(VALU_DEP_2)
	v_add_co_ci_u32_e64 v27, s3, s13, v18, s3
	v_mov_b32_e32 v24, 0
	v_cmp_gt_u64_e64 s3, s[10:11], v[26:27]
	v_mov_b32_e32 v26, 0
	s_delay_alu instid0(VALU_DEP_2)
	s_and_saveexec_b32 s5, s3
	s_cbranch_execz .LBB149_10
; %bb.9:                                ;   in Loop: Header=BB149_4 Depth=1
	v_add_co_u32 v26, s4, v11, s8
	s_delay_alu instid0(VALU_DEP_1)
	v_add_co_ci_u32_e64 v27, s4, s9, v12, s4
	global_load_b32 v26, v[26:27], off
.LBB149_10:                             ;   in Loop: Header=BB149_4 Depth=1
	s_or_b32 exec_lo, exec_lo, s5
	v_add_co_u32 v27, s4, v9, s12
	s_delay_alu instid0(VALU_DEP_1) | instskip(NEXT) | instid1(VALU_DEP_1)
	v_add_co_ci_u32_e64 v28, s4, s13, v10, s4
	v_cmp_gt_u64_e64 s4, s[10:11], v[27:28]
	s_delay_alu instid0(VALU_DEP_1)
	s_and_saveexec_b32 s21, s4
	s_cbranch_execnz .LBB149_15
; %bb.11:                               ;   in Loop: Header=BB149_4 Depth=1
	s_or_b32 exec_lo, exec_lo, s21
	s_and_saveexec_b32 s5, vcc_lo
	s_cbranch_execnz .LBB149_16
.LBB149_12:                             ;   in Loop: Header=BB149_4 Depth=1
	s_or_b32 exec_lo, exec_lo, s5
	s_and_saveexec_b32 s5, s2
	s_cbranch_execnz .LBB149_17
.LBB149_13:                             ;   in Loop: Header=BB149_4 Depth=1
	s_or_b32 exec_lo, exec_lo, s5
	s_and_saveexec_b32 s2, s3
	s_cbranch_execnz .LBB149_18
.LBB149_14:                             ;   in Loop: Header=BB149_4 Depth=1
	s_or_b32 exec_lo, exec_lo, s2
	s_and_saveexec_b32 s2, s4
	s_cbranch_execz .LBB149_3
	s_branch .LBB149_19
.LBB149_15:                             ;   in Loop: Header=BB149_4 Depth=1
	v_add_co_u32 v27, s5, v5, s8
	s_delay_alu instid0(VALU_DEP_1)
	v_add_co_ci_u32_e64 v28, s5, s9, v6, s5
	global_load_b32 v24, v[27:28], off
	s_or_b32 exec_lo, exec_lo, s21
	s_and_saveexec_b32 s5, vcc_lo
	s_cbranch_execz .LBB149_12
.LBB149_16:                             ;   in Loop: Header=BB149_4 Depth=1
	v_add_co_u32 v27, vcc_lo, v3, s8
	s_waitcnt vmcnt(0)
	v_max_i32_e32 v23, s14, v23
	v_add_co_ci_u32_e32 v28, vcc_lo, s9, v4, vcc_lo
	global_store_b32 v[27:28], v23, off
	s_or_b32 exec_lo, exec_lo, s5
	s_and_saveexec_b32 s5, s2
	s_cbranch_execz .LBB149_13
.LBB149_17:                             ;   in Loop: Header=BB149_4 Depth=1
	v_add_co_u32 v27, vcc_lo, v21, s8
	s_waitcnt vmcnt(0)
	v_max_i32_e32 v23, s14, v25
	v_add_co_ci_u32_e32 v28, vcc_lo, s9, v22, vcc_lo
	global_store_b32 v[27:28], v23, off
	s_or_b32 exec_lo, exec_lo, s5
	s_and_saveexec_b32 s2, s3
	s_cbranch_execz .LBB149_14
.LBB149_18:                             ;   in Loop: Header=BB149_4 Depth=1
	s_waitcnt vmcnt(0)
	v_add_co_u32 v25, vcc_lo, v14, s8
	v_max_i32_e32 v23, s14, v26
	v_add_co_ci_u32_e32 v26, vcc_lo, s9, v15, vcc_lo
	global_store_b32 v[25:26], v23, off
	s_or_b32 exec_lo, exec_lo, s2
	s_and_saveexec_b32 s2, s4
	s_cbranch_execz .LBB149_3
.LBB149_19:                             ;   in Loop: Header=BB149_4 Depth=1
	s_waitcnt vmcnt(0)
	v_add_co_u32 v23, vcc_lo, v7, s8
	v_max_i32_e32 v25, s14, v24
	v_add_co_ci_u32_e32 v24, vcc_lo, s9, v8, vcc_lo
	global_store_b32 v[23:24], v25, off
	s_branch .LBB149_3
.LBB149_20:
	s_mov_b32 s10, 0
.LBB149_21:
	s_delay_alu instid0(SALU_CYCLE_1)
	s_and_not1_b32 vcc_lo, exec_lo, s10
	s_cbranch_vccnz .LBB149_25
; %bb.22:
	v_dual_mov_b32 v2, 0 :: v_dual_lshlrev_b32 v1, 2, v0
	s_mov_b32 s2, 0
	s_mov_b32 s3, exec_lo
	s_delay_alu instid0(VALU_DEP_1)
	v_cmpx_gt_i64_e64 s[6:7], v[1:2]
	s_cbranch_execz .LBB149_25
; %bb.23:
	s_load_b32 s0, s[0:1], 0xd54
	s_waitcnt lgkmcnt(0)
	s_and_b32 s0, s0, 0xffff
	s_delay_alu instid0(SALU_CYCLE_1)
	v_add_lshl_u32 v1, v0, s0, 2
	v_lshlrev_b32_e32 v0, 4, v0
	s_lshl_b32 s3, s0, 2
	s_lshl_b32 s4, s0, 4
	s_set_inst_prefetch_distance 0x1
	.p2align	6
.LBB149_24:                             ; =>This Inner Loop Header: Depth=1
	s_delay_alu instid0(VALU_DEP_1) | instskip(NEXT) | instid1(VALU_DEP_1)
	v_add_co_u32 v3, s0, s15, v0
	v_add_co_ci_u32_e64 v4, null, s16, 0, s0
	v_cmp_le_i64_e32 vcc_lo, s[6:7], v[1:2]
	v_cmp_lt_u64_e64 s0, 0xffff, v[1:2]
	v_add_co_u32 v7, s1, s17, v0
	global_load_b128 v[3:6], v[3:4], off
	v_add_co_ci_u32_e64 v8, null, s18, 0, s1
	s_or_b32 s0, vcc_lo, s0
	s_add_u32 s15, s15, s4
	v_add_co_u32 v1, s1, v1, s3
	s_addc_u32 s16, s16, 0
	s_add_u32 s17, s17, s4
	v_add_co_ci_u32_e64 v2, s1, 0, v2, s1
	s_addc_u32 s18, s18, 0
	s_and_b32 s0, exec_lo, s0
	s_delay_alu instid0(SALU_CYCLE_1)
	s_or_b32 s2, s0, s2
	s_waitcnt vmcnt(0)
	v_max_i32_e32 v3, s14, v3
	v_max_i32_e32 v4, s14, v4
	;; [unrolled: 1-line block ×4, first 2 shown]
	global_store_b128 v[7:8], v[3:6], off
	s_and_not1_b32 exec_lo, exec_lo, s2
	s_cbranch_execnz .LBB149_24
.LBB149_25:
	s_set_inst_prefetch_distance 0x2
	s_nop 0
	s_sendmsg sendmsg(MSG_DEALLOC_VGPRS)
	s_endpgm
	.section	.rodata,"a",@progbits
	.p2align	6, 0x0
	.amdhsa_kernel _ZN2at6native12_GLOBAL__N_125multi_tensor_apply_kernelINS1_28TensorListScalarListMetadataIiLi2EEENS1_25BinaryOpScalarListFunctorIiLi2ELi1ELi1EEEJNS0_7maximumIiEEEEEvT_T0_DpT1_
		.amdhsa_group_segment_fixed_size 0
		.amdhsa_private_segment_fixed_size 0
		.amdhsa_kernarg_size 3656
		.amdhsa_user_sgpr_count 15
		.amdhsa_user_sgpr_dispatch_ptr 0
		.amdhsa_user_sgpr_queue_ptr 0
		.amdhsa_user_sgpr_kernarg_segment_ptr 1
		.amdhsa_user_sgpr_dispatch_id 0
		.amdhsa_user_sgpr_private_segment_size 0
		.amdhsa_wavefront_size32 1
		.amdhsa_uses_dynamic_stack 0
		.amdhsa_enable_private_segment 0
		.amdhsa_system_sgpr_workgroup_id_x 1
		.amdhsa_system_sgpr_workgroup_id_y 0
		.amdhsa_system_sgpr_workgroup_id_z 0
		.amdhsa_system_sgpr_workgroup_info 0
		.amdhsa_system_vgpr_workitem_id 0
		.amdhsa_next_free_vgpr 29
		.amdhsa_next_free_sgpr 22
		.amdhsa_reserve_vcc 1
		.amdhsa_float_round_mode_32 0
		.amdhsa_float_round_mode_16_64 0
		.amdhsa_float_denorm_mode_32 3
		.amdhsa_float_denorm_mode_16_64 3
		.amdhsa_dx10_clamp 1
		.amdhsa_ieee_mode 1
		.amdhsa_fp16_overflow 0
		.amdhsa_workgroup_processor_mode 1
		.amdhsa_memory_ordered 1
		.amdhsa_forward_progress 0
		.amdhsa_shared_vgpr_count 0
		.amdhsa_exception_fp_ieee_invalid_op 0
		.amdhsa_exception_fp_denorm_src 0
		.amdhsa_exception_fp_ieee_div_zero 0
		.amdhsa_exception_fp_ieee_overflow 0
		.amdhsa_exception_fp_ieee_underflow 0
		.amdhsa_exception_fp_ieee_inexact 0
		.amdhsa_exception_int_div_zero 0
	.end_amdhsa_kernel
	.section	.text._ZN2at6native12_GLOBAL__N_125multi_tensor_apply_kernelINS1_28TensorListScalarListMetadataIiLi2EEENS1_25BinaryOpScalarListFunctorIiLi2ELi1ELi1EEEJNS0_7maximumIiEEEEEvT_T0_DpT1_,"axG",@progbits,_ZN2at6native12_GLOBAL__N_125multi_tensor_apply_kernelINS1_28TensorListScalarListMetadataIiLi2EEENS1_25BinaryOpScalarListFunctorIiLi2ELi1ELi1EEEJNS0_7maximumIiEEEEEvT_T0_DpT1_,comdat
.Lfunc_end149:
	.size	_ZN2at6native12_GLOBAL__N_125multi_tensor_apply_kernelINS1_28TensorListScalarListMetadataIiLi2EEENS1_25BinaryOpScalarListFunctorIiLi2ELi1ELi1EEEJNS0_7maximumIiEEEEEvT_T0_DpT1_, .Lfunc_end149-_ZN2at6native12_GLOBAL__N_125multi_tensor_apply_kernelINS1_28TensorListScalarListMetadataIiLi2EEENS1_25BinaryOpScalarListFunctorIiLi2ELi1ELi1EEEJNS0_7maximumIiEEEEEvT_T0_DpT1_
                                        ; -- End function
	.section	.AMDGPU.csdata,"",@progbits
; Kernel info:
; codeLenInByte = 1440
; NumSgprs: 24
; NumVgprs: 29
; ScratchSize: 0
; MemoryBound: 0
; FloatMode: 240
; IeeeMode: 1
; LDSByteSize: 0 bytes/workgroup (compile time only)
; SGPRBlocks: 2
; VGPRBlocks: 3
; NumSGPRsForWavesPerEU: 24
; NumVGPRsForWavesPerEU: 29
; Occupancy: 16
; WaveLimiterHint : 0
; COMPUTE_PGM_RSRC2:SCRATCH_EN: 0
; COMPUTE_PGM_RSRC2:USER_SGPR: 15
; COMPUTE_PGM_RSRC2:TRAP_HANDLER: 0
; COMPUTE_PGM_RSRC2:TGID_X_EN: 1
; COMPUTE_PGM_RSRC2:TGID_Y_EN: 0
; COMPUTE_PGM_RSRC2:TGID_Z_EN: 0
; COMPUTE_PGM_RSRC2:TIDIG_COMP_CNT: 0
	.section	.text._ZN2at6native12_GLOBAL__N_125multi_tensor_apply_kernelINS1_28TensorListScalarListMetadataIlLi2EEENS1_25BinaryOpScalarListFunctorIlLi2ELi1ELi1EEEJNS0_7maximumIlEEEEEvT_T0_DpT1_,"axG",@progbits,_ZN2at6native12_GLOBAL__N_125multi_tensor_apply_kernelINS1_28TensorListScalarListMetadataIlLi2EEENS1_25BinaryOpScalarListFunctorIlLi2ELi1ELi1EEEJNS0_7maximumIlEEEEEvT_T0_DpT1_,comdat
	.globl	_ZN2at6native12_GLOBAL__N_125multi_tensor_apply_kernelINS1_28TensorListScalarListMetadataIlLi2EEENS1_25BinaryOpScalarListFunctorIlLi2ELi1ELi1EEEJNS0_7maximumIlEEEEEvT_T0_DpT1_ ; -- Begin function _ZN2at6native12_GLOBAL__N_125multi_tensor_apply_kernelINS1_28TensorListScalarListMetadataIlLi2EEENS1_25BinaryOpScalarListFunctorIlLi2ELi1ELi1EEEJNS0_7maximumIlEEEEEvT_T0_DpT1_
	.p2align	8
	.type	_ZN2at6native12_GLOBAL__N_125multi_tensor_apply_kernelINS1_28TensorListScalarListMetadataIlLi2EEENS1_25BinaryOpScalarListFunctorIlLi2ELi1ELi1EEEJNS0_7maximumIlEEEEEvT_T0_DpT1_,@function
_ZN2at6native12_GLOBAL__N_125multi_tensor_apply_kernelINS1_28TensorListScalarListMetadataIlLi2EEENS1_25BinaryOpScalarListFunctorIlLi2ELi1ELi1EEEJNS0_7maximumIlEEEEEvT_T0_DpT1_: ; @_ZN2at6native12_GLOBAL__N_125multi_tensor_apply_kernelINS1_28TensorListScalarListMetadataIlLi2EEENS1_25BinaryOpScalarListFunctorIlLi2ELi1ELi1EEEJNS0_7maximumIlEEEEEvT_T0_DpT1_
; %bb.0:
	v_mov_b32_e32 v1, s15
	s_add_u32 s2, s0, s15
	s_mul_hi_u32 s3, s15, 3
	s_mul_i32 s15, s15, 3
	s_addc_u32 s4, s1, 0
	global_load_u8 v1, v1, s[0:1] offset:2048
	s_add_u32 s2, s2, s15
	s_addc_u32 s3, s4, s3
	s_mov_b32 s15, 0
	s_load_b32 s8, s[2:3], 0x940
	s_mov_b32 s21, s15
	s_mov_b32 s23, s15
	s_waitcnt vmcnt(0)
	v_readfirstlane_b32 s2, v1
	s_delay_alu instid0(VALU_DEP_1)
	s_lshl_b32 s9, s2, 3
	s_clause 0x3
	s_load_b64 s[2:3], s[0:1], s9 offset:0x0
	s_load_b64 s[6:7], s[0:1], s9 offset:0x600
	s_load_b64 s[4:5], s[0:1], s9 offset:0x200
	s_load_b64 s[12:13], s[0:1], s9 offset:0x400
	s_waitcnt lgkmcnt(0)
	s_ashr_i32 s9, s8, 31
	s_delay_alu instid0(SALU_CYCLE_1) | instskip(NEXT) | instid1(SALU_CYCLE_1)
	s_lshl_b64 s[10:11], s[8:9], 19
	s_add_u32 s16, s2, s10
	s_addc_u32 s17, s3, s11
	s_and_b32 s14, s16, 31
	s_add_u32 s18, s4, s10
	s_addc_u32 s19, s5, s11
	s_and_b32 s20, s12, 3
	s_and_b32 s22, s18, 31
	s_or_b64 s[14:15], s[14:15], s[20:21]
	s_lshl_b64 s[8:9], s[8:9], 16
	s_or_b64 s[14:15], s[22:23], s[14:15]
	s_sub_u32 s8, s12, s8
	s_subb_u32 s9, s13, s9
	s_cmp_eq_u64 s[14:15], 0
	s_mov_b32 s12, -1
	s_cbranch_scc1 .LBB150_21
; %bb.1:
	v_cmp_lt_i64_e64 s12, s[8:9], 1
	s_delay_alu instid0(VALU_DEP_1)
	s_and_b32 vcc_lo, exec_lo, s12
	s_cbranch_vccnz .LBB150_20
; %bb.2:
	s_load_b32 s12, s[0:1], 0xe54
	v_dual_mov_b32 v2, 0 :: v_dual_lshlrev_b32 v1, 3, v0
	v_cmp_gt_u64_e64 s13, 0x10000, s[8:9]
	s_delay_alu instid0(VALU_DEP_2) | instskip(NEXT) | instid1(VALU_DEP_1)
	v_add_co_u32 v9, s14, s2, v1
	v_add_co_ci_u32_e64 v10, null, s3, 0, s14
	v_add_co_u32 v11, s14, s4, v1
	s_delay_alu instid0(VALU_DEP_1)
	v_add_co_ci_u32_e64 v12, null, s5, 0, s14
	s_waitcnt lgkmcnt(0)
	s_and_b32 s14, s12, 0xffff
	s_and_b32 s12, s13, exec_lo
	v_mad_u64_u32 v[3:4], null, s14, 24, v[1:2]
	s_cselect_b32 s13, s9, 0
	s_cselect_b32 s12, s8, 0x10000
	s_lshl_b32 s21, s14, 4
	s_mul_i32 s20, s14, 3
	v_add_co_u32 v1, s21, s21, v1
	s_delay_alu instid0(VALU_DEP_2) | instskip(NEXT) | instid1(VALU_DEP_3)
	v_add_co_u32 v13, vcc_lo, s2, v3
	v_add_co_ci_u32_e32 v14, vcc_lo, s3, v4, vcc_lo
	v_add_co_u32 v17, s20, s20, v0
	v_add_co_u32 v15, vcc_lo, s4, v3
	v_add_co_ci_u32_e64 v2, null, 0, 0, s21
	v_add_co_ci_u32_e64 v18, null, 0, 0, s20
	v_add_co_u32 v21, s20, v0, s14
	v_add_co_ci_u32_e32 v16, vcc_lo, s5, v4, vcc_lo
	v_add_co_u32 v19, vcc_lo, s2, v1
	v_add_co_ci_u32_e32 v20, vcc_lo, s3, v2, vcc_lo
	v_add_co_u32 v22, vcc_lo, s4, v1
	v_lshlrev_b32_e32 v1, 3, v21
	s_lshl_b32 s15, s14, 1
	v_add_co_ci_u32_e32 v23, vcc_lo, s5, v2, vcc_lo
	v_add_co_u32 v25, s15, s15, v0
	s_delay_alu instid0(VALU_DEP_3) | instskip(NEXT) | instid1(VALU_DEP_1)
	v_add_co_u32 v27, s2, s2, v1
	v_add_co_ci_u32_e64 v28, null, s3, 0, s2
	v_add_co_u32 v29, s2, s4, v1
	v_add_co_ci_u32_e64 v24, null, 0, 0, s20
	v_add_co_ci_u32_e64 v26, null, 0, 0, s15
	;; [unrolled: 1-line block ×3, first 2 shown]
	s_lshl_b32 s20, s14, 2
	s_lshl_b32 s21, s14, 5
	s_mov_b64 s[14:15], 0
	s_branch .LBB150_4
.LBB150_3:                              ;   in Loop: Header=BB150_4 Depth=1
	s_or_b32 exec_lo, exec_lo, s2
	v_add_co_u32 v9, vcc_lo, v9, s21
	v_add_co_ci_u32_e32 v10, vcc_lo, 0, v10, vcc_lo
	v_add_co_u32 v11, vcc_lo, v11, s21
	v_add_co_ci_u32_e32 v12, vcc_lo, 0, v12, vcc_lo
	v_add_co_u32 v13, vcc_lo, v13, s21
	v_add_co_ci_u32_e32 v14, vcc_lo, 0, v14, vcc_lo
	v_add_co_u32 v15, vcc_lo, v15, s21
	v_add_co_ci_u32_e32 v16, vcc_lo, 0, v16, vcc_lo
	v_add_co_u32 v19, vcc_lo, v19, s21
	v_add_co_ci_u32_e32 v20, vcc_lo, 0, v20, vcc_lo
	s_add_u32 s14, s14, s20
	v_add_co_u32 v22, vcc_lo, v22, s21
	s_addc_u32 s15, s15, 0
	v_add_co_ci_u32_e32 v23, vcc_lo, 0, v23, vcc_lo
	v_cmp_lt_i64_e64 s2, s[14:15], s[8:9]
	v_cmp_gt_u64_e64 s3, 0x10000, s[14:15]
	v_add_co_u32 v27, vcc_lo, v27, s21
	v_add_co_ci_u32_e32 v28, vcc_lo, 0, v28, vcc_lo
	v_add_co_u32 v29, vcc_lo, v29, s21
	v_add_co_ci_u32_e32 v30, vcc_lo, 0, v30, vcc_lo
	s_and_b32 s2, s2, s3
	s_delay_alu instid0(SALU_CYCLE_1)
	s_and_b32 vcc_lo, exec_lo, s2
	s_cbranch_vccz .LBB150_20
.LBB150_4:                              ; =>This Inner Loop Header: Depth=1
	s_waitcnt vmcnt(0)
	v_add_co_u32 v3, s2, v0, s14
	s_delay_alu instid0(VALU_DEP_1) | instskip(SKIP_2) | instid1(VALU_DEP_3)
	v_add_co_ci_u32_e64 v4, null, 0, s15, s2
	v_mov_b32_e32 v1, 0
	v_mov_b32_e32 v2, 0
	v_cmp_gt_u64_e32 vcc_lo, s[12:13], v[3:4]
	s_delay_alu instid0(VALU_DEP_2)
	v_dual_mov_b32 v6, v2 :: v_dual_mov_b32 v5, v1
	s_and_saveexec_b32 s3, vcc_lo
	s_cbranch_execz .LBB150_6
; %bb.5:                                ;   in Loop: Header=BB150_4 Depth=1
	v_add_co_u32 v3, s2, v9, s10
	s_delay_alu instid0(VALU_DEP_1)
	v_add_co_ci_u32_e64 v4, s2, s11, v10, s2
	global_load_b64 v[5:6], v[3:4], off
.LBB150_6:                              ;   in Loop: Header=BB150_4 Depth=1
	s_or_b32 exec_lo, exec_lo, s3
	v_add_co_u32 v3, s2, v21, s14
	s_delay_alu instid0(VALU_DEP_1) | instskip(NEXT) | instid1(VALU_DEP_1)
	v_add_co_ci_u32_e64 v4, s2, s15, v24, s2
	v_cmp_gt_u64_e64 s2, s[12:13], v[3:4]
	s_delay_alu instid0(VALU_DEP_1)
	s_and_saveexec_b32 s4, s2
	s_cbranch_execz .LBB150_8
; %bb.7:                                ;   in Loop: Header=BB150_4 Depth=1
	v_add_co_u32 v1, s3, v27, s10
	s_delay_alu instid0(VALU_DEP_1)
	v_add_co_ci_u32_e64 v2, s3, s11, v28, s3
	global_load_b64 v[1:2], v[1:2], off
.LBB150_8:                              ;   in Loop: Header=BB150_4 Depth=1
	s_or_b32 exec_lo, exec_lo, s4
	v_add_co_u32 v7, s3, v25, s14
	s_delay_alu instid0(VALU_DEP_1) | instskip(SKIP_2) | instid1(VALU_DEP_3)
	v_add_co_ci_u32_e64 v8, s3, s15, v26, s3
	v_mov_b32_e32 v3, 0
	v_mov_b32_e32 v4, 0
	v_cmp_gt_u64_e64 s3, s[12:13], v[7:8]
	s_delay_alu instid0(VALU_DEP_2) | instskip(NEXT) | instid1(VALU_DEP_2)
	v_dual_mov_b32 v8, v4 :: v_dual_mov_b32 v7, v3
	s_and_saveexec_b32 s5, s3
	s_cbranch_execz .LBB150_10
; %bb.9:                                ;   in Loop: Header=BB150_4 Depth=1
	v_add_co_u32 v7, s4, v19, s10
	s_delay_alu instid0(VALU_DEP_1)
	v_add_co_ci_u32_e64 v8, s4, s11, v20, s4
	global_load_b64 v[7:8], v[7:8], off
.LBB150_10:                             ;   in Loop: Header=BB150_4 Depth=1
	s_or_b32 exec_lo, exec_lo, s5
	v_add_co_u32 v31, s4, v17, s14
	s_delay_alu instid0(VALU_DEP_1) | instskip(NEXT) | instid1(VALU_DEP_1)
	v_add_co_ci_u32_e64 v32, s4, s15, v18, s4
	v_cmp_gt_u64_e64 s4, s[12:13], v[31:32]
	s_delay_alu instid0(VALU_DEP_1)
	s_and_saveexec_b32 s22, s4
	s_cbranch_execnz .LBB150_15
; %bb.11:                               ;   in Loop: Header=BB150_4 Depth=1
	s_or_b32 exec_lo, exec_lo, s22
	s_and_saveexec_b32 s5, vcc_lo
	s_cbranch_execnz .LBB150_16
.LBB150_12:                             ;   in Loop: Header=BB150_4 Depth=1
	s_or_b32 exec_lo, exec_lo, s5
	s_and_saveexec_b32 s5, s2
	s_cbranch_execnz .LBB150_17
.LBB150_13:                             ;   in Loop: Header=BB150_4 Depth=1
	s_or_b32 exec_lo, exec_lo, s5
	s_and_saveexec_b32 s2, s3
	s_cbranch_execnz .LBB150_18
.LBB150_14:                             ;   in Loop: Header=BB150_4 Depth=1
	s_or_b32 exec_lo, exec_lo, s2
	s_and_saveexec_b32 s2, s4
	s_cbranch_execz .LBB150_3
	s_branch .LBB150_19
.LBB150_15:                             ;   in Loop: Header=BB150_4 Depth=1
	v_add_co_u32 v3, s5, v13, s10
	s_delay_alu instid0(VALU_DEP_1)
	v_add_co_ci_u32_e64 v4, s5, s11, v14, s5
	global_load_b64 v[3:4], v[3:4], off
	s_or_b32 exec_lo, exec_lo, s22
	s_and_saveexec_b32 s5, vcc_lo
	s_cbranch_execz .LBB150_12
.LBB150_16:                             ;   in Loop: Header=BB150_4 Depth=1
	s_waitcnt vmcnt(0)
	v_cmp_lt_i64_e32 vcc_lo, s[6:7], v[5:6]
	v_cndmask_b32_e32 v6, s7, v6, vcc_lo
	v_cndmask_b32_e32 v5, s6, v5, vcc_lo
	v_add_co_u32 v31, vcc_lo, v11, s10
	v_add_co_ci_u32_e32 v32, vcc_lo, s11, v12, vcc_lo
	global_store_b64 v[31:32], v[5:6], off
	s_or_b32 exec_lo, exec_lo, s5
	s_and_saveexec_b32 s5, s2
	s_cbranch_execz .LBB150_13
.LBB150_17:                             ;   in Loop: Header=BB150_4 Depth=1
	s_waitcnt vmcnt(0)
	v_cmp_lt_i64_e32 vcc_lo, s[6:7], v[1:2]
	v_cndmask_b32_e32 v2, s7, v2, vcc_lo
	v_cndmask_b32_e32 v1, s6, v1, vcc_lo
	v_add_co_u32 v5, vcc_lo, v29, s10
	v_add_co_ci_u32_e32 v6, vcc_lo, s11, v30, vcc_lo
	global_store_b64 v[5:6], v[1:2], off
	s_or_b32 exec_lo, exec_lo, s5
	s_and_saveexec_b32 s2, s3
	s_cbranch_execz .LBB150_14
.LBB150_18:                             ;   in Loop: Header=BB150_4 Depth=1
	s_waitcnt vmcnt(0)
	v_cmp_lt_i64_e32 vcc_lo, s[6:7], v[7:8]
	v_cndmask_b32_e32 v2, s7, v8, vcc_lo
	v_cndmask_b32_e32 v1, s6, v7, vcc_lo
	v_add_co_u32 v5, vcc_lo, v22, s10
	v_add_co_ci_u32_e32 v6, vcc_lo, s11, v23, vcc_lo
	global_store_b64 v[5:6], v[1:2], off
	s_or_b32 exec_lo, exec_lo, s2
	s_and_saveexec_b32 s2, s4
	s_cbranch_execz .LBB150_3
.LBB150_19:                             ;   in Loop: Header=BB150_4 Depth=1
	s_waitcnt vmcnt(0)
	v_cmp_lt_i64_e32 vcc_lo, s[6:7], v[3:4]
	v_cndmask_b32_e32 v2, s7, v4, vcc_lo
	v_cndmask_b32_e32 v1, s6, v3, vcc_lo
	v_add_co_u32 v3, vcc_lo, v15, s10
	v_add_co_ci_u32_e32 v4, vcc_lo, s11, v16, vcc_lo
	global_store_b64 v[3:4], v[1:2], off
	s_branch .LBB150_3
.LBB150_20:
	s_mov_b32 s12, 0
.LBB150_21:
	s_delay_alu instid0(SALU_CYCLE_1)
	s_and_not1_b32 vcc_lo, exec_lo, s12
	s_cbranch_vccnz .LBB150_25
; %bb.22:
	s_waitcnt vmcnt(0)
	v_dual_mov_b32 v2, 0 :: v_dual_lshlrev_b32 v1, 2, v0
	s_mov_b32 s3, 0
	s_mov_b32 s2, exec_lo
	s_delay_alu instid0(VALU_DEP_1)
	v_cmpx_gt_i64_e64 s[8:9], v[1:2]
	s_cbranch_execz .LBB150_25
; %bb.23:
	s_load_b32 s0, s[0:1], 0xe54
	s_waitcnt lgkmcnt(0)
	s_and_b32 s0, s0, 0xffff
	s_delay_alu instid0(SALU_CYCLE_1)
	v_add_lshl_u32 v1, v0, s0, 2
	v_lshlrev_b32_e32 v0, 5, v0
	s_lshl_b32 s4, s0, 2
	s_lshl_b32 s5, s0, 5
.LBB150_24:                             ; =>This Inner Loop Header: Depth=1
	s_delay_alu instid0(VALU_DEP_1) | instskip(NEXT) | instid1(VALU_DEP_1)
	v_add_co_u32 v7, s0, s16, v0
	v_add_co_ci_u32_e64 v8, null, s17, 0, s0
	v_cmp_le_i64_e32 vcc_lo, s[8:9], v[1:2]
	v_cmp_lt_u64_e64 s0, 0xffff, v[1:2]
	v_add_co_u32 v11, s1, s18, v0
	s_clause 0x1
	global_load_b128 v[3:6], v[7:8], off
	global_load_b128 v[7:10], v[7:8], off offset:16
	v_add_co_ci_u32_e64 v12, null, s19, 0, s1
	v_add_co_u32 v1, s1, v1, s4
	s_delay_alu instid0(VALU_DEP_1)
	v_add_co_ci_u32_e64 v2, s1, 0, v2, s1
	s_or_b32 s10, vcc_lo, s0
	s_add_u32 s16, s16, s5
	s_addc_u32 s17, s17, 0
	s_add_u32 s18, s18, s5
	s_addc_u32 s19, s19, 0
	s_waitcnt vmcnt(1)
	v_cmp_lt_i64_e32 vcc_lo, s[6:7], v[3:4]
	v_cmp_lt_i64_e64 s0, s[6:7], v[5:6]
	s_waitcnt vmcnt(0)
	v_cmp_lt_i64_e64 s1, s[6:7], v[7:8]
	v_cmp_lt_i64_e64 s2, s[6:7], v[9:10]
	v_cndmask_b32_e32 v4, s7, v4, vcc_lo
	s_delay_alu instid0(VALU_DEP_4)
	v_cndmask_b32_e64 v6, s7, v6, s0
	v_cndmask_b32_e32 v3, s6, v3, vcc_lo
	v_cndmask_b32_e64 v5, s6, v5, s0
	v_cndmask_b32_e64 v8, s7, v8, s1
	;; [unrolled: 1-line block ×5, first 2 shown]
	s_and_b32 s0, exec_lo, s10
	s_clause 0x1
	global_store_b128 v[11:12], v[3:6], off
	global_store_b128 v[11:12], v[7:10], off offset:16
	s_or_b32 s3, s0, s3
	s_delay_alu instid0(SALU_CYCLE_1)
	s_and_not1_b32 exec_lo, exec_lo, s3
	s_cbranch_execnz .LBB150_24
.LBB150_25:
	s_nop 0
	s_sendmsg sendmsg(MSG_DEALLOC_VGPRS)
	s_endpgm
	.section	.rodata,"a",@progbits
	.p2align	6, 0x0
	.amdhsa_kernel _ZN2at6native12_GLOBAL__N_125multi_tensor_apply_kernelINS1_28TensorListScalarListMetadataIlLi2EEENS1_25BinaryOpScalarListFunctorIlLi2ELi1ELi1EEEJNS0_7maximumIlEEEEEvT_T0_DpT1_
		.amdhsa_group_segment_fixed_size 0
		.amdhsa_private_segment_fixed_size 0
		.amdhsa_kernarg_size 3912
		.amdhsa_user_sgpr_count 15
		.amdhsa_user_sgpr_dispatch_ptr 0
		.amdhsa_user_sgpr_queue_ptr 0
		.amdhsa_user_sgpr_kernarg_segment_ptr 1
		.amdhsa_user_sgpr_dispatch_id 0
		.amdhsa_user_sgpr_private_segment_size 0
		.amdhsa_wavefront_size32 1
		.amdhsa_uses_dynamic_stack 0
		.amdhsa_enable_private_segment 0
		.amdhsa_system_sgpr_workgroup_id_x 1
		.amdhsa_system_sgpr_workgroup_id_y 0
		.amdhsa_system_sgpr_workgroup_id_z 0
		.amdhsa_system_sgpr_workgroup_info 0
		.amdhsa_system_vgpr_workitem_id 0
		.amdhsa_next_free_vgpr 33
		.amdhsa_next_free_sgpr 24
		.amdhsa_reserve_vcc 1
		.amdhsa_float_round_mode_32 0
		.amdhsa_float_round_mode_16_64 0
		.amdhsa_float_denorm_mode_32 3
		.amdhsa_float_denorm_mode_16_64 3
		.amdhsa_dx10_clamp 1
		.amdhsa_ieee_mode 1
		.amdhsa_fp16_overflow 0
		.amdhsa_workgroup_processor_mode 1
		.amdhsa_memory_ordered 1
		.amdhsa_forward_progress 0
		.amdhsa_shared_vgpr_count 0
		.amdhsa_exception_fp_ieee_invalid_op 0
		.amdhsa_exception_fp_denorm_src 0
		.amdhsa_exception_fp_ieee_div_zero 0
		.amdhsa_exception_fp_ieee_overflow 0
		.amdhsa_exception_fp_ieee_underflow 0
		.amdhsa_exception_fp_ieee_inexact 0
		.amdhsa_exception_int_div_zero 0
	.end_amdhsa_kernel
	.section	.text._ZN2at6native12_GLOBAL__N_125multi_tensor_apply_kernelINS1_28TensorListScalarListMetadataIlLi2EEENS1_25BinaryOpScalarListFunctorIlLi2ELi1ELi1EEEJNS0_7maximumIlEEEEEvT_T0_DpT1_,"axG",@progbits,_ZN2at6native12_GLOBAL__N_125multi_tensor_apply_kernelINS1_28TensorListScalarListMetadataIlLi2EEENS1_25BinaryOpScalarListFunctorIlLi2ELi1ELi1EEEJNS0_7maximumIlEEEEEvT_T0_DpT1_,comdat
.Lfunc_end150:
	.size	_ZN2at6native12_GLOBAL__N_125multi_tensor_apply_kernelINS1_28TensorListScalarListMetadataIlLi2EEENS1_25BinaryOpScalarListFunctorIlLi2ELi1ELi1EEEJNS0_7maximumIlEEEEEvT_T0_DpT1_, .Lfunc_end150-_ZN2at6native12_GLOBAL__N_125multi_tensor_apply_kernelINS1_28TensorListScalarListMetadataIlLi2EEENS1_25BinaryOpScalarListFunctorIlLi2ELi1ELi1EEEJNS0_7maximumIlEEEEEvT_T0_DpT1_
                                        ; -- End function
	.section	.AMDGPU.csdata,"",@progbits
; Kernel info:
; codeLenInByte = 1556
; NumSgprs: 26
; NumVgprs: 33
; ScratchSize: 0
; MemoryBound: 0
; FloatMode: 240
; IeeeMode: 1
; LDSByteSize: 0 bytes/workgroup (compile time only)
; SGPRBlocks: 3
; VGPRBlocks: 4
; NumSGPRsForWavesPerEU: 26
; NumVGPRsForWavesPerEU: 33
; Occupancy: 16
; WaveLimiterHint : 1
; COMPUTE_PGM_RSRC2:SCRATCH_EN: 0
; COMPUTE_PGM_RSRC2:USER_SGPR: 15
; COMPUTE_PGM_RSRC2:TRAP_HANDLER: 0
; COMPUTE_PGM_RSRC2:TGID_X_EN: 1
; COMPUTE_PGM_RSRC2:TGID_Y_EN: 0
; COMPUTE_PGM_RSRC2:TGID_Z_EN: 0
; COMPUTE_PGM_RSRC2:TIDIG_COMP_CNT: 0
	.section	.text._ZN2at6native12_GLOBAL__N_125multi_tensor_apply_kernelINS1_28TensorListScalarListMetadataIsLi2EEENS1_25BinaryOpScalarListFunctorIsLi2ELi1ELi1EEEJNS0_7maximumIsEEEEEvT_T0_DpT1_,"axG",@progbits,_ZN2at6native12_GLOBAL__N_125multi_tensor_apply_kernelINS1_28TensorListScalarListMetadataIsLi2EEENS1_25BinaryOpScalarListFunctorIsLi2ELi1ELi1EEEJNS0_7maximumIsEEEEEvT_T0_DpT1_,comdat
	.globl	_ZN2at6native12_GLOBAL__N_125multi_tensor_apply_kernelINS1_28TensorListScalarListMetadataIsLi2EEENS1_25BinaryOpScalarListFunctorIsLi2ELi1ELi1EEEJNS0_7maximumIsEEEEEvT_T0_DpT1_ ; -- Begin function _ZN2at6native12_GLOBAL__N_125multi_tensor_apply_kernelINS1_28TensorListScalarListMetadataIsLi2EEENS1_25BinaryOpScalarListFunctorIsLi2ELi1ELi1EEEJNS0_7maximumIsEEEEEvT_T0_DpT1_
	.p2align	8
	.type	_ZN2at6native12_GLOBAL__N_125multi_tensor_apply_kernelINS1_28TensorListScalarListMetadataIsLi2EEENS1_25BinaryOpScalarListFunctorIsLi2ELi1ELi1EEEJNS0_7maximumIsEEEEEvT_T0_DpT1_,@function
_ZN2at6native12_GLOBAL__N_125multi_tensor_apply_kernelINS1_28TensorListScalarListMetadataIsLi2EEENS1_25BinaryOpScalarListFunctorIsLi2ELi1ELi1EEEJNS0_7maximumIsEEEEEvT_T0_DpT1_: ; @_ZN2at6native12_GLOBAL__N_125multi_tensor_apply_kernelINS1_28TensorListScalarListMetadataIsLi2EEENS1_25BinaryOpScalarListFunctorIsLi2ELi1ELi1EEEJNS0_7maximumIsEEEEEvT_T0_DpT1_
; %bb.0:
	v_mov_b32_e32 v1, s15
	s_add_u32 s2, s0, s15
	s_mul_hi_u32 s3, s15, 3
	s_mul_i32 s15, s15, 3
	s_addc_u32 s4, s1, 0
	global_load_u8 v1, v1, s[0:1] offset:1664
	s_add_u32 s2, s2, s15
	s_addc_u32 s3, s4, s3
	s_mov_b32 s15, 0
	s_load_b32 s2, s[2:3], 0x7c0
	s_waitcnt vmcnt(0)
	v_readfirstlane_b32 s3, v1
	v_mul_lo_u32 v2, v1, -6
	v_mul_hi_i32 v3, v1, -6
	s_delay_alu instid0(VALU_DEP_3) | instskip(SKIP_4) | instid1(VALU_DEP_2)
	s_lshl_b32 s8, s3, 3
	s_waitcnt lgkmcnt(0)
	s_ashr_i32 s3, s2, 31
	s_add_u32 s6, s0, s8
	s_addc_u32 s7, s1, 0
	v_add_co_u32 v1, vcc_lo, s6, v2
	s_delay_alu instid0(VALU_DEP_2)
	v_add_co_ci_u32_e32 v2, vcc_lo, s7, v3, vcc_lo
	s_load_b64 s[4:5], s[0:1], s8 offset:0x400
	s_lshl_b64 s[12:13], s[2:3], 17
	s_lshl_b64 s[2:3], s[2:3], 16
	global_load_u16 v3, v[1:2], off offset:1536
	s_clause 0x1
	s_load_b64 s[6:7], s[0:1], s8 offset:0x0
	s_load_b64 s[8:9], s[0:1], s8 offset:0x200
	s_waitcnt lgkmcnt(0)
	s_and_b32 s11, s4, 3
	s_and_b32 s10, s6, 7
	;; [unrolled: 1-line block ×3, first 2 shown]
	s_or_b32 s10, s10, s11
	s_delay_alu instid0(SALU_CYCLE_1)
	s_or_b32 s14, s14, s10
	s_sub_u32 s10, s4, s2
	s_subb_u32 s11, s5, s3
	s_cmp_eq_u64 s[14:15], 0
	s_mov_b32 s2, -1
	s_cbranch_scc1 .LBB151_21
; %bb.1:
	v_cmp_lt_i64_e64 s2, s[10:11], 1
	s_delay_alu instid0(VALU_DEP_1)
	s_and_b32 vcc_lo, exec_lo, s2
	s_cbranch_vccnz .LBB151_20
; %bb.2:
	s_load_b32 s2, s[0:1], 0xcd4
	v_dual_mov_b32 v11, 0 :: v_dual_lshlrev_b32 v10, 1, v0
	v_cmp_gt_u64_e64 s3, 0x10000, s[10:11]
	s_mov_b64 s[16:17], 0
	s_delay_alu instid0(VALU_DEP_2) | instskip(NEXT) | instid1(VALU_DEP_1)
	v_add_co_u32 v1, s4, s6, v10
	v_add_co_ci_u32_e64 v2, null, s7, 0, s4
	v_add_co_u32 v4, s4, s8, v10
	s_delay_alu instid0(VALU_DEP_1)
	v_add_co_ci_u32_e64 v5, null, s9, 0, s4
	s_waitcnt lgkmcnt(0)
	s_and_b32 s2, s2, 0xffff
	s_and_b32 s3, s3, exec_lo
	v_mad_u64_u32 v[8:9], null, s2, 6, v[10:11]
	s_cselect_b32 s15, s11, 0
	s_cselect_b32 s14, s10, 0x10000
	s_mul_i32 s4, s2, 3
	s_lshl_b32 s18, s2, 2
	s_lshl_b32 s3, s2, 1
	v_add_co_u32 v15, s5, s18, v10
	v_add_co_u32 v10, s4, s4, v0
	s_delay_alu instid0(VALU_DEP_1) | instskip(SKIP_3) | instid1(VALU_DEP_3)
	v_add_co_ci_u32_e64 v11, null, 0, 0, s4
	v_add_co_u32 v14, s4, v0, s2
	v_add_co_u32 v6, vcc_lo, s6, v8
	v_add_co_ci_u32_e32 v7, vcc_lo, s7, v9, vcc_lo
	v_lshlrev_b32_e32 v22, 1, v14
	v_add_co_u32 v8, vcc_lo, s8, v8
	v_add_co_ci_u32_e64 v16, null, 0, 0, s5
	v_add_co_ci_u32_e32 v9, vcc_lo, s9, v9, vcc_lo
	v_add_co_u32 v18, s3, s3, v0
	v_add_co_u32 v12, vcc_lo, s6, v15
	v_add_co_ci_u32_e64 v19, null, 0, 0, s3
	v_add_co_u32 v20, s3, s6, v22
	v_add_co_ci_u32_e32 v13, vcc_lo, s7, v16, vcc_lo
	v_add_co_u32 v15, vcc_lo, s8, v15
	v_add_co_ci_u32_e64 v21, null, s7, 0, s3
	v_add_co_u32 v22, s3, s8, v22
	v_add_co_ci_u32_e32 v16, vcc_lo, s9, v16, vcc_lo
	v_add_co_ci_u32_e64 v17, null, 0, 0, s4
	v_add_co_ci_u32_e64 v23, null, s9, 0, s3
	s_lshl_b32 s19, s2, 3
	s_branch .LBB151_4
.LBB151_3:                              ;   in Loop: Header=BB151_4 Depth=1
	s_or_b32 exec_lo, exec_lo, s2
	v_add_co_u32 v1, vcc_lo, v1, s19
	v_add_co_ci_u32_e32 v2, vcc_lo, 0, v2, vcc_lo
	v_add_co_u32 v4, vcc_lo, v4, s19
	v_add_co_ci_u32_e32 v5, vcc_lo, 0, v5, vcc_lo
	;; [unrolled: 2-line block ×5, first 2 shown]
	s_add_u32 s16, s16, s18
	v_add_co_u32 v15, vcc_lo, v15, s19
	s_addc_u32 s17, s17, 0
	v_add_co_ci_u32_e32 v16, vcc_lo, 0, v16, vcc_lo
	v_cmp_lt_i64_e64 s2, s[16:17], s[10:11]
	v_cmp_gt_u64_e64 s3, 0x10000, s[16:17]
	v_add_co_u32 v20, vcc_lo, v20, s19
	v_add_co_ci_u32_e32 v21, vcc_lo, 0, v21, vcc_lo
	v_add_co_u32 v22, vcc_lo, v22, s19
	v_add_co_ci_u32_e32 v23, vcc_lo, 0, v23, vcc_lo
	s_and_b32 s2, s2, s3
	s_delay_alu instid0(SALU_CYCLE_1)
	s_and_b32 vcc_lo, exec_lo, s2
	s_cbranch_vccz .LBB151_20
.LBB151_4:                              ; =>This Inner Loop Header: Depth=1
	s_waitcnt vmcnt(0)
	v_add_co_u32 v24, s2, v0, s16
	s_delay_alu instid0(VALU_DEP_1) | instskip(NEXT) | instid1(VALU_DEP_1)
	v_add_co_ci_u32_e64 v25, null, 0, s17, s2
	v_cmp_gt_u64_e32 vcc_lo, s[14:15], v[24:25]
	v_mov_b32_e32 v24, 0
	s_and_saveexec_b32 s3, vcc_lo
	s_cbranch_execz .LBB151_6
; %bb.5:                                ;   in Loop: Header=BB151_4 Depth=1
	v_add_co_u32 v24, s2, v1, s12
	s_delay_alu instid0(VALU_DEP_1)
	v_add_co_ci_u32_e64 v25, s2, s13, v2, s2
	global_load_u16 v24, v[24:25], off
.LBB151_6:                              ;   in Loop: Header=BB151_4 Depth=1
	s_or_b32 exec_lo, exec_lo, s3
	v_add_co_u32 v25, s2, v14, s16
	s_delay_alu instid0(VALU_DEP_1) | instskip(NEXT) | instid1(VALU_DEP_1)
	v_add_co_ci_u32_e64 v26, s2, s17, v17, s2
	v_cmp_gt_u64_e64 s2, s[14:15], v[25:26]
	v_mov_b32_e32 v26, 0
	s_delay_alu instid0(VALU_DEP_2)
	s_and_saveexec_b32 s4, s2
	s_cbranch_execz .LBB151_8
; %bb.7:                                ;   in Loop: Header=BB151_4 Depth=1
	v_add_co_u32 v25, s3, v20, s12
	s_delay_alu instid0(VALU_DEP_1)
	v_add_co_ci_u32_e64 v26, s3, s13, v21, s3
	global_load_u16 v26, v[25:26], off
.LBB151_8:                              ;   in Loop: Header=BB151_4 Depth=1
	s_or_b32 exec_lo, exec_lo, s4
	v_add_co_u32 v27, s3, v18, s16
	s_delay_alu instid0(VALU_DEP_1) | instskip(SKIP_1) | instid1(VALU_DEP_2)
	v_add_co_ci_u32_e64 v28, s3, s17, v19, s3
	v_mov_b32_e32 v25, 0
	v_cmp_gt_u64_e64 s3, s[14:15], v[27:28]
	v_mov_b32_e32 v27, 0
	s_delay_alu instid0(VALU_DEP_2)
	s_and_saveexec_b32 s5, s3
	s_cbranch_execz .LBB151_10
; %bb.9:                                ;   in Loop: Header=BB151_4 Depth=1
	v_add_co_u32 v27, s4, v12, s12
	s_delay_alu instid0(VALU_DEP_1)
	v_add_co_ci_u32_e64 v28, s4, s13, v13, s4
	global_load_u16 v27, v[27:28], off
.LBB151_10:                             ;   in Loop: Header=BB151_4 Depth=1
	s_or_b32 exec_lo, exec_lo, s5
	v_add_co_u32 v28, s4, v10, s16
	s_delay_alu instid0(VALU_DEP_1) | instskip(NEXT) | instid1(VALU_DEP_1)
	v_add_co_ci_u32_e64 v29, s4, s17, v11, s4
	v_cmp_gt_u64_e64 s4, s[14:15], v[28:29]
	s_delay_alu instid0(VALU_DEP_1)
	s_and_saveexec_b32 s20, s4
	s_cbranch_execnz .LBB151_15
; %bb.11:                               ;   in Loop: Header=BB151_4 Depth=1
	s_or_b32 exec_lo, exec_lo, s20
	s_and_saveexec_b32 s5, vcc_lo
	s_cbranch_execnz .LBB151_16
.LBB151_12:                             ;   in Loop: Header=BB151_4 Depth=1
	s_or_b32 exec_lo, exec_lo, s5
	s_and_saveexec_b32 s5, s2
	s_cbranch_execnz .LBB151_17
.LBB151_13:                             ;   in Loop: Header=BB151_4 Depth=1
	s_or_b32 exec_lo, exec_lo, s5
	s_and_saveexec_b32 s2, s3
	s_cbranch_execnz .LBB151_18
.LBB151_14:                             ;   in Loop: Header=BB151_4 Depth=1
	s_or_b32 exec_lo, exec_lo, s2
	s_and_saveexec_b32 s2, s4
	s_cbranch_execz .LBB151_3
	s_branch .LBB151_19
.LBB151_15:                             ;   in Loop: Header=BB151_4 Depth=1
	v_add_co_u32 v28, s5, v6, s12
	s_delay_alu instid0(VALU_DEP_1)
	v_add_co_ci_u32_e64 v29, s5, s13, v7, s5
	global_load_u16 v25, v[28:29], off
	s_or_b32 exec_lo, exec_lo, s20
	s_and_saveexec_b32 s5, vcc_lo
	s_cbranch_execz .LBB151_12
.LBB151_16:                             ;   in Loop: Header=BB151_4 Depth=1
	v_add_co_u32 v28, vcc_lo, v4, s12
	s_waitcnt vmcnt(0)
	v_max_i16 v24, v24, v3
	v_add_co_ci_u32_e32 v29, vcc_lo, s13, v5, vcc_lo
	global_store_b16 v[28:29], v24, off
	s_or_b32 exec_lo, exec_lo, s5
	s_and_saveexec_b32 s5, s2
	s_cbranch_execz .LBB151_13
.LBB151_17:                             ;   in Loop: Header=BB151_4 Depth=1
	v_add_co_u32 v28, vcc_lo, v22, s12
	s_waitcnt vmcnt(0)
	v_max_i16 v24, v26, v3
	v_add_co_ci_u32_e32 v29, vcc_lo, s13, v23, vcc_lo
	global_store_b16 v[28:29], v24, off
	s_or_b32 exec_lo, exec_lo, s5
	s_and_saveexec_b32 s2, s3
	s_cbranch_execz .LBB151_14
.LBB151_18:                             ;   in Loop: Header=BB151_4 Depth=1
	s_waitcnt vmcnt(0)
	v_add_co_u32 v26, vcc_lo, v15, s12
	v_max_i16 v24, v27, v3
	v_add_co_ci_u32_e32 v27, vcc_lo, s13, v16, vcc_lo
	global_store_b16 v[26:27], v24, off
	s_or_b32 exec_lo, exec_lo, s2
	s_and_saveexec_b32 s2, s4
	s_cbranch_execz .LBB151_3
.LBB151_19:                             ;   in Loop: Header=BB151_4 Depth=1
	s_waitcnt vmcnt(0)
	v_add_co_u32 v24, vcc_lo, v8, s12
	v_max_i16 v26, v25, v3
	v_add_co_ci_u32_e32 v25, vcc_lo, s13, v9, vcc_lo
	global_store_b16 v[24:25], v26, off
	s_branch .LBB151_3
.LBB151_20:
	s_mov_b32 s2, 0
.LBB151_21:
	s_delay_alu instid0(SALU_CYCLE_1)
	s_and_not1_b32 vcc_lo, exec_lo, s2
	s_cbranch_vccnz .LBB151_25
; %bb.22:
	v_dual_mov_b32 v2, 0 :: v_dual_lshlrev_b32 v1, 2, v0
	s_mov_b32 s2, 0
	s_mov_b32 s3, exec_lo
	s_delay_alu instid0(VALU_DEP_1)
	v_cmpx_gt_i64_e64 s[10:11], v[1:2]
	s_cbranch_execz .LBB151_25
; %bb.23:
	s_load_b32 s0, s[0:1], 0xcd4
	v_lshlrev_b32_e32 v1, 3, v0
	s_delay_alu instid0(VALU_DEP_1) | instskip(NEXT) | instid1(VALU_DEP_1)
	v_add_co_u32 v4, s1, s12, v1
	v_add_co_ci_u32_e64 v5, null, s13, 0, s1
	s_waitcnt lgkmcnt(0)
	s_and_b32 s0, s0, 0xffff
	s_delay_alu instid0(SALU_CYCLE_1)
	v_add_lshl_u32 v1, v0, s0, 2
	s_lshl_b32 s3, s0, 3
	s_lshl_b32 s4, s0, 2
	s_set_inst_prefetch_distance 0x1
	.p2align	6
.LBB151_24:                             ; =>This Inner Loop Header: Depth=1
	v_add_co_u32 v6, vcc_lo, s6, v4
	v_add_co_ci_u32_e32 v7, vcc_lo, s7, v5, vcc_lo
	v_add_co_u32 v8, vcc_lo, s8, v4
	v_add_co_ci_u32_e32 v9, vcc_lo, s9, v5, vcc_lo
	global_load_b64 v[6:7], v[6:7], off
	v_cmp_le_i64_e32 vcc_lo, s[10:11], v[1:2]
	v_cmp_lt_u64_e64 s0, 0xffff, v[1:2]
	v_add_co_u32 v4, s1, v4, s3
	s_delay_alu instid0(VALU_DEP_1) | instskip(SKIP_1) | instid1(VALU_DEP_4)
	v_add_co_ci_u32_e64 v5, s1, 0, v5, s1
	v_add_co_u32 v1, s1, v1, s4
	s_or_b32 s0, vcc_lo, s0
	v_add_co_ci_u32_e64 v2, s1, 0, v2, s1
	s_and_b32 s0, exec_lo, s0
	s_delay_alu instid0(SALU_CYCLE_1)
	s_or_b32 s2, s0, s2
	s_waitcnt vmcnt(0)
	v_lshrrev_b32_e32 v0, 16, v6
	v_lshrrev_b32_e32 v10, 16, v7
	v_max_i16 v6, v6, v3
	v_max_i16 v7, v7, v3
	s_delay_alu instid0(VALU_DEP_4) | instskip(NEXT) | instid1(VALU_DEP_4)
	v_max_i16 v0, v0, v3
	v_max_i16 v10, v10, v3
	s_delay_alu instid0(VALU_DEP_4) | instskip(NEXT) | instid1(VALU_DEP_4)
	v_and_b32_e32 v6, 0xffff, v6
	v_and_b32_e32 v7, 0xffff, v7
	s_delay_alu instid0(VALU_DEP_4) | instskip(NEXT) | instid1(VALU_DEP_4)
	v_lshlrev_b32_e32 v0, 16, v0
	v_lshlrev_b32_e32 v10, 16, v10
	s_delay_alu instid0(VALU_DEP_2) | instskip(NEXT) | instid1(VALU_DEP_2)
	v_or_b32_e32 v6, v0, v6
	v_or_b32_e32 v7, v10, v7
	global_store_b64 v[8:9], v[6:7], off
	s_and_not1_b32 exec_lo, exec_lo, s2
	s_cbranch_execnz .LBB151_24
.LBB151_25:
	s_set_inst_prefetch_distance 0x2
	s_nop 0
	s_sendmsg sendmsg(MSG_DEALLOC_VGPRS)
	s_endpgm
	.section	.rodata,"a",@progbits
	.p2align	6, 0x0
	.amdhsa_kernel _ZN2at6native12_GLOBAL__N_125multi_tensor_apply_kernelINS1_28TensorListScalarListMetadataIsLi2EEENS1_25BinaryOpScalarListFunctorIsLi2ELi1ELi1EEEJNS0_7maximumIsEEEEEvT_T0_DpT1_
		.amdhsa_group_segment_fixed_size 0
		.amdhsa_private_segment_fixed_size 0
		.amdhsa_kernarg_size 3528
		.amdhsa_user_sgpr_count 15
		.amdhsa_user_sgpr_dispatch_ptr 0
		.amdhsa_user_sgpr_queue_ptr 0
		.amdhsa_user_sgpr_kernarg_segment_ptr 1
		.amdhsa_user_sgpr_dispatch_id 0
		.amdhsa_user_sgpr_private_segment_size 0
		.amdhsa_wavefront_size32 1
		.amdhsa_uses_dynamic_stack 0
		.amdhsa_enable_private_segment 0
		.amdhsa_system_sgpr_workgroup_id_x 1
		.amdhsa_system_sgpr_workgroup_id_y 0
		.amdhsa_system_sgpr_workgroup_id_z 0
		.amdhsa_system_sgpr_workgroup_info 0
		.amdhsa_system_vgpr_workitem_id 0
		.amdhsa_next_free_vgpr 30
		.amdhsa_next_free_sgpr 21
		.amdhsa_reserve_vcc 1
		.amdhsa_float_round_mode_32 0
		.amdhsa_float_round_mode_16_64 0
		.amdhsa_float_denorm_mode_32 3
		.amdhsa_float_denorm_mode_16_64 3
		.amdhsa_dx10_clamp 1
		.amdhsa_ieee_mode 1
		.amdhsa_fp16_overflow 0
		.amdhsa_workgroup_processor_mode 1
		.amdhsa_memory_ordered 1
		.amdhsa_forward_progress 0
		.amdhsa_shared_vgpr_count 0
		.amdhsa_exception_fp_ieee_invalid_op 0
		.amdhsa_exception_fp_denorm_src 0
		.amdhsa_exception_fp_ieee_div_zero 0
		.amdhsa_exception_fp_ieee_overflow 0
		.amdhsa_exception_fp_ieee_underflow 0
		.amdhsa_exception_fp_ieee_inexact 0
		.amdhsa_exception_int_div_zero 0
	.end_amdhsa_kernel
	.section	.text._ZN2at6native12_GLOBAL__N_125multi_tensor_apply_kernelINS1_28TensorListScalarListMetadataIsLi2EEENS1_25BinaryOpScalarListFunctorIsLi2ELi1ELi1EEEJNS0_7maximumIsEEEEEvT_T0_DpT1_,"axG",@progbits,_ZN2at6native12_GLOBAL__N_125multi_tensor_apply_kernelINS1_28TensorListScalarListMetadataIsLi2EEENS1_25BinaryOpScalarListFunctorIsLi2ELi1ELi1EEEJNS0_7maximumIsEEEEEvT_T0_DpT1_,comdat
.Lfunc_end151:
	.size	_ZN2at6native12_GLOBAL__N_125multi_tensor_apply_kernelINS1_28TensorListScalarListMetadataIsLi2EEENS1_25BinaryOpScalarListFunctorIsLi2ELi1ELi1EEEJNS0_7maximumIsEEEEEvT_T0_DpT1_, .Lfunc_end151-_ZN2at6native12_GLOBAL__N_125multi_tensor_apply_kernelINS1_28TensorListScalarListMetadataIsLi2EEENS1_25BinaryOpScalarListFunctorIsLi2ELi1ELi1EEEJNS0_7maximumIsEEEEEvT_T0_DpT1_
                                        ; -- End function
	.section	.AMDGPU.csdata,"",@progbits
; Kernel info:
; codeLenInByte = 1516
; NumSgprs: 23
; NumVgprs: 30
; ScratchSize: 0
; MemoryBound: 0
; FloatMode: 240
; IeeeMode: 1
; LDSByteSize: 0 bytes/workgroup (compile time only)
; SGPRBlocks: 2
; VGPRBlocks: 3
; NumSGPRsForWavesPerEU: 23
; NumVGPRsForWavesPerEU: 30
; Occupancy: 16
; WaveLimiterHint : 0
; COMPUTE_PGM_RSRC2:SCRATCH_EN: 0
; COMPUTE_PGM_RSRC2:USER_SGPR: 15
; COMPUTE_PGM_RSRC2:TRAP_HANDLER: 0
; COMPUTE_PGM_RSRC2:TGID_X_EN: 1
; COMPUTE_PGM_RSRC2:TGID_Y_EN: 0
; COMPUTE_PGM_RSRC2:TGID_Z_EN: 0
; COMPUTE_PGM_RSRC2:TIDIG_COMP_CNT: 0
	.section	.text._ZN2at6native12_GLOBAL__N_125multi_tensor_apply_kernelINS1_28TensorListScalarListMetadataIdLi2EEENS1_25BinaryOpScalarListFunctorIdLi2ELi1ELi1EEEJNS0_7maximumIdEEEEEvT_T0_DpT1_,"axG",@progbits,_ZN2at6native12_GLOBAL__N_125multi_tensor_apply_kernelINS1_28TensorListScalarListMetadataIdLi2EEENS1_25BinaryOpScalarListFunctorIdLi2ELi1ELi1EEEJNS0_7maximumIdEEEEEvT_T0_DpT1_,comdat
	.globl	_ZN2at6native12_GLOBAL__N_125multi_tensor_apply_kernelINS1_28TensorListScalarListMetadataIdLi2EEENS1_25BinaryOpScalarListFunctorIdLi2ELi1ELi1EEEJNS0_7maximumIdEEEEEvT_T0_DpT1_ ; -- Begin function _ZN2at6native12_GLOBAL__N_125multi_tensor_apply_kernelINS1_28TensorListScalarListMetadataIdLi2EEENS1_25BinaryOpScalarListFunctorIdLi2ELi1ELi1EEEJNS0_7maximumIdEEEEEvT_T0_DpT1_
	.p2align	8
	.type	_ZN2at6native12_GLOBAL__N_125multi_tensor_apply_kernelINS1_28TensorListScalarListMetadataIdLi2EEENS1_25BinaryOpScalarListFunctorIdLi2ELi1ELi1EEEJNS0_7maximumIdEEEEEvT_T0_DpT1_,@function
_ZN2at6native12_GLOBAL__N_125multi_tensor_apply_kernelINS1_28TensorListScalarListMetadataIdLi2EEENS1_25BinaryOpScalarListFunctorIdLi2ELi1ELi1EEEJNS0_7maximumIdEEEEEvT_T0_DpT1_: ; @_ZN2at6native12_GLOBAL__N_125multi_tensor_apply_kernelINS1_28TensorListScalarListMetadataIdLi2EEENS1_25BinaryOpScalarListFunctorIdLi2ELi1ELi1EEEJNS0_7maximumIdEEEEEvT_T0_DpT1_
; %bb.0:
	v_mov_b32_e32 v1, s15
	s_add_u32 s2, s0, s15
	s_mul_hi_u32 s3, s15, 3
	s_mul_i32 s15, s15, 3
	s_addc_u32 s4, s1, 0
	global_load_u8 v1, v1, s[0:1] offset:2048
	s_add_u32 s2, s2, s15
	s_addc_u32 s3, s4, s3
	s_mov_b32 s15, 0
	s_load_b32 s8, s[2:3], 0x940
	s_mov_b32 s21, s15
	s_mov_b32 s23, s15
	s_waitcnt lgkmcnt(0)
	s_ashr_i32 s9, s8, 31
	s_waitcnt vmcnt(0)
	v_readfirstlane_b32 s2, v1
	s_delay_alu instid0(VALU_DEP_1)
	s_lshl_b32 s6, s2, 3
	s_clause 0x3
	s_load_b64 s[2:3], s[0:1], s6 offset:0x0
	s_load_b64 s[10:11], s[0:1], s6 offset:0x600
	;; [unrolled: 1-line block ×4, first 2 shown]
	s_lshl_b64 s[6:7], s[8:9], 19
	s_waitcnt lgkmcnt(0)
	s_add_u32 s16, s2, s6
	s_addc_u32 s17, s3, s7
	s_and_b32 s14, s16, 31
	s_add_u32 s18, s4, s6
	s_addc_u32 s19, s5, s7
	s_and_b32 s20, s12, 3
	s_and_b32 s22, s18, 31
	s_or_b64 s[14:15], s[14:15], s[20:21]
	s_lshl_b64 s[8:9], s[8:9], 16
	s_or_b64 s[14:15], s[22:23], s[14:15]
	s_sub_u32 s12, s12, s8
	s_subb_u32 s13, s13, s9
	s_cmp_eq_u64 s[14:15], 0
	s_mov_b32 s8, -1
	s_cbranch_scc1 .LBB152_21
; %bb.1:
	v_cmp_lt_i64_e64 s8, s[12:13], 1
	s_delay_alu instid0(VALU_DEP_1)
	s_and_b32 vcc_lo, exec_lo, s8
	s_cbranch_vccnz .LBB152_20
; %bb.2:
	s_load_b32 s8, s[0:1], 0xe54
	v_dual_mov_b32 v2, 0 :: v_dual_lshlrev_b32 v1, 3, v0
	v_cmp_gt_u64_e64 s9, 0x10000, s[12:13]
	s_delay_alu instid0(VALU_DEP_2) | instskip(NEXT) | instid1(VALU_DEP_1)
	v_add_co_u32 v9, s14, s2, v1
	v_add_co_ci_u32_e64 v10, null, s3, 0, s14
	v_add_co_u32 v11, s14, s4, v1
	s_delay_alu instid0(VALU_DEP_1)
	v_add_co_ci_u32_e64 v12, null, s5, 0, s14
	s_waitcnt lgkmcnt(0)
	s_and_b32 s14, s8, 0xffff
	s_and_b32 s8, s9, exec_lo
	v_mad_u64_u32 v[3:4], null, s14, 24, v[1:2]
	s_cselect_b32 s9, s13, 0
	s_cselect_b32 s8, s12, 0x10000
	s_lshl_b32 s21, s14, 4
	s_mul_i32 s20, s14, 3
	v_add_co_u32 v1, s21, s21, v1
	s_delay_alu instid0(VALU_DEP_2) | instskip(NEXT) | instid1(VALU_DEP_3)
	v_add_co_u32 v13, vcc_lo, s2, v3
	v_add_co_ci_u32_e32 v14, vcc_lo, s3, v4, vcc_lo
	v_add_co_u32 v17, s20, s20, v0
	v_add_co_u32 v15, vcc_lo, s4, v3
	v_add_co_ci_u32_e64 v2, null, 0, 0, s21
	v_add_co_ci_u32_e64 v18, null, 0, 0, s20
	v_add_co_u32 v21, s20, v0, s14
	v_add_co_ci_u32_e32 v16, vcc_lo, s5, v4, vcc_lo
	v_add_co_u32 v19, vcc_lo, s2, v1
	v_add_co_ci_u32_e32 v20, vcc_lo, s3, v2, vcc_lo
	v_add_co_u32 v22, vcc_lo, s4, v1
	v_lshlrev_b32_e32 v1, 3, v21
	s_lshl_b32 s15, s14, 1
	v_add_co_ci_u32_e32 v23, vcc_lo, s5, v2, vcc_lo
	v_add_co_u32 v25, s15, s15, v0
	s_delay_alu instid0(VALU_DEP_3) | instskip(NEXT) | instid1(VALU_DEP_1)
	v_add_co_u32 v27, s2, s2, v1
	v_add_co_ci_u32_e64 v28, null, s3, 0, s2
	v_add_co_u32 v29, s2, s4, v1
	v_add_co_ci_u32_e64 v24, null, 0, 0, s20
	v_add_co_ci_u32_e64 v26, null, 0, 0, s15
	;; [unrolled: 1-line block ×3, first 2 shown]
	s_lshl_b32 s20, s14, 2
	s_lshl_b32 s21, s14, 5
	s_mov_b64 s[14:15], 0
	s_branch .LBB152_4
.LBB152_3:                              ;   in Loop: Header=BB152_4 Depth=1
	s_or_b32 exec_lo, exec_lo, s3
	v_add_co_u32 v9, vcc_lo, v9, s21
	v_add_co_ci_u32_e32 v10, vcc_lo, 0, v10, vcc_lo
	v_add_co_u32 v11, vcc_lo, v11, s21
	v_add_co_ci_u32_e32 v12, vcc_lo, 0, v12, vcc_lo
	;; [unrolled: 2-line block ×5, first 2 shown]
	s_add_u32 s14, s14, s20
	v_add_co_u32 v22, vcc_lo, v22, s21
	s_addc_u32 s15, s15, 0
	v_add_co_ci_u32_e32 v23, vcc_lo, 0, v23, vcc_lo
	v_cmp_lt_i64_e64 s2, s[14:15], s[12:13]
	v_cmp_gt_u64_e64 s3, 0x10000, s[14:15]
	v_add_co_u32 v27, vcc_lo, v27, s21
	v_add_co_ci_u32_e32 v28, vcc_lo, 0, v28, vcc_lo
	v_add_co_u32 v29, vcc_lo, v29, s21
	v_add_co_ci_u32_e32 v30, vcc_lo, 0, v30, vcc_lo
	s_and_b32 s2, s2, s3
	s_delay_alu instid0(SALU_CYCLE_1)
	s_and_b32 vcc_lo, exec_lo, s2
	s_cbranch_vccz .LBB152_20
.LBB152_4:                              ; =>This Inner Loop Header: Depth=1
	s_waitcnt vmcnt(0)
	v_add_co_u32 v3, s2, v0, s14
	s_delay_alu instid0(VALU_DEP_1) | instskip(SKIP_2) | instid1(VALU_DEP_3)
	v_add_co_ci_u32_e64 v4, null, 0, s15, s2
	v_mov_b32_e32 v1, 0
	v_mov_b32_e32 v2, 0
	v_cmp_gt_u64_e32 vcc_lo, s[8:9], v[3:4]
	s_delay_alu instid0(VALU_DEP_2)
	v_dual_mov_b32 v6, v2 :: v_dual_mov_b32 v5, v1
	s_and_saveexec_b32 s3, vcc_lo
	s_cbranch_execz .LBB152_6
; %bb.5:                                ;   in Loop: Header=BB152_4 Depth=1
	v_add_co_u32 v3, s2, v9, s6
	s_delay_alu instid0(VALU_DEP_1)
	v_add_co_ci_u32_e64 v4, s2, s7, v10, s2
	global_load_b64 v[5:6], v[3:4], off
.LBB152_6:                              ;   in Loop: Header=BB152_4 Depth=1
	s_or_b32 exec_lo, exec_lo, s3
	v_add_co_u32 v3, s2, v21, s14
	s_delay_alu instid0(VALU_DEP_1) | instskip(NEXT) | instid1(VALU_DEP_1)
	v_add_co_ci_u32_e64 v4, s2, s15, v24, s2
	v_cmp_gt_u64_e64 s2, s[8:9], v[3:4]
	s_delay_alu instid0(VALU_DEP_1)
	s_and_saveexec_b32 s4, s2
	s_cbranch_execz .LBB152_8
; %bb.7:                                ;   in Loop: Header=BB152_4 Depth=1
	v_add_co_u32 v1, s3, v27, s6
	s_delay_alu instid0(VALU_DEP_1)
	v_add_co_ci_u32_e64 v2, s3, s7, v28, s3
	global_load_b64 v[1:2], v[1:2], off
.LBB152_8:                              ;   in Loop: Header=BB152_4 Depth=1
	s_or_b32 exec_lo, exec_lo, s4
	v_add_co_u32 v7, s3, v25, s14
	s_delay_alu instid0(VALU_DEP_1) | instskip(SKIP_2) | instid1(VALU_DEP_3)
	v_add_co_ci_u32_e64 v8, s3, s15, v26, s3
	v_mov_b32_e32 v3, 0
	v_mov_b32_e32 v4, 0
	v_cmp_gt_u64_e64 s3, s[8:9], v[7:8]
	s_delay_alu instid0(VALU_DEP_2) | instskip(NEXT) | instid1(VALU_DEP_2)
	v_dual_mov_b32 v8, v4 :: v_dual_mov_b32 v7, v3
	s_and_saveexec_b32 s5, s3
	s_cbranch_execz .LBB152_10
; %bb.9:                                ;   in Loop: Header=BB152_4 Depth=1
	v_add_co_u32 v7, s4, v19, s6
	s_delay_alu instid0(VALU_DEP_1)
	v_add_co_ci_u32_e64 v8, s4, s7, v20, s4
	global_load_b64 v[7:8], v[7:8], off
.LBB152_10:                             ;   in Loop: Header=BB152_4 Depth=1
	s_or_b32 exec_lo, exec_lo, s5
	v_add_co_u32 v31, s4, v17, s14
	s_delay_alu instid0(VALU_DEP_1) | instskip(NEXT) | instid1(VALU_DEP_1)
	v_add_co_ci_u32_e64 v32, s4, s15, v18, s4
	v_cmp_gt_u64_e64 s4, s[8:9], v[31:32]
	s_delay_alu instid0(VALU_DEP_1)
	s_and_saveexec_b32 s22, s4
	s_cbranch_execnz .LBB152_15
; %bb.11:                               ;   in Loop: Header=BB152_4 Depth=1
	s_or_b32 exec_lo, exec_lo, s22
	s_and_saveexec_b32 s22, vcc_lo
	s_cbranch_execnz .LBB152_16
.LBB152_12:                             ;   in Loop: Header=BB152_4 Depth=1
	s_or_b32 exec_lo, exec_lo, s22
	s_and_saveexec_b32 s5, s2
	s_cbranch_execnz .LBB152_17
.LBB152_13:                             ;   in Loop: Header=BB152_4 Depth=1
	s_or_b32 exec_lo, exec_lo, s5
	s_and_saveexec_b32 s5, s3
	s_cbranch_execnz .LBB152_18
.LBB152_14:                             ;   in Loop: Header=BB152_4 Depth=1
	s_or_b32 exec_lo, exec_lo, s5
	s_and_saveexec_b32 s3, s4
	s_cbranch_execz .LBB152_3
	s_branch .LBB152_19
.LBB152_15:                             ;   in Loop: Header=BB152_4 Depth=1
	v_add_co_u32 v3, s5, v13, s6
	s_delay_alu instid0(VALU_DEP_1)
	v_add_co_ci_u32_e64 v4, s5, s7, v14, s5
	global_load_b64 v[3:4], v[3:4], off
	s_or_b32 exec_lo, exec_lo, s22
	s_and_saveexec_b32 s22, vcc_lo
	s_cbranch_execz .LBB152_12
.LBB152_16:                             ;   in Loop: Header=BB152_4 Depth=1
	s_waitcnt vmcnt(0)
	v_cmp_u_f64_e32 vcc_lo, v[5:6], v[5:6]
	v_cmp_lt_f64_e64 s5, s[10:11], v[5:6]
	s_delay_alu instid0(VALU_DEP_1)
	s_or_b32 vcc_lo, vcc_lo, s5
	v_cndmask_b32_e32 v6, s11, v6, vcc_lo
	v_cndmask_b32_e32 v5, s10, v5, vcc_lo
	v_add_co_u32 v31, vcc_lo, v11, s6
	v_add_co_ci_u32_e32 v32, vcc_lo, s7, v12, vcc_lo
	global_store_b64 v[31:32], v[5:6], off
	s_or_b32 exec_lo, exec_lo, s22
	s_and_saveexec_b32 s5, s2
	s_cbranch_execz .LBB152_13
.LBB152_17:                             ;   in Loop: Header=BB152_4 Depth=1
	s_waitcnt vmcnt(0)
	v_cmp_u_f64_e32 vcc_lo, v[1:2], v[1:2]
	v_cmp_lt_f64_e64 s2, s[10:11], v[1:2]
	s_delay_alu instid0(VALU_DEP_1)
	s_or_b32 vcc_lo, vcc_lo, s2
	v_cndmask_b32_e32 v2, s11, v2, vcc_lo
	v_cndmask_b32_e32 v1, s10, v1, vcc_lo
	v_add_co_u32 v5, vcc_lo, v29, s6
	v_add_co_ci_u32_e32 v6, vcc_lo, s7, v30, vcc_lo
	global_store_b64 v[5:6], v[1:2], off
	s_or_b32 exec_lo, exec_lo, s5
	s_and_saveexec_b32 s5, s3
	s_cbranch_execz .LBB152_14
.LBB152_18:                             ;   in Loop: Header=BB152_4 Depth=1
	s_waitcnt vmcnt(0)
	v_cmp_u_f64_e32 vcc_lo, v[7:8], v[7:8]
	v_cmp_lt_f64_e64 s2, s[10:11], v[7:8]
	s_delay_alu instid0(VALU_DEP_1)
	s_or_b32 vcc_lo, vcc_lo, s2
	v_cndmask_b32_e32 v2, s11, v8, vcc_lo
	v_cndmask_b32_e32 v1, s10, v7, vcc_lo
	v_add_co_u32 v5, vcc_lo, v22, s6
	v_add_co_ci_u32_e32 v6, vcc_lo, s7, v23, vcc_lo
	global_store_b64 v[5:6], v[1:2], off
	s_or_b32 exec_lo, exec_lo, s5
	s_and_saveexec_b32 s3, s4
	s_cbranch_execz .LBB152_3
.LBB152_19:                             ;   in Loop: Header=BB152_4 Depth=1
	s_waitcnt vmcnt(0)
	v_cmp_u_f64_e32 vcc_lo, v[3:4], v[3:4]
	v_cmp_lt_f64_e64 s2, s[10:11], v[3:4]
	s_delay_alu instid0(VALU_DEP_1)
	s_or_b32 vcc_lo, vcc_lo, s2
	v_cndmask_b32_e32 v2, s11, v4, vcc_lo
	v_cndmask_b32_e32 v1, s10, v3, vcc_lo
	v_add_co_u32 v3, vcc_lo, v15, s6
	v_add_co_ci_u32_e32 v4, vcc_lo, s7, v16, vcc_lo
	global_store_b64 v[3:4], v[1:2], off
	s_branch .LBB152_3
.LBB152_20:
	s_mov_b32 s8, 0
.LBB152_21:
	s_delay_alu instid0(SALU_CYCLE_1)
	s_and_not1_b32 vcc_lo, exec_lo, s8
	s_cbranch_vccnz .LBB152_25
; %bb.22:
	s_waitcnt vmcnt(0)
	v_dual_mov_b32 v2, 0 :: v_dual_lshlrev_b32 v1, 2, v0
	s_mov_b32 s14, 0
	s_mov_b32 s2, exec_lo
	s_delay_alu instid0(VALU_DEP_1)
	v_cmpx_gt_i64_e64 s[12:13], v[1:2]
	s_cbranch_execz .LBB152_25
; %bb.23:
	s_load_b32 s0, s[0:1], 0xe54
	s_waitcnt lgkmcnt(0)
	s_and_b32 s0, s0, 0xffff
	s_delay_alu instid0(SALU_CYCLE_1)
	v_add_lshl_u32 v1, v0, s0, 2
	v_lshlrev_b32_e32 v0, 5, v0
	s_lshl_b32 s15, s0, 2
	s_lshl_b32 s20, s0, 5
.LBB152_24:                             ; =>This Inner Loop Header: Depth=1
	s_delay_alu instid0(VALU_DEP_1) | instskip(NEXT) | instid1(VALU_DEP_1)
	v_add_co_u32 v7, s0, s16, v0
	v_add_co_ci_u32_e64 v8, null, s17, 0, s0
	v_cmp_le_i64_e64 s7, s[12:13], v[1:2]
	v_cmp_lt_u64_e64 s8, 0xffff, v[1:2]
	v_add_co_u32 v11, s9, s18, v0
	s_clause 0x1
	global_load_b128 v[3:6], v[7:8], off
	global_load_b128 v[7:10], v[7:8], off offset:16
	v_add_co_ci_u32_e64 v12, null, s19, 0, s9
	s_or_b32 s7, s7, s8
	v_add_co_u32 v1, s9, v1, s15
	s_delay_alu instid0(VALU_DEP_1)
	v_add_co_ci_u32_e64 v2, s9, 0, v2, s9
	s_waitcnt vmcnt(1)
	v_cmp_u_f64_e32 vcc_lo, v[3:4], v[3:4]
	v_cmp_lt_f64_e64 s0, s[10:11], v[3:4]
	v_cmp_u_f64_e64 s1, v[5:6], v[5:6]
	v_cmp_lt_f64_e64 s2, s[10:11], v[5:6]
	s_waitcnt vmcnt(0)
	v_cmp_u_f64_e64 s3, v[7:8], v[7:8]
	v_cmp_lt_f64_e64 s4, s[10:11], v[7:8]
	v_cmp_u_f64_e64 s5, v[9:10], v[9:10]
	v_cmp_lt_f64_e64 s6, s[10:11], v[9:10]
	s_or_b32 vcc_lo, vcc_lo, s0
	s_or_b32 s0, s1, s2
	v_cndmask_b32_e32 v4, s11, v4, vcc_lo
	s_delay_alu instid0(VALU_DEP_4) | instskip(SKIP_1) | instid1(VALU_DEP_3)
	s_or_b32 s1, s3, s4
	v_cndmask_b32_e64 v6, s11, v6, s0
	s_or_b32 s2, s5, s6
	s_add_u32 s16, s16, s20
	s_addc_u32 s17, s17, 0
	s_add_u32 s18, s18, s20
	v_cndmask_b32_e32 v3, s10, v3, vcc_lo
	v_cndmask_b32_e64 v5, s10, v5, s0
	s_addc_u32 s19, s19, 0
	v_cndmask_b32_e64 v8, s11, v8, s1
	v_cndmask_b32_e64 v10, s11, v10, s2
	;; [unrolled: 1-line block ×4, first 2 shown]
	s_and_b32 s0, exec_lo, s7
	s_clause 0x1
	global_store_b128 v[11:12], v[3:6], off
	global_store_b128 v[11:12], v[7:10], off offset:16
	s_or_b32 s14, s0, s14
	s_delay_alu instid0(SALU_CYCLE_1)
	s_and_not1_b32 exec_lo, exec_lo, s14
	s_cbranch_execnz .LBB152_24
.LBB152_25:
	s_nop 0
	s_sendmsg sendmsg(MSG_DEALLOC_VGPRS)
	s_endpgm
	.section	.rodata,"a",@progbits
	.p2align	6, 0x0
	.amdhsa_kernel _ZN2at6native12_GLOBAL__N_125multi_tensor_apply_kernelINS1_28TensorListScalarListMetadataIdLi2EEENS1_25BinaryOpScalarListFunctorIdLi2ELi1ELi1EEEJNS0_7maximumIdEEEEEvT_T0_DpT1_
		.amdhsa_group_segment_fixed_size 0
		.amdhsa_private_segment_fixed_size 0
		.amdhsa_kernarg_size 3912
		.amdhsa_user_sgpr_count 15
		.amdhsa_user_sgpr_dispatch_ptr 0
		.amdhsa_user_sgpr_queue_ptr 0
		.amdhsa_user_sgpr_kernarg_segment_ptr 1
		.amdhsa_user_sgpr_dispatch_id 0
		.amdhsa_user_sgpr_private_segment_size 0
		.amdhsa_wavefront_size32 1
		.amdhsa_uses_dynamic_stack 0
		.amdhsa_enable_private_segment 0
		.amdhsa_system_sgpr_workgroup_id_x 1
		.amdhsa_system_sgpr_workgroup_id_y 0
		.amdhsa_system_sgpr_workgroup_id_z 0
		.amdhsa_system_sgpr_workgroup_info 0
		.amdhsa_system_vgpr_workitem_id 0
		.amdhsa_next_free_vgpr 33
		.amdhsa_next_free_sgpr 24
		.amdhsa_reserve_vcc 1
		.amdhsa_float_round_mode_32 0
		.amdhsa_float_round_mode_16_64 0
		.amdhsa_float_denorm_mode_32 3
		.amdhsa_float_denorm_mode_16_64 3
		.amdhsa_dx10_clamp 1
		.amdhsa_ieee_mode 1
		.amdhsa_fp16_overflow 0
		.amdhsa_workgroup_processor_mode 1
		.amdhsa_memory_ordered 1
		.amdhsa_forward_progress 0
		.amdhsa_shared_vgpr_count 0
		.amdhsa_exception_fp_ieee_invalid_op 0
		.amdhsa_exception_fp_denorm_src 0
		.amdhsa_exception_fp_ieee_div_zero 0
		.amdhsa_exception_fp_ieee_overflow 0
		.amdhsa_exception_fp_ieee_underflow 0
		.amdhsa_exception_fp_ieee_inexact 0
		.amdhsa_exception_int_div_zero 0
	.end_amdhsa_kernel
	.section	.text._ZN2at6native12_GLOBAL__N_125multi_tensor_apply_kernelINS1_28TensorListScalarListMetadataIdLi2EEENS1_25BinaryOpScalarListFunctorIdLi2ELi1ELi1EEEJNS0_7maximumIdEEEEEvT_T0_DpT1_,"axG",@progbits,_ZN2at6native12_GLOBAL__N_125multi_tensor_apply_kernelINS1_28TensorListScalarListMetadataIdLi2EEENS1_25BinaryOpScalarListFunctorIdLi2ELi1ELi1EEEJNS0_7maximumIdEEEEEvT_T0_DpT1_,comdat
.Lfunc_end152:
	.size	_ZN2at6native12_GLOBAL__N_125multi_tensor_apply_kernelINS1_28TensorListScalarListMetadataIdLi2EEENS1_25BinaryOpScalarListFunctorIdLi2ELi1ELi1EEEJNS0_7maximumIdEEEEEvT_T0_DpT1_, .Lfunc_end152-_ZN2at6native12_GLOBAL__N_125multi_tensor_apply_kernelINS1_28TensorListScalarListMetadataIdLi2EEENS1_25BinaryOpScalarListFunctorIdLi2ELi1ELi1EEEJNS0_7maximumIdEEEEEvT_T0_DpT1_
                                        ; -- End function
	.section	.AMDGPU.csdata,"",@progbits
; Kernel info:
; codeLenInByte = 1672
; NumSgprs: 26
; NumVgprs: 33
; ScratchSize: 0
; MemoryBound: 0
; FloatMode: 240
; IeeeMode: 1
; LDSByteSize: 0 bytes/workgroup (compile time only)
; SGPRBlocks: 3
; VGPRBlocks: 4
; NumSGPRsForWavesPerEU: 26
; NumVGPRsForWavesPerEU: 33
; Occupancy: 16
; WaveLimiterHint : 1
; COMPUTE_PGM_RSRC2:SCRATCH_EN: 0
; COMPUTE_PGM_RSRC2:USER_SGPR: 15
; COMPUTE_PGM_RSRC2:TRAP_HANDLER: 0
; COMPUTE_PGM_RSRC2:TGID_X_EN: 1
; COMPUTE_PGM_RSRC2:TGID_Y_EN: 0
; COMPUTE_PGM_RSRC2:TGID_Z_EN: 0
; COMPUTE_PGM_RSRC2:TIDIG_COMP_CNT: 0
	.section	.text._ZN2at6native12_GLOBAL__N_125multi_tensor_apply_kernelINS1_28TensorListScalarListMetadataIfLi2EEENS1_25BinaryOpScalarListFunctorIfLi2ELi1ELi1EEEJNS0_7maximumIfEEEEEvT_T0_DpT1_,"axG",@progbits,_ZN2at6native12_GLOBAL__N_125multi_tensor_apply_kernelINS1_28TensorListScalarListMetadataIfLi2EEENS1_25BinaryOpScalarListFunctorIfLi2ELi1ELi1EEEJNS0_7maximumIfEEEEEvT_T0_DpT1_,comdat
	.globl	_ZN2at6native12_GLOBAL__N_125multi_tensor_apply_kernelINS1_28TensorListScalarListMetadataIfLi2EEENS1_25BinaryOpScalarListFunctorIfLi2ELi1ELi1EEEJNS0_7maximumIfEEEEEvT_T0_DpT1_ ; -- Begin function _ZN2at6native12_GLOBAL__N_125multi_tensor_apply_kernelINS1_28TensorListScalarListMetadataIfLi2EEENS1_25BinaryOpScalarListFunctorIfLi2ELi1ELi1EEEJNS0_7maximumIfEEEEEvT_T0_DpT1_
	.p2align	8
	.type	_ZN2at6native12_GLOBAL__N_125multi_tensor_apply_kernelINS1_28TensorListScalarListMetadataIfLi2EEENS1_25BinaryOpScalarListFunctorIfLi2ELi1ELi1EEEJNS0_7maximumIfEEEEEvT_T0_DpT1_,@function
_ZN2at6native12_GLOBAL__N_125multi_tensor_apply_kernelINS1_28TensorListScalarListMetadataIfLi2EEENS1_25BinaryOpScalarListFunctorIfLi2ELi1ELi1EEEJNS0_7maximumIfEEEEEvT_T0_DpT1_: ; @_ZN2at6native12_GLOBAL__N_125multi_tensor_apply_kernelINS1_28TensorListScalarListMetadataIfLi2EEENS1_25BinaryOpScalarListFunctorIfLi2ELi1ELi1EEEJNS0_7maximumIfEEEEEvT_T0_DpT1_
; %bb.0:
	v_mov_b32_e32 v1, s15
	s_add_u32 s2, s0, s15
	s_mul_hi_u32 s3, s15, 3
	s_mul_i32 s15, s15, 3
	s_addc_u32 s4, s1, 0
	global_load_u8 v1, v1, s[0:1] offset:1792
	s_add_u32 s2, s2, s15
	s_addc_u32 s3, s4, s3
	s_mov_b32 s13, 0
	s_load_b32 s8, s[2:3], 0x840
	s_waitcnt lgkmcnt(0)
	s_ashr_i32 s9, s8, 31
	s_waitcnt vmcnt(0)
	v_readfirstlane_b32 s2, v1
	v_lshlrev_b32_e32 v1, 2, v1
	s_delay_alu instid0(VALU_DEP_2)
	s_lshl_b32 s6, s2, 3
	s_clause 0x2
	s_load_b64 s[10:11], s[0:1], s6 offset:0x400
	s_load_b64 s[4:5], s[0:1], s6 offset:0x0
	;; [unrolled: 1-line block ×3, first 2 shown]
	s_add_u32 s6, s0, s6
	s_addc_u32 s7, s1, 0
	v_sub_co_u32 v1, s6, s6, v1
	s_delay_alu instid0(VALU_DEP_1) | instskip(NEXT) | instid1(VALU_DEP_2)
	v_sub_co_ci_u32_e64 v2, null, s7, 0, s6
	v_readfirstlane_b32 s6, v1
	s_delay_alu instid0(VALU_DEP_2)
	v_readfirstlane_b32 s7, v2
	s_load_b32 s14, s[6:7], 0x600
	s_lshl_b64 s[6:7], s[8:9], 18
	s_waitcnt lgkmcnt(0)
	s_add_u32 s15, s4, s6
	s_addc_u32 s16, s5, s7
	s_and_b32 s12, s15, 15
	s_add_u32 s17, s2, s6
	s_addc_u32 s18, s3, s7
	s_and_b32 s19, s10, 3
	s_and_b32 s20, s17, 15
	s_or_b32 s12, s12, s19
	s_lshl_b64 s[8:9], s[8:9], 16
	s_or_b32 s12, s20, s12
	s_sub_u32 s8, s10, s8
	s_subb_u32 s9, s11, s9
	s_cmp_eq_u64 s[12:13], 0
	s_mov_b32 s10, -1
	s_cbranch_scc1 .LBB153_21
; %bb.1:
	v_cmp_lt_i64_e64 s10, s[8:9], 1
	s_delay_alu instid0(VALU_DEP_1)
	s_and_b32 vcc_lo, exec_lo, s10
	s_cbranch_vccnz .LBB153_20
; %bb.2:
	s_load_b32 s10, s[0:1], 0xd54
	v_dual_mov_b32 v10, 0 :: v_dual_lshlrev_b32 v9, 2, v0
	v_cmp_gt_u64_e64 s11, 0x10000, s[8:9]
	s_delay_alu instid0(VALU_DEP_2) | instskip(NEXT) | instid1(VALU_DEP_1)
	v_add_co_u32 v1, s12, s4, v9
	v_add_co_ci_u32_e64 v2, null, s5, 0, s12
	v_add_co_u32 v3, s12, s2, v9
	s_delay_alu instid0(VALU_DEP_1)
	v_add_co_ci_u32_e64 v4, null, s3, 0, s12
	s_waitcnt lgkmcnt(0)
	s_and_b32 s12, s10, 0xffff
	s_and_b32 s10, s11, exec_lo
	v_mad_u64_u32 v[7:8], null, s12, 12, v[9:10]
	s_cselect_b32 s11, s9, 0
	s_cselect_b32 s10, s8, 0x10000
	s_mul_i32 s19, s12, 3
	s_lshl_b32 s20, s12, 3
	s_lshl_b32 s13, s12, 1
	v_add_co_u32 v14, s20, s20, v9
	v_add_co_u32 v9, s19, s19, v0
	s_delay_alu instid0(VALU_DEP_1)
	v_add_co_ci_u32_e64 v10, null, 0, 0, s19
	v_add_co_u32 v13, s19, v0, s12
	v_add_co_u32 v5, vcc_lo, s4, v7
	v_add_co_ci_u32_e32 v6, vcc_lo, s5, v8, vcc_lo
	v_add_co_u32 v7, vcc_lo, s2, v7
	v_add_co_ci_u32_e64 v15, null, 0, 0, s20
	v_lshlrev_b32_e32 v21, 2, v13
	v_add_co_ci_u32_e32 v8, vcc_lo, s3, v8, vcc_lo
	v_add_co_u32 v11, vcc_lo, s4, v14
	s_delay_alu instid0(VALU_DEP_4)
	v_add_co_ci_u32_e32 v12, vcc_lo, s5, v15, vcc_lo
	v_add_co_u32 v14, vcc_lo, s2, v14
	v_add_co_u32 v17, s13, s13, v0
	v_add_co_u32 v19, s4, s4, v21
	v_add_co_u32 v21, s2, s2, v21
	v_add_co_ci_u32_e32 v15, vcc_lo, s3, v15, vcc_lo
	v_add_co_ci_u32_e64 v16, null, 0, 0, s19
	v_add_co_ci_u32_e64 v18, null, 0, 0, s13
	;; [unrolled: 1-line block ×4, first 2 shown]
	s_lshl_b32 s19, s12, 2
	s_lshl_b32 s20, s12, 4
	s_mov_b64 s[12:13], 0
	s_branch .LBB153_4
.LBB153_3:                              ;   in Loop: Header=BB153_4 Depth=1
	s_or_b32 exec_lo, exec_lo, s3
	v_add_co_u32 v1, vcc_lo, v1, s20
	v_add_co_ci_u32_e32 v2, vcc_lo, 0, v2, vcc_lo
	v_add_co_u32 v3, vcc_lo, v3, s20
	v_add_co_ci_u32_e32 v4, vcc_lo, 0, v4, vcc_lo
	;; [unrolled: 2-line block ×5, first 2 shown]
	s_add_u32 s12, s12, s19
	v_add_co_u32 v14, vcc_lo, v14, s20
	s_addc_u32 s13, s13, 0
	v_add_co_ci_u32_e32 v15, vcc_lo, 0, v15, vcc_lo
	v_cmp_lt_i64_e64 s2, s[12:13], s[8:9]
	v_cmp_gt_u64_e64 s3, 0x10000, s[12:13]
	v_add_co_u32 v19, vcc_lo, v19, s20
	v_add_co_ci_u32_e32 v20, vcc_lo, 0, v20, vcc_lo
	v_add_co_u32 v21, vcc_lo, v21, s20
	v_add_co_ci_u32_e32 v22, vcc_lo, 0, v22, vcc_lo
	s_and_b32 s2, s2, s3
	s_delay_alu instid0(SALU_CYCLE_1)
	s_and_b32 vcc_lo, exec_lo, s2
	s_cbranch_vccz .LBB153_20
.LBB153_4:                              ; =>This Inner Loop Header: Depth=1
	s_waitcnt vmcnt(0)
	v_add_co_u32 v23, s2, v0, s12
	s_delay_alu instid0(VALU_DEP_1) | instskip(NEXT) | instid1(VALU_DEP_1)
	v_add_co_ci_u32_e64 v24, null, 0, s13, s2
	v_cmp_gt_u64_e32 vcc_lo, s[10:11], v[23:24]
	v_mov_b32_e32 v24, 0
	s_and_saveexec_b32 s3, vcc_lo
	s_cbranch_execz .LBB153_6
; %bb.5:                                ;   in Loop: Header=BB153_4 Depth=1
	v_add_co_u32 v23, s2, v1, s6
	s_delay_alu instid0(VALU_DEP_1)
	v_add_co_ci_u32_e64 v24, s2, s7, v2, s2
	global_load_b32 v24, v[23:24], off
.LBB153_6:                              ;   in Loop: Header=BB153_4 Depth=1
	s_or_b32 exec_lo, exec_lo, s3
	v_add_co_u32 v25, s2, v13, s12
	s_delay_alu instid0(VALU_DEP_1) | instskip(NEXT) | instid1(VALU_DEP_1)
	v_add_co_ci_u32_e64 v26, s2, s13, v16, s2
	v_cmp_gt_u64_e64 s2, s[10:11], v[25:26]
	v_mov_b32_e32 v25, 0
	s_delay_alu instid0(VALU_DEP_2)
	s_and_saveexec_b32 s4, s2
	s_cbranch_execz .LBB153_8
; %bb.7:                                ;   in Loop: Header=BB153_4 Depth=1
	v_add_co_u32 v25, s3, v19, s6
	s_delay_alu instid0(VALU_DEP_1)
	v_add_co_ci_u32_e64 v26, s3, s7, v20, s3
	global_load_b32 v25, v[25:26], off
.LBB153_8:                              ;   in Loop: Header=BB153_4 Depth=1
	s_or_b32 exec_lo, exec_lo, s4
	v_add_co_u32 v26, s3, v17, s12
	s_delay_alu instid0(VALU_DEP_1) | instskip(SKIP_1) | instid1(VALU_DEP_2)
	v_add_co_ci_u32_e64 v27, s3, s13, v18, s3
	v_mov_b32_e32 v23, 0
	v_cmp_gt_u64_e64 s3, s[10:11], v[26:27]
	v_mov_b32_e32 v26, 0
	s_delay_alu instid0(VALU_DEP_2)
	s_and_saveexec_b32 s5, s3
	s_cbranch_execz .LBB153_10
; %bb.9:                                ;   in Loop: Header=BB153_4 Depth=1
	v_add_co_u32 v26, s4, v11, s6
	s_delay_alu instid0(VALU_DEP_1)
	v_add_co_ci_u32_e64 v27, s4, s7, v12, s4
	global_load_b32 v26, v[26:27], off
.LBB153_10:                             ;   in Loop: Header=BB153_4 Depth=1
	s_or_b32 exec_lo, exec_lo, s5
	v_add_co_u32 v27, s4, v9, s12
	s_delay_alu instid0(VALU_DEP_1) | instskip(NEXT) | instid1(VALU_DEP_1)
	v_add_co_ci_u32_e64 v28, s4, s13, v10, s4
	v_cmp_gt_u64_e64 s4, s[10:11], v[27:28]
	s_delay_alu instid0(VALU_DEP_1)
	s_and_saveexec_b32 s21, s4
	s_cbranch_execnz .LBB153_15
; %bb.11:                               ;   in Loop: Header=BB153_4 Depth=1
	s_or_b32 exec_lo, exec_lo, s21
	s_and_saveexec_b32 s21, vcc_lo
	s_cbranch_execnz .LBB153_16
.LBB153_12:                             ;   in Loop: Header=BB153_4 Depth=1
	s_or_b32 exec_lo, exec_lo, s21
	s_and_saveexec_b32 s5, s2
	s_cbranch_execnz .LBB153_17
.LBB153_13:                             ;   in Loop: Header=BB153_4 Depth=1
	s_or_b32 exec_lo, exec_lo, s5
	s_and_saveexec_b32 s5, s3
	s_cbranch_execnz .LBB153_18
.LBB153_14:                             ;   in Loop: Header=BB153_4 Depth=1
	s_or_b32 exec_lo, exec_lo, s5
	s_and_saveexec_b32 s3, s4
	s_cbranch_execz .LBB153_3
	s_branch .LBB153_19
.LBB153_15:                             ;   in Loop: Header=BB153_4 Depth=1
	v_add_co_u32 v27, s5, v5, s6
	s_delay_alu instid0(VALU_DEP_1)
	v_add_co_ci_u32_e64 v28, s5, s7, v6, s5
	global_load_b32 v23, v[27:28], off
	s_or_b32 exec_lo, exec_lo, s21
	s_and_saveexec_b32 s21, vcc_lo
	s_cbranch_execz .LBB153_12
.LBB153_16:                             ;   in Loop: Header=BB153_4 Depth=1
	s_waitcnt vmcnt(0)
	v_cmp_u_f32_e32 vcc_lo, v24, v24
	v_cmp_lt_f32_e64 s5, s14, v24
	s_delay_alu instid0(VALU_DEP_1)
	s_or_b32 vcc_lo, vcc_lo, s5
	v_cndmask_b32_e32 v24, s14, v24, vcc_lo
	v_add_co_u32 v27, vcc_lo, v3, s6
	v_add_co_ci_u32_e32 v28, vcc_lo, s7, v4, vcc_lo
	global_store_b32 v[27:28], v24, off
	s_or_b32 exec_lo, exec_lo, s21
	s_and_saveexec_b32 s5, s2
	s_cbranch_execz .LBB153_13
.LBB153_17:                             ;   in Loop: Header=BB153_4 Depth=1
	s_waitcnt vmcnt(0)
	v_cmp_u_f32_e32 vcc_lo, v25, v25
	v_cmp_lt_f32_e64 s2, s14, v25
	s_delay_alu instid0(VALU_DEP_1)
	s_or_b32 vcc_lo, vcc_lo, s2
	v_cndmask_b32_e32 v27, s14, v25, vcc_lo
	v_add_co_u32 v24, vcc_lo, v21, s6
	v_add_co_ci_u32_e32 v25, vcc_lo, s7, v22, vcc_lo
	global_store_b32 v[24:25], v27, off
	s_or_b32 exec_lo, exec_lo, s5
	s_and_saveexec_b32 s5, s3
	s_cbranch_execz .LBB153_14
.LBB153_18:                             ;   in Loop: Header=BB153_4 Depth=1
	s_waitcnt vmcnt(0)
	v_cmp_u_f32_e32 vcc_lo, v26, v26
	v_cmp_lt_f32_e64 s2, s14, v26
	s_delay_alu instid0(VALU_DEP_1)
	s_or_b32 vcc_lo, vcc_lo, s2
	v_cndmask_b32_e32 v26, s14, v26, vcc_lo
	v_add_co_u32 v24, vcc_lo, v14, s6
	v_add_co_ci_u32_e32 v25, vcc_lo, s7, v15, vcc_lo
	global_store_b32 v[24:25], v26, off
	s_or_b32 exec_lo, exec_lo, s5
	s_and_saveexec_b32 s3, s4
	s_cbranch_execz .LBB153_3
.LBB153_19:                             ;   in Loop: Header=BB153_4 Depth=1
	s_waitcnt vmcnt(0)
	v_cmp_u_f32_e32 vcc_lo, v23, v23
	v_cmp_lt_f32_e64 s2, s14, v23
	s_delay_alu instid0(VALU_DEP_1)
	s_or_b32 vcc_lo, vcc_lo, s2
	v_cndmask_b32_e32 v25, s14, v23, vcc_lo
	v_add_co_u32 v23, vcc_lo, v7, s6
	v_add_co_ci_u32_e32 v24, vcc_lo, s7, v8, vcc_lo
	global_store_b32 v[23:24], v25, off
	s_branch .LBB153_3
.LBB153_20:
	s_mov_b32 s10, 0
.LBB153_21:
	s_delay_alu instid0(SALU_CYCLE_1)
	s_and_not1_b32 vcc_lo, exec_lo, s10
	s_cbranch_vccnz .LBB153_25
; %bb.22:
	v_dual_mov_b32 v2, 0 :: v_dual_lshlrev_b32 v1, 2, v0
	s_mov_b32 s7, 0
	s_mov_b32 s2, exec_lo
	s_delay_alu instid0(VALU_DEP_1)
	v_cmpx_gt_i64_e64 s[8:9], v[1:2]
	s_cbranch_execz .LBB153_25
; %bb.23:
	s_load_b32 s0, s[0:1], 0xd54
	s_waitcnt lgkmcnt(0)
	s_and_b32 s0, s0, 0xffff
	s_delay_alu instid0(SALU_CYCLE_1)
	v_add_lshl_u32 v1, v0, s0, 2
	v_lshlrev_b32_e32 v0, 4, v0
	s_lshl_b32 s10, s0, 2
	s_lshl_b32 s11, s0, 4
.LBB153_24:                             ; =>This Inner Loop Header: Depth=1
	s_delay_alu instid0(VALU_DEP_1) | instskip(NEXT) | instid1(VALU_DEP_1)
	v_add_co_u32 v3, s0, s15, v0
	v_add_co_ci_u32_e64 v4, null, s16, 0, s0
	v_cmp_le_i64_e32 vcc_lo, s[8:9], v[1:2]
	v_cmp_lt_u64_e64 s0, 0xffff, v[1:2]
	v_add_co_u32 v7, s1, s17, v0
	global_load_b128 v[3:6], v[3:4], off
	v_add_co_ci_u32_e64 v8, null, s18, 0, s1
	v_add_co_u32 v1, s1, v1, s10
	s_or_b32 s12, vcc_lo, s0
	v_add_co_ci_u32_e64 v2, s1, 0, v2, s1
	s_waitcnt vmcnt(0)
	v_cmp_u_f32_e32 vcc_lo, v3, v3
	v_cmp_lt_f32_e64 s0, s14, v3
	v_cmp_u_f32_e64 s1, v4, v4
	v_cmp_lt_f32_e64 s2, s14, v4
	v_cmp_u_f32_e64 s3, v5, v5
	v_cmp_lt_f32_e64 s4, s14, v5
	s_or_b32 vcc_lo, vcc_lo, s0
	v_cmp_u_f32_e64 s5, v6, v6
	v_cmp_lt_f32_e64 s6, s14, v6
	v_cndmask_b32_e32 v3, s14, v3, vcc_lo
	s_or_b32 vcc_lo, s1, s2
	v_cndmask_b32_e32 v4, s14, v4, vcc_lo
	s_or_b32 vcc_lo, s3, s4
	;; [unrolled: 2-line block ×3, first 2 shown]
	s_add_u32 s15, s15, s11
	s_addc_u32 s16, s16, 0
	s_add_u32 s17, s17, s11
	v_cndmask_b32_e32 v6, s14, v6, vcc_lo
	s_addc_u32 s18, s18, 0
	s_and_b32 s0, exec_lo, s12
	s_delay_alu instid0(SALU_CYCLE_1)
	s_or_b32 s7, s0, s7
	global_store_b128 v[7:8], v[3:6], off
	s_and_not1_b32 exec_lo, exec_lo, s7
	s_cbranch_execnz .LBB153_24
.LBB153_25:
	s_nop 0
	s_sendmsg sendmsg(MSG_DEALLOC_VGPRS)
	s_endpgm
	.section	.rodata,"a",@progbits
	.p2align	6, 0x0
	.amdhsa_kernel _ZN2at6native12_GLOBAL__N_125multi_tensor_apply_kernelINS1_28TensorListScalarListMetadataIfLi2EEENS1_25BinaryOpScalarListFunctorIfLi2ELi1ELi1EEEJNS0_7maximumIfEEEEEvT_T0_DpT1_
		.amdhsa_group_segment_fixed_size 0
		.amdhsa_private_segment_fixed_size 0
		.amdhsa_kernarg_size 3656
		.amdhsa_user_sgpr_count 15
		.amdhsa_user_sgpr_dispatch_ptr 0
		.amdhsa_user_sgpr_queue_ptr 0
		.amdhsa_user_sgpr_kernarg_segment_ptr 1
		.amdhsa_user_sgpr_dispatch_id 0
		.amdhsa_user_sgpr_private_segment_size 0
		.amdhsa_wavefront_size32 1
		.amdhsa_uses_dynamic_stack 0
		.amdhsa_enable_private_segment 0
		.amdhsa_system_sgpr_workgroup_id_x 1
		.amdhsa_system_sgpr_workgroup_id_y 0
		.amdhsa_system_sgpr_workgroup_id_z 0
		.amdhsa_system_sgpr_workgroup_info 0
		.amdhsa_system_vgpr_workitem_id 0
		.amdhsa_next_free_vgpr 29
		.amdhsa_next_free_sgpr 22
		.amdhsa_reserve_vcc 1
		.amdhsa_float_round_mode_32 0
		.amdhsa_float_round_mode_16_64 0
		.amdhsa_float_denorm_mode_32 3
		.amdhsa_float_denorm_mode_16_64 3
		.amdhsa_dx10_clamp 1
		.amdhsa_ieee_mode 1
		.amdhsa_fp16_overflow 0
		.amdhsa_workgroup_processor_mode 1
		.amdhsa_memory_ordered 1
		.amdhsa_forward_progress 0
		.amdhsa_shared_vgpr_count 0
		.amdhsa_exception_fp_ieee_invalid_op 0
		.amdhsa_exception_fp_denorm_src 0
		.amdhsa_exception_fp_ieee_div_zero 0
		.amdhsa_exception_fp_ieee_overflow 0
		.amdhsa_exception_fp_ieee_underflow 0
		.amdhsa_exception_fp_ieee_inexact 0
		.amdhsa_exception_int_div_zero 0
	.end_amdhsa_kernel
	.section	.text._ZN2at6native12_GLOBAL__N_125multi_tensor_apply_kernelINS1_28TensorListScalarListMetadataIfLi2EEENS1_25BinaryOpScalarListFunctorIfLi2ELi1ELi1EEEJNS0_7maximumIfEEEEEvT_T0_DpT1_,"axG",@progbits,_ZN2at6native12_GLOBAL__N_125multi_tensor_apply_kernelINS1_28TensorListScalarListMetadataIfLi2EEENS1_25BinaryOpScalarListFunctorIfLi2ELi1ELi1EEEJNS0_7maximumIfEEEEEvT_T0_DpT1_,comdat
.Lfunc_end153:
	.size	_ZN2at6native12_GLOBAL__N_125multi_tensor_apply_kernelINS1_28TensorListScalarListMetadataIfLi2EEENS1_25BinaryOpScalarListFunctorIfLi2ELi1ELi1EEEJNS0_7maximumIfEEEEEvT_T0_DpT1_, .Lfunc_end153-_ZN2at6native12_GLOBAL__N_125multi_tensor_apply_kernelINS1_28TensorListScalarListMetadataIfLi2EEENS1_25BinaryOpScalarListFunctorIfLi2ELi1ELi1EEEJNS0_7maximumIfEEEEEvT_T0_DpT1_
                                        ; -- End function
	.section	.AMDGPU.csdata,"",@progbits
; Kernel info:
; codeLenInByte = 1588
; NumSgprs: 24
; NumVgprs: 29
; ScratchSize: 0
; MemoryBound: 0
; FloatMode: 240
; IeeeMode: 1
; LDSByteSize: 0 bytes/workgroup (compile time only)
; SGPRBlocks: 2
; VGPRBlocks: 3
; NumSGPRsForWavesPerEU: 24
; NumVGPRsForWavesPerEU: 29
; Occupancy: 16
; WaveLimiterHint : 0
; COMPUTE_PGM_RSRC2:SCRATCH_EN: 0
; COMPUTE_PGM_RSRC2:USER_SGPR: 15
; COMPUTE_PGM_RSRC2:TRAP_HANDLER: 0
; COMPUTE_PGM_RSRC2:TGID_X_EN: 1
; COMPUTE_PGM_RSRC2:TGID_Y_EN: 0
; COMPUTE_PGM_RSRC2:TGID_Z_EN: 0
; COMPUTE_PGM_RSRC2:TIDIG_COMP_CNT: 0
	.section	.text._ZN2at6native12_GLOBAL__N_125multi_tensor_apply_kernelINS1_28TensorListScalarListMetadataIfLi2EEENS1_25BinaryOpScalarListFunctorIN3c104HalfELi2ELi1ELi1EEEJNS0_7maximumIfEEEEEvT_T0_DpT1_,"axG",@progbits,_ZN2at6native12_GLOBAL__N_125multi_tensor_apply_kernelINS1_28TensorListScalarListMetadataIfLi2EEENS1_25BinaryOpScalarListFunctorIN3c104HalfELi2ELi1ELi1EEEJNS0_7maximumIfEEEEEvT_T0_DpT1_,comdat
	.globl	_ZN2at6native12_GLOBAL__N_125multi_tensor_apply_kernelINS1_28TensorListScalarListMetadataIfLi2EEENS1_25BinaryOpScalarListFunctorIN3c104HalfELi2ELi1ELi1EEEJNS0_7maximumIfEEEEEvT_T0_DpT1_ ; -- Begin function _ZN2at6native12_GLOBAL__N_125multi_tensor_apply_kernelINS1_28TensorListScalarListMetadataIfLi2EEENS1_25BinaryOpScalarListFunctorIN3c104HalfELi2ELi1ELi1EEEJNS0_7maximumIfEEEEEvT_T0_DpT1_
	.p2align	8
	.type	_ZN2at6native12_GLOBAL__N_125multi_tensor_apply_kernelINS1_28TensorListScalarListMetadataIfLi2EEENS1_25BinaryOpScalarListFunctorIN3c104HalfELi2ELi1ELi1EEEJNS0_7maximumIfEEEEEvT_T0_DpT1_,@function
_ZN2at6native12_GLOBAL__N_125multi_tensor_apply_kernelINS1_28TensorListScalarListMetadataIfLi2EEENS1_25BinaryOpScalarListFunctorIN3c104HalfELi2ELi1ELi1EEEJNS0_7maximumIfEEEEEvT_T0_DpT1_: ; @_ZN2at6native12_GLOBAL__N_125multi_tensor_apply_kernelINS1_28TensorListScalarListMetadataIfLi2EEENS1_25BinaryOpScalarListFunctorIN3c104HalfELi2ELi1ELi1EEEJNS0_7maximumIfEEEEEvT_T0_DpT1_
; %bb.0:
	v_mov_b32_e32 v1, s15
	s_add_u32 s2, s0, s15
	s_mul_hi_u32 s3, s15, 3
	s_mul_i32 s15, s15, 3
	s_addc_u32 s4, s1, 0
	global_load_u8 v1, v1, s[0:1] offset:1792
	s_add_u32 s2, s2, s15
	s_addc_u32 s3, s4, s3
	s_mov_b32 s9, 0
	s_load_b32 s2, s[2:3], 0x840
	s_waitcnt vmcnt(0)
	v_readfirstlane_b32 s3, v1
	v_lshlrev_b32_e32 v1, 2, v1
	s_delay_alu instid0(VALU_DEP_2)
	s_lshl_b32 s6, s3, 3
	s_waitcnt lgkmcnt(0)
	s_ashr_i32 s3, s2, 31
	s_add_u32 s7, s0, s6
	s_addc_u32 s8, s1, 0
	v_sub_co_u32 v1, s7, s7, v1
	s_delay_alu instid0(VALU_DEP_1)
	v_sub_co_ci_u32_e64 v2, null, s8, 0, s7
	s_clause 0x2
	s_load_b64 s[4:5], s[0:1], s6 offset:0x400
	s_load_b64 s[12:13], s[0:1], s6 offset:0x200
	;; [unrolled: 1-line block ×3, first 2 shown]
	v_readfirstlane_b32 s6, v1
	v_readfirstlane_b32 s7, v2
	s_load_b32 s18, s[6:7], 0x600
	s_lshl_b64 s[6:7], s[2:3], 17
	s_lshl_b64 s[2:3], s[2:3], 16
	s_waitcnt lgkmcnt(0)
	s_and_b32 s14, s4, 3
	s_and_b32 s15, s12, 7
	;; [unrolled: 1-line block ×3, first 2 shown]
	s_delay_alu instid0(SALU_CYCLE_1) | instskip(NEXT) | instid1(SALU_CYCLE_1)
	s_or_b32 s8, s8, s14
	s_or_b32 s8, s15, s8
	s_sub_u32 s14, s4, s2
	s_subb_u32 s15, s5, s3
	s_cmp_eq_u64 s[8:9], 0
	s_mov_b32 s2, -1
	s_cbranch_scc1 .LBB154_21
; %bb.1:
	v_cmp_lt_i64_e64 s2, s[14:15], 1
	s_delay_alu instid0(VALU_DEP_1)
	s_and_b32 vcc_lo, exec_lo, s2
	s_cbranch_vccnz .LBB154_20
; %bb.2:
	s_load_b32 s2, s[0:1], 0xd54
	v_dual_mov_b32 v11, 0 :: v_dual_lshlrev_b32 v10, 1, v0
	v_cmp_gt_u64_e64 s3, 0x10000, s[14:15]
	v_cvt_f16_f32_e32 v1, s18
	s_mov_b64 s[16:17], 0
	s_delay_alu instid0(VALU_DEP_3) | instskip(NEXT) | instid1(VALU_DEP_1)
	v_add_co_u32 v2, s4, s10, v10
	v_add_co_ci_u32_e64 v3, null, s11, 0, s4
	v_add_co_u32 v4, s4, s12, v10
	s_delay_alu instid0(VALU_DEP_1)
	v_add_co_ci_u32_e64 v5, null, s13, 0, s4
	s_waitcnt lgkmcnt(0)
	s_and_b32 s2, s2, 0xffff
	s_and_b32 s3, s3, exec_lo
	v_mad_u64_u32 v[8:9], null, s2, 6, v[10:11]
	s_cselect_b32 s9, s15, 0
	s_cselect_b32 s8, s14, 0x10000
	s_mul_i32 s4, s2, 3
	s_lshl_b32 s19, s2, 2
	s_lshl_b32 s3, s2, 1
	v_add_co_u32 v15, s5, s19, v10
	v_add_co_u32 v10, s4, s4, v0
	s_delay_alu instid0(VALU_DEP_1) | instskip(SKIP_3) | instid1(VALU_DEP_3)
	v_add_co_ci_u32_e64 v11, null, 0, 0, s4
	v_add_co_u32 v14, s4, v0, s2
	v_add_co_u32 v6, vcc_lo, s10, v8
	v_add_co_ci_u32_e32 v7, vcc_lo, s11, v9, vcc_lo
	v_lshlrev_b32_e32 v22, 1, v14
	v_add_co_u32 v8, vcc_lo, s12, v8
	v_add_co_ci_u32_e64 v16, null, 0, 0, s5
	v_add_co_ci_u32_e32 v9, vcc_lo, s13, v9, vcc_lo
	v_add_co_u32 v18, s3, s3, v0
	v_add_co_u32 v12, vcc_lo, s10, v15
	v_add_co_ci_u32_e64 v19, null, 0, 0, s3
	v_add_co_u32 v20, s3, s10, v22
	v_add_co_ci_u32_e32 v13, vcc_lo, s11, v16, vcc_lo
	v_add_co_u32 v15, vcc_lo, s12, v15
	v_add_co_ci_u32_e64 v21, null, s11, 0, s3
	v_add_co_u32 v22, s3, s12, v22
	v_add_co_ci_u32_e32 v16, vcc_lo, s13, v16, vcc_lo
	v_add_co_ci_u32_e64 v17, null, 0, 0, s4
	v_add_co_ci_u32_e64 v23, null, s13, 0, s3
	s_lshl_b32 s20, s2, 3
	s_branch .LBB154_4
.LBB154_3:                              ;   in Loop: Header=BB154_4 Depth=1
	s_or_b32 exec_lo, exec_lo, s3
	v_add_co_u32 v2, vcc_lo, v2, s20
	v_add_co_ci_u32_e32 v3, vcc_lo, 0, v3, vcc_lo
	v_add_co_u32 v4, vcc_lo, v4, s20
	v_add_co_ci_u32_e32 v5, vcc_lo, 0, v5, vcc_lo
	;; [unrolled: 2-line block ×5, first 2 shown]
	s_add_u32 s16, s16, s19
	v_add_co_u32 v15, vcc_lo, v15, s20
	s_addc_u32 s17, s17, 0
	v_add_co_ci_u32_e32 v16, vcc_lo, 0, v16, vcc_lo
	v_cmp_lt_i64_e64 s2, s[16:17], s[14:15]
	v_cmp_gt_u64_e64 s3, 0x10000, s[16:17]
	v_add_co_u32 v20, vcc_lo, v20, s20
	v_add_co_ci_u32_e32 v21, vcc_lo, 0, v21, vcc_lo
	v_add_co_u32 v22, vcc_lo, v22, s20
	v_add_co_ci_u32_e32 v23, vcc_lo, 0, v23, vcc_lo
	s_and_b32 s2, s2, s3
	s_delay_alu instid0(SALU_CYCLE_1)
	s_and_b32 vcc_lo, exec_lo, s2
	s_cbranch_vccz .LBB154_20
.LBB154_4:                              ; =>This Inner Loop Header: Depth=1
	s_waitcnt vmcnt(0)
	v_add_co_u32 v24, s2, v0, s16
	s_delay_alu instid0(VALU_DEP_1) | instskip(NEXT) | instid1(VALU_DEP_1)
	v_add_co_ci_u32_e64 v25, null, 0, s17, s2
	v_cmp_gt_u64_e32 vcc_lo, s[8:9], v[24:25]
	v_mov_b32_e32 v25, 0
	s_and_saveexec_b32 s3, vcc_lo
	s_cbranch_execz .LBB154_6
; %bb.5:                                ;   in Loop: Header=BB154_4 Depth=1
	v_add_co_u32 v24, s2, v2, s6
	s_delay_alu instid0(VALU_DEP_1)
	v_add_co_ci_u32_e64 v25, s2, s7, v3, s2
	global_load_u16 v25, v[24:25], off
.LBB154_6:                              ;   in Loop: Header=BB154_4 Depth=1
	s_or_b32 exec_lo, exec_lo, s3
	v_add_co_u32 v26, s2, v14, s16
	s_delay_alu instid0(VALU_DEP_1) | instskip(NEXT) | instid1(VALU_DEP_1)
	v_add_co_ci_u32_e64 v27, s2, s17, v17, s2
	v_cmp_gt_u64_e64 s2, s[8:9], v[26:27]
	v_mov_b32_e32 v26, 0
	s_delay_alu instid0(VALU_DEP_2)
	s_and_saveexec_b32 s4, s2
	s_cbranch_execz .LBB154_8
; %bb.7:                                ;   in Loop: Header=BB154_4 Depth=1
	v_add_co_u32 v26, s3, v20, s6
	s_delay_alu instid0(VALU_DEP_1)
	v_add_co_ci_u32_e64 v27, s3, s7, v21, s3
	global_load_u16 v26, v[26:27], off
.LBB154_8:                              ;   in Loop: Header=BB154_4 Depth=1
	s_or_b32 exec_lo, exec_lo, s4
	v_add_co_u32 v27, s3, v18, s16
	s_delay_alu instid0(VALU_DEP_1) | instskip(SKIP_1) | instid1(VALU_DEP_2)
	v_add_co_ci_u32_e64 v28, s3, s17, v19, s3
	v_mov_b32_e32 v24, 0
	v_cmp_gt_u64_e64 s3, s[8:9], v[27:28]
	v_mov_b32_e32 v27, 0
	s_delay_alu instid0(VALU_DEP_2)
	s_and_saveexec_b32 s5, s3
	s_cbranch_execz .LBB154_10
; %bb.9:                                ;   in Loop: Header=BB154_4 Depth=1
	v_add_co_u32 v27, s4, v12, s6
	s_delay_alu instid0(VALU_DEP_1)
	v_add_co_ci_u32_e64 v28, s4, s7, v13, s4
	global_load_u16 v27, v[27:28], off
.LBB154_10:                             ;   in Loop: Header=BB154_4 Depth=1
	s_or_b32 exec_lo, exec_lo, s5
	v_add_co_u32 v28, s4, v10, s16
	s_delay_alu instid0(VALU_DEP_1) | instskip(NEXT) | instid1(VALU_DEP_1)
	v_add_co_ci_u32_e64 v29, s4, s17, v11, s4
	v_cmp_gt_u64_e64 s4, s[8:9], v[28:29]
	s_delay_alu instid0(VALU_DEP_1)
	s_and_saveexec_b32 s21, s4
	s_cbranch_execnz .LBB154_15
; %bb.11:                               ;   in Loop: Header=BB154_4 Depth=1
	s_or_b32 exec_lo, exec_lo, s21
	s_and_saveexec_b32 s21, vcc_lo
	s_cbranch_execnz .LBB154_16
.LBB154_12:                             ;   in Loop: Header=BB154_4 Depth=1
	s_or_b32 exec_lo, exec_lo, s21
	s_and_saveexec_b32 s5, s2
	s_cbranch_execnz .LBB154_17
.LBB154_13:                             ;   in Loop: Header=BB154_4 Depth=1
	s_or_b32 exec_lo, exec_lo, s5
	s_and_saveexec_b32 s5, s3
	s_cbranch_execnz .LBB154_18
.LBB154_14:                             ;   in Loop: Header=BB154_4 Depth=1
	s_or_b32 exec_lo, exec_lo, s5
	s_and_saveexec_b32 s3, s4
	s_cbranch_execz .LBB154_3
	s_branch .LBB154_19
.LBB154_15:                             ;   in Loop: Header=BB154_4 Depth=1
	v_add_co_u32 v28, s5, v6, s6
	s_delay_alu instid0(VALU_DEP_1)
	v_add_co_ci_u32_e64 v29, s5, s7, v7, s5
	global_load_u16 v24, v[28:29], off
	s_or_b32 exec_lo, exec_lo, s21
	s_and_saveexec_b32 s21, vcc_lo
	s_cbranch_execz .LBB154_12
.LBB154_16:                             ;   in Loop: Header=BB154_4 Depth=1
	s_waitcnt vmcnt(0)
	v_cvt_f32_f16_e32 v28, v25
	v_cmp_u_f16_e32 vcc_lo, v25, v25
	s_delay_alu instid0(VALU_DEP_2) | instskip(NEXT) | instid1(VALU_DEP_1)
	v_cmp_lt_f32_e64 s5, s18, v28
	s_or_b32 vcc_lo, vcc_lo, s5
	v_cndmask_b32_e32 v25, v1, v25, vcc_lo
	v_add_co_u32 v28, vcc_lo, v4, s6
	v_add_co_ci_u32_e32 v29, vcc_lo, s7, v5, vcc_lo
	global_store_b16 v[28:29], v25, off
	s_or_b32 exec_lo, exec_lo, s21
	s_and_saveexec_b32 s5, s2
	s_cbranch_execz .LBB154_13
.LBB154_17:                             ;   in Loop: Header=BB154_4 Depth=1
	s_waitcnt vmcnt(0)
	v_cvt_f32_f16_e32 v25, v26
	v_cmp_u_f16_e32 vcc_lo, v26, v26
	s_delay_alu instid0(VALU_DEP_2) | instskip(NEXT) | instid1(VALU_DEP_1)
	v_cmp_lt_f32_e64 s2, s18, v25
	s_or_b32 vcc_lo, vcc_lo, s2
	v_cndmask_b32_e32 v28, v1, v26, vcc_lo
	v_add_co_u32 v25, vcc_lo, v22, s6
	v_add_co_ci_u32_e32 v26, vcc_lo, s7, v23, vcc_lo
	global_store_b16 v[25:26], v28, off
	s_or_b32 exec_lo, exec_lo, s5
	s_and_saveexec_b32 s5, s3
	s_cbranch_execz .LBB154_14
.LBB154_18:                             ;   in Loop: Header=BB154_4 Depth=1
	s_waitcnt vmcnt(0)
	v_cvt_f32_f16_e32 v25, v27
	v_cmp_u_f16_e32 vcc_lo, v27, v27
	s_delay_alu instid0(VALU_DEP_2) | instskip(NEXT) | instid1(VALU_DEP_1)
	v_cmp_lt_f32_e64 s2, s18, v25
	s_or_b32 vcc_lo, vcc_lo, s2
	v_cndmask_b32_e32 v27, v1, v27, vcc_lo
	v_add_co_u32 v25, vcc_lo, v15, s6
	v_add_co_ci_u32_e32 v26, vcc_lo, s7, v16, vcc_lo
	global_store_b16 v[25:26], v27, off
	s_or_b32 exec_lo, exec_lo, s5
	s_and_saveexec_b32 s3, s4
	s_cbranch_execz .LBB154_3
.LBB154_19:                             ;   in Loop: Header=BB154_4 Depth=1
	s_waitcnt vmcnt(0)
	v_cvt_f32_f16_e32 v25, v24
	v_cmp_u_f16_e32 vcc_lo, v24, v24
	s_delay_alu instid0(VALU_DEP_2) | instskip(NEXT) | instid1(VALU_DEP_1)
	v_cmp_lt_f32_e64 s2, s18, v25
	s_or_b32 vcc_lo, vcc_lo, s2
	v_cndmask_b32_e32 v26, v1, v24, vcc_lo
	v_add_co_u32 v24, vcc_lo, v8, s6
	v_add_co_ci_u32_e32 v25, vcc_lo, s7, v9, vcc_lo
	global_store_b16 v[24:25], v26, off
	s_branch .LBB154_3
.LBB154_20:
	s_mov_b32 s2, 0
.LBB154_21:
	s_delay_alu instid0(SALU_CYCLE_1)
	s_and_not1_b32 vcc_lo, exec_lo, s2
	s_cbranch_vccnz .LBB154_25
; %bb.22:
	v_dual_mov_b32 v2, 0 :: v_dual_lshlrev_b32 v1, 2, v0
	s_mov_b32 s16, 0
	s_mov_b32 s2, exec_lo
	s_delay_alu instid0(VALU_DEP_1)
	v_cmpx_gt_i64_e64 s[14:15], v[1:2]
	s_cbranch_execz .LBB154_25
; %bb.23:
	s_load_b32 s0, s[0:1], 0xd54
	v_cvt_f16_f32_e32 v1, s18
	v_lshlrev_b32_e32 v4, 3, v0
	s_mov_b32 s17, s18
	s_delay_alu instid0(VALU_DEP_2) | instskip(NEXT) | instid1(VALU_DEP_2)
	v_pack_b32_f16 v3, v1, v1
	v_add_co_u32 v4, s1, s6, v4
	s_delay_alu instid0(VALU_DEP_1) | instskip(SKIP_2) | instid1(SALU_CYCLE_1)
	v_add_co_ci_u32_e64 v5, null, s7, 0, s1
	s_waitcnt lgkmcnt(0)
	s_and_b32 s0, s0, 0xffff
	v_add_lshl_u32 v1, v0, s0, 2
	v_lshrrev_b32_e32 v0, 16, v3
	s_lshl_b32 s19, s0, 3
	s_lshl_b32 s20, s0, 2
.LBB154_24:                             ; =>This Inner Loop Header: Depth=1
	v_add_co_u32 v6, vcc_lo, s10, v4
	v_add_co_ci_u32_e32 v7, vcc_lo, s11, v5, vcc_lo
	v_add_co_u32 v8, vcc_lo, s12, v4
	v_add_co_ci_u32_e32 v9, vcc_lo, s13, v5, vcc_lo
	global_load_b64 v[6:7], v[6:7], off
	v_cmp_le_i64_e32 vcc_lo, s[14:15], v[1:2]
	v_cmp_lt_u64_e64 s0, 0xffff, v[1:2]
	v_add_co_u32 v4, s1, v4, s19
	s_delay_alu instid0(VALU_DEP_1) | instskip(SKIP_1) | instid1(VALU_DEP_4)
	v_add_co_ci_u32_e64 v5, s1, 0, v5, s1
	v_add_co_u32 v1, s1, v1, s20
	s_or_b32 s0, vcc_lo, s0
	v_add_co_ci_u32_e64 v2, s1, 0, v2, s1
	s_waitcnt vmcnt(0)
	v_lshrrev_b32_e32 v12, 16, v7
	v_cvt_f32_f16_e32 v11, v6
	v_lshrrev_b32_e32 v10, 16, v6
	v_cvt_f32_f16_e32 v13, v7
	v_cmp_u_f16_e64 s2, v6, v6
	v_cvt_f32_f16_e32 v15, v12
	v_cmp_lt_f32_e64 s5, s18, v11
	v_cvt_f32_f16_e32 v14, v10
	v_cmp_u_f16_e64 s3, v7, v7
	v_cmp_lt_f32_e64 s7, s18, v13
	v_cmp_u_f16_e64 s6, v12, v12
	v_cmp_lt_f32_e64 s9, s17, v15
	s_or_b32 s2, s2, s5
	v_cmp_u_f16_e64 s4, v10, v10
	v_cmp_lt_f32_e64 s8, s17, v14
	v_cndmask_b32_e64 v6, v3, v6, s2
	s_or_b32 s2, s3, s7
	s_delay_alu instid0(SALU_CYCLE_1) | instskip(SKIP_1) | instid1(SALU_CYCLE_1)
	v_cndmask_b32_e64 v7, v3, v7, s2
	s_or_b32 s2, s6, s9
	v_cndmask_b32_e64 v11, v0, v12, s2
	s_or_b32 s2, s4, s8
	s_and_b32 s0, exec_lo, s0
	v_cndmask_b32_e64 v10, v0, v10, s2
	s_or_b32 s16, s0, s16
	v_perm_b32 v7, v11, v7, 0x5040100
	s_delay_alu instid0(VALU_DEP_2)
	v_perm_b32 v6, v10, v6, 0x5040100
	global_store_b64 v[8:9], v[6:7], off
	s_and_not1_b32 exec_lo, exec_lo, s16
	s_cbranch_execnz .LBB154_24
.LBB154_25:
	s_nop 0
	s_sendmsg sendmsg(MSG_DEALLOC_VGPRS)
	s_endpgm
	.section	.rodata,"a",@progbits
	.p2align	6, 0x0
	.amdhsa_kernel _ZN2at6native12_GLOBAL__N_125multi_tensor_apply_kernelINS1_28TensorListScalarListMetadataIfLi2EEENS1_25BinaryOpScalarListFunctorIN3c104HalfELi2ELi1ELi1EEEJNS0_7maximumIfEEEEEvT_T0_DpT1_
		.amdhsa_group_segment_fixed_size 0
		.amdhsa_private_segment_fixed_size 0
		.amdhsa_kernarg_size 3656
		.amdhsa_user_sgpr_count 15
		.amdhsa_user_sgpr_dispatch_ptr 0
		.amdhsa_user_sgpr_queue_ptr 0
		.amdhsa_user_sgpr_kernarg_segment_ptr 1
		.amdhsa_user_sgpr_dispatch_id 0
		.amdhsa_user_sgpr_private_segment_size 0
		.amdhsa_wavefront_size32 1
		.amdhsa_uses_dynamic_stack 0
		.amdhsa_enable_private_segment 0
		.amdhsa_system_sgpr_workgroup_id_x 1
		.amdhsa_system_sgpr_workgroup_id_y 0
		.amdhsa_system_sgpr_workgroup_id_z 0
		.amdhsa_system_sgpr_workgroup_info 0
		.amdhsa_system_vgpr_workitem_id 0
		.amdhsa_next_free_vgpr 30
		.amdhsa_next_free_sgpr 22
		.amdhsa_reserve_vcc 1
		.amdhsa_float_round_mode_32 0
		.amdhsa_float_round_mode_16_64 0
		.amdhsa_float_denorm_mode_32 3
		.amdhsa_float_denorm_mode_16_64 3
		.amdhsa_dx10_clamp 1
		.amdhsa_ieee_mode 1
		.amdhsa_fp16_overflow 0
		.amdhsa_workgroup_processor_mode 1
		.amdhsa_memory_ordered 1
		.amdhsa_forward_progress 0
		.amdhsa_shared_vgpr_count 0
		.amdhsa_exception_fp_ieee_invalid_op 0
		.amdhsa_exception_fp_denorm_src 0
		.amdhsa_exception_fp_ieee_div_zero 0
		.amdhsa_exception_fp_ieee_overflow 0
		.amdhsa_exception_fp_ieee_underflow 0
		.amdhsa_exception_fp_ieee_inexact 0
		.amdhsa_exception_int_div_zero 0
	.end_amdhsa_kernel
	.section	.text._ZN2at6native12_GLOBAL__N_125multi_tensor_apply_kernelINS1_28TensorListScalarListMetadataIfLi2EEENS1_25BinaryOpScalarListFunctorIN3c104HalfELi2ELi1ELi1EEEJNS0_7maximumIfEEEEEvT_T0_DpT1_,"axG",@progbits,_ZN2at6native12_GLOBAL__N_125multi_tensor_apply_kernelINS1_28TensorListScalarListMetadataIfLi2EEENS1_25BinaryOpScalarListFunctorIN3c104HalfELi2ELi1ELi1EEEJNS0_7maximumIfEEEEEvT_T0_DpT1_,comdat
.Lfunc_end154:
	.size	_ZN2at6native12_GLOBAL__N_125multi_tensor_apply_kernelINS1_28TensorListScalarListMetadataIfLi2EEENS1_25BinaryOpScalarListFunctorIN3c104HalfELi2ELi1ELi1EEEJNS0_7maximumIfEEEEEvT_T0_DpT1_, .Lfunc_end154-_ZN2at6native12_GLOBAL__N_125multi_tensor_apply_kernelINS1_28TensorListScalarListMetadataIfLi2EEENS1_25BinaryOpScalarListFunctorIN3c104HalfELi2ELi1ELi1EEEJNS0_7maximumIfEEEEEvT_T0_DpT1_
                                        ; -- End function
	.section	.AMDGPU.csdata,"",@progbits
; Kernel info:
; codeLenInByte = 1688
; NumSgprs: 24
; NumVgprs: 30
; ScratchSize: 0
; MemoryBound: 0
; FloatMode: 240
; IeeeMode: 1
; LDSByteSize: 0 bytes/workgroup (compile time only)
; SGPRBlocks: 2
; VGPRBlocks: 3
; NumSGPRsForWavesPerEU: 24
; NumVGPRsForWavesPerEU: 30
; Occupancy: 16
; WaveLimiterHint : 0
; COMPUTE_PGM_RSRC2:SCRATCH_EN: 0
; COMPUTE_PGM_RSRC2:USER_SGPR: 15
; COMPUTE_PGM_RSRC2:TRAP_HANDLER: 0
; COMPUTE_PGM_RSRC2:TGID_X_EN: 1
; COMPUTE_PGM_RSRC2:TGID_Y_EN: 0
; COMPUTE_PGM_RSRC2:TGID_Z_EN: 0
; COMPUTE_PGM_RSRC2:TIDIG_COMP_CNT: 0
	.section	.text._ZN2at6native12_GLOBAL__N_125multi_tensor_apply_kernelINS1_28TensorListScalarListMetadataIfLi2EEENS1_25BinaryOpScalarListFunctorIN3c108BFloat16ELi2ELi1ELi1EEEJNS0_7maximumIfEEEEEvT_T0_DpT1_,"axG",@progbits,_ZN2at6native12_GLOBAL__N_125multi_tensor_apply_kernelINS1_28TensorListScalarListMetadataIfLi2EEENS1_25BinaryOpScalarListFunctorIN3c108BFloat16ELi2ELi1ELi1EEEJNS0_7maximumIfEEEEEvT_T0_DpT1_,comdat
	.globl	_ZN2at6native12_GLOBAL__N_125multi_tensor_apply_kernelINS1_28TensorListScalarListMetadataIfLi2EEENS1_25BinaryOpScalarListFunctorIN3c108BFloat16ELi2ELi1ELi1EEEJNS0_7maximumIfEEEEEvT_T0_DpT1_ ; -- Begin function _ZN2at6native12_GLOBAL__N_125multi_tensor_apply_kernelINS1_28TensorListScalarListMetadataIfLi2EEENS1_25BinaryOpScalarListFunctorIN3c108BFloat16ELi2ELi1ELi1EEEJNS0_7maximumIfEEEEEvT_T0_DpT1_
	.p2align	8
	.type	_ZN2at6native12_GLOBAL__N_125multi_tensor_apply_kernelINS1_28TensorListScalarListMetadataIfLi2EEENS1_25BinaryOpScalarListFunctorIN3c108BFloat16ELi2ELi1ELi1EEEJNS0_7maximumIfEEEEEvT_T0_DpT1_,@function
_ZN2at6native12_GLOBAL__N_125multi_tensor_apply_kernelINS1_28TensorListScalarListMetadataIfLi2EEENS1_25BinaryOpScalarListFunctorIN3c108BFloat16ELi2ELi1ELi1EEEJNS0_7maximumIfEEEEEvT_T0_DpT1_: ; @_ZN2at6native12_GLOBAL__N_125multi_tensor_apply_kernelINS1_28TensorListScalarListMetadataIfLi2EEENS1_25BinaryOpScalarListFunctorIN3c108BFloat16ELi2ELi1ELi1EEEJNS0_7maximumIfEEEEEvT_T0_DpT1_
; %bb.0:
	v_mov_b32_e32 v1, s15
	s_add_u32 s2, s0, s15
	s_mul_hi_u32 s3, s15, 3
	s_mul_i32 s15, s15, 3
	s_addc_u32 s4, s1, 0
	global_load_u8 v1, v1, s[0:1] offset:1792
	s_add_u32 s2, s2, s15
	s_addc_u32 s3, s4, s3
	s_mov_b32 s15, 0
	s_load_b32 s2, s[2:3], 0x840
	s_waitcnt vmcnt(0)
	v_readfirstlane_b32 s3, v1
	v_lshlrev_b32_e32 v1, 2, v1
	s_delay_alu instid0(VALU_DEP_2)
	s_lshl_b32 s6, s3, 3
	s_waitcnt lgkmcnt(0)
	s_ashr_i32 s3, s2, 31
	s_add_u32 s7, s0, s6
	s_addc_u32 s10, s1, 0
	v_sub_co_u32 v1, s7, s7, v1
	s_delay_alu instid0(VALU_DEP_1)
	v_sub_co_ci_u32_e64 v2, null, s10, 0, s7
	s_clause 0x2
	s_load_b64 s[4:5], s[0:1], s6 offset:0x400
	s_load_b64 s[10:11], s[0:1], s6 offset:0x200
	;; [unrolled: 1-line block ×3, first 2 shown]
	v_readfirstlane_b32 s6, v1
	v_readfirstlane_b32 s7, v2
	s_load_b32 s18, s[6:7], 0x600
	s_lshl_b64 s[6:7], s[2:3], 17
	s_lshl_b64 s[2:3], s[2:3], 16
	s_waitcnt lgkmcnt(0)
	s_and_b32 s13, s4, 3
	s_and_b32 s14, s10, 7
	;; [unrolled: 1-line block ×3, first 2 shown]
	s_delay_alu instid0(SALU_CYCLE_1) | instskip(NEXT) | instid1(SALU_CYCLE_1)
	s_or_b32 s12, s12, s13
	s_or_b32 s14, s14, s12
	s_sub_u32 s12, s4, s2
	s_subb_u32 s13, s5, s3
	s_cmp_eq_u64 s[14:15], 0
	s_mov_b32 s2, -1
	s_cbranch_scc1 .LBB155_21
; %bb.1:
	v_cmp_lt_i64_e64 s2, s[12:13], 1
	s_delay_alu instid0(VALU_DEP_1)
	s_and_b32 vcc_lo, exec_lo, s2
	s_cbranch_vccnz .LBB155_20
; %bb.2:
	s_load_b32 s2, s[0:1], 0xd54
	v_dual_mov_b32 v10, 0 :: v_dual_lshlrev_b32 v9, 1, v0
	v_cmp_gt_u64_e64 s3, 0x10000, s[12:13]
	s_mov_b64 s[16:17], 0
	s_delay_alu instid0(VALU_DEP_2) | instskip(NEXT) | instid1(VALU_DEP_1)
	v_add_co_u32 v1, s4, s8, v9
	v_add_co_ci_u32_e64 v2, null, s9, 0, s4
	v_add_co_u32 v3, s4, s10, v9
	s_delay_alu instid0(VALU_DEP_1)
	v_add_co_ci_u32_e64 v4, null, s11, 0, s4
	s_waitcnt lgkmcnt(0)
	s_and_b32 s2, s2, 0xffff
	s_and_b32 s3, s3, exec_lo
	v_mad_u64_u32 v[7:8], null, s2, 6, v[9:10]
	s_cselect_b32 s15, s13, 0
	s_cselect_b32 s14, s12, 0x10000
	s_mul_i32 s4, s2, 3
	s_lshl_b32 s19, s2, 2
	s_lshl_b32 s3, s2, 1
	v_add_co_u32 v14, s5, s19, v9
	v_add_co_u32 v9, s4, s4, v0
	s_delay_alu instid0(VALU_DEP_1) | instskip(SKIP_3) | instid1(VALU_DEP_3)
	v_add_co_ci_u32_e64 v10, null, 0, 0, s4
	v_add_co_u32 v13, s4, v0, s2
	v_add_co_u32 v5, vcc_lo, s8, v7
	v_add_co_ci_u32_e32 v6, vcc_lo, s9, v8, vcc_lo
	v_lshlrev_b32_e32 v21, 1, v13
	v_add_co_u32 v7, vcc_lo, s10, v7
	v_add_co_ci_u32_e64 v15, null, 0, 0, s5
	v_add_co_ci_u32_e32 v8, vcc_lo, s11, v8, vcc_lo
	v_add_co_u32 v17, s3, s3, v0
	v_add_co_u32 v11, vcc_lo, s8, v14
	v_add_co_ci_u32_e64 v18, null, 0, 0, s3
	v_add_co_u32 v19, s3, s8, v21
	v_add_co_ci_u32_e32 v12, vcc_lo, s9, v15, vcc_lo
	v_add_co_u32 v14, vcc_lo, s10, v14
	v_add_co_ci_u32_e64 v20, null, s9, 0, s3
	v_add_co_u32 v21, s3, s10, v21
	v_add_co_ci_u32_e32 v15, vcc_lo, s11, v15, vcc_lo
	v_add_co_ci_u32_e64 v16, null, 0, 0, s4
	v_add_co_ci_u32_e64 v22, null, s11, 0, s3
	s_lshl_b32 s20, s2, 3
	s_branch .LBB155_4
.LBB155_3:                              ;   in Loop: Header=BB155_4 Depth=1
	s_or_b32 exec_lo, exec_lo, s3
	v_add_co_u32 v1, vcc_lo, v1, s20
	v_add_co_ci_u32_e32 v2, vcc_lo, 0, v2, vcc_lo
	v_add_co_u32 v3, vcc_lo, v3, s20
	v_add_co_ci_u32_e32 v4, vcc_lo, 0, v4, vcc_lo
	;; [unrolled: 2-line block ×5, first 2 shown]
	s_add_u32 s16, s16, s19
	v_add_co_u32 v14, vcc_lo, v14, s20
	s_addc_u32 s17, s17, 0
	v_add_co_ci_u32_e32 v15, vcc_lo, 0, v15, vcc_lo
	v_cmp_lt_i64_e64 s2, s[16:17], s[12:13]
	v_cmp_gt_u64_e64 s3, 0x10000, s[16:17]
	v_add_co_u32 v19, vcc_lo, v19, s20
	v_add_co_ci_u32_e32 v20, vcc_lo, 0, v20, vcc_lo
	v_add_co_u32 v21, vcc_lo, v21, s20
	v_add_co_ci_u32_e32 v22, vcc_lo, 0, v22, vcc_lo
	s_and_b32 s2, s2, s3
	s_delay_alu instid0(SALU_CYCLE_1)
	s_and_b32 vcc_lo, exec_lo, s2
	s_cbranch_vccz .LBB155_20
.LBB155_4:                              ; =>This Inner Loop Header: Depth=1
	s_waitcnt vmcnt(0)
	v_add_co_u32 v23, s2, v0, s16
	s_delay_alu instid0(VALU_DEP_1) | instskip(SKIP_1) | instid1(VALU_DEP_2)
	v_add_co_ci_u32_e64 v24, null, 0, s17, s2
	v_mov_b32_e32 v25, 0
	v_cmp_gt_u64_e64 s4, s[14:15], v[23:24]
	s_delay_alu instid0(VALU_DEP_1)
	s_and_saveexec_b32 s2, s4
	s_cbranch_execz .LBB155_6
; %bb.5:                                ;   in Loop: Header=BB155_4 Depth=1
	v_add_co_u32 v23, vcc_lo, v1, s6
	v_add_co_ci_u32_e32 v24, vcc_lo, s7, v2, vcc_lo
	global_load_u16 v25, v[23:24], off
.LBB155_6:                              ;   in Loop: Header=BB155_4 Depth=1
	s_or_b32 exec_lo, exec_lo, s2
	v_add_co_u32 v23, vcc_lo, v13, s16
	v_add_co_ci_u32_e32 v24, vcc_lo, s17, v16, vcc_lo
	v_mov_b32_e32 v26, 0
	s_delay_alu instid0(VALU_DEP_2) | instskip(NEXT) | instid1(VALU_DEP_1)
	v_cmp_gt_u64_e64 s3, s[14:15], v[23:24]
	s_and_saveexec_b32 s2, s3
	s_cbranch_execz .LBB155_8
; %bb.7:                                ;   in Loop: Header=BB155_4 Depth=1
	v_add_co_u32 v23, vcc_lo, v19, s6
	v_add_co_ci_u32_e32 v24, vcc_lo, s7, v20, vcc_lo
	global_load_u16 v26, v[23:24], off
.LBB155_8:                              ;   in Loop: Header=BB155_4 Depth=1
	s_or_b32 exec_lo, exec_lo, s2
	v_add_co_u32 v23, vcc_lo, v17, s16
	v_add_co_ci_u32_e32 v24, vcc_lo, s17, v18, vcc_lo
	s_delay_alu instid0(VALU_DEP_1) | instskip(SKIP_1) | instid1(VALU_DEP_2)
	v_cmp_gt_u64_e64 s2, s[14:15], v[23:24]
	v_dual_mov_b32 v23, 0 :: v_dual_mov_b32 v24, 0
	s_and_saveexec_b32 s5, s2
	s_cbranch_execz .LBB155_10
; %bb.9:                                ;   in Loop: Header=BB155_4 Depth=1
	v_add_co_u32 v27, vcc_lo, v11, s6
	v_add_co_ci_u32_e32 v28, vcc_lo, s7, v12, vcc_lo
	global_load_u16 v24, v[27:28], off
.LBB155_10:                             ;   in Loop: Header=BB155_4 Depth=1
	s_or_b32 exec_lo, exec_lo, s5
	v_add_co_u32 v27, vcc_lo, v9, s16
	v_add_co_ci_u32_e32 v28, vcc_lo, s17, v10, vcc_lo
	s_delay_alu instid0(VALU_DEP_1)
	v_cmp_gt_u64_e32 vcc_lo, s[14:15], v[27:28]
	s_and_saveexec_b32 s21, vcc_lo
	s_cbranch_execnz .LBB155_15
; %bb.11:                               ;   in Loop: Header=BB155_4 Depth=1
	s_or_b32 exec_lo, exec_lo, s21
	s_and_saveexec_b32 s21, s4
	s_cbranch_execnz .LBB155_16
.LBB155_12:                             ;   in Loop: Header=BB155_4 Depth=1
	s_or_b32 exec_lo, exec_lo, s21
	s_and_saveexec_b32 s5, s3
	s_cbranch_execnz .LBB155_17
.LBB155_13:                             ;   in Loop: Header=BB155_4 Depth=1
	s_or_b32 exec_lo, exec_lo, s5
	s_and_saveexec_b32 s4, s2
	s_cbranch_execnz .LBB155_18
.LBB155_14:                             ;   in Loop: Header=BB155_4 Depth=1
	s_or_b32 exec_lo, exec_lo, s4
	s_and_saveexec_b32 s3, vcc_lo
	s_cbranch_execz .LBB155_3
	s_branch .LBB155_19
.LBB155_15:                             ;   in Loop: Header=BB155_4 Depth=1
	v_add_co_u32 v27, s5, v5, s6
	s_delay_alu instid0(VALU_DEP_1)
	v_add_co_ci_u32_e64 v28, s5, s7, v6, s5
	global_load_u16 v23, v[27:28], off
	s_or_b32 exec_lo, exec_lo, s21
	s_and_saveexec_b32 s21, s4
	s_cbranch_execz .LBB155_12
.LBB155_16:                             ;   in Loop: Header=BB155_4 Depth=1
	s_waitcnt vmcnt(0)
	v_lshlrev_b32_e32 v25, 16, v25
	s_delay_alu instid0(VALU_DEP_1) | instskip(SKIP_1) | instid1(VALU_DEP_1)
	v_cmp_u_f32_e64 s4, v25, v25
	v_cmp_lt_f32_e64 s5, s18, v25
	s_or_b32 s4, s4, s5
	s_delay_alu instid0(SALU_CYCLE_1) | instskip(NEXT) | instid1(VALU_DEP_1)
	v_cndmask_b32_e64 v25, s18, v25, s4
	v_bfe_u32 v27, v25, 16, 1
	s_delay_alu instid0(VALU_DEP_1) | instskip(NEXT) | instid1(VALU_DEP_1)
	v_add3_u32 v27, v25, v27, 0x7fff
	v_lshrrev_b32_e32 v29, 16, v27
	v_add_co_u32 v27, s4, v3, s6
	s_delay_alu instid0(VALU_DEP_1) | instskip(SKIP_1) | instid1(VALU_DEP_1)
	v_add_co_ci_u32_e64 v28, s4, s7, v4, s4
	v_cmp_o_f32_e64 s4, v25, v25
	v_cndmask_b32_e64 v25, 0x7fc0, v29, s4
	global_store_b16 v[27:28], v25, off
	s_or_b32 exec_lo, exec_lo, s21
	s_and_saveexec_b32 s5, s3
	s_cbranch_execz .LBB155_13
.LBB155_17:                             ;   in Loop: Header=BB155_4 Depth=1
	s_waitcnt vmcnt(0)
	v_lshlrev_b32_e32 v25, 16, v26
	s_delay_alu instid0(VALU_DEP_1) | instskip(SKIP_1) | instid1(VALU_DEP_1)
	v_cmp_u_f32_e64 s3, v25, v25
	v_cmp_lt_f32_e64 s4, s18, v25
	s_or_b32 s3, s3, s4
	s_delay_alu instid0(SALU_CYCLE_1) | instskip(NEXT) | instid1(VALU_DEP_1)
	v_cndmask_b32_e64 v25, s18, v25, s3
	v_bfe_u32 v26, v25, 16, 1
	v_cmp_o_f32_e64 s3, v25, v25
	s_delay_alu instid0(VALU_DEP_2) | instskip(NEXT) | instid1(VALU_DEP_1)
	v_add3_u32 v26, v25, v26, 0x7fff
	v_lshrrev_b32_e32 v26, 16, v26
	s_delay_alu instid0(VALU_DEP_1) | instskip(SKIP_1) | instid1(VALU_DEP_1)
	v_cndmask_b32_e64 v27, 0x7fc0, v26, s3
	v_add_co_u32 v25, s3, v21, s6
	v_add_co_ci_u32_e64 v26, s3, s7, v22, s3
	global_store_b16 v[25:26], v27, off
	s_or_b32 exec_lo, exec_lo, s5
	s_and_saveexec_b32 s4, s2
	s_cbranch_execz .LBB155_14
.LBB155_18:                             ;   in Loop: Header=BB155_4 Depth=1
	s_waitcnt vmcnt(0)
	v_lshlrev_b32_e32 v24, 16, v24
	s_delay_alu instid0(VALU_DEP_1) | instskip(SKIP_1) | instid1(VALU_DEP_1)
	v_cmp_u_f32_e64 s2, v24, v24
	v_cmp_lt_f32_e64 s3, s18, v24
	s_or_b32 s2, s2, s3
	s_delay_alu instid0(SALU_CYCLE_1) | instskip(NEXT) | instid1(VALU_DEP_1)
	v_cndmask_b32_e64 v24, s18, v24, s2
	v_bfe_u32 v25, v24, 16, 1
	v_cmp_o_f32_e64 s2, v24, v24
	s_delay_alu instid0(VALU_DEP_2) | instskip(NEXT) | instid1(VALU_DEP_1)
	v_add3_u32 v25, v24, v25, 0x7fff
	v_lshrrev_b32_e32 v25, 16, v25
	s_delay_alu instid0(VALU_DEP_1) | instskip(SKIP_1) | instid1(VALU_DEP_1)
	v_cndmask_b32_e64 v26, 0x7fc0, v25, s2
	v_add_co_u32 v24, s2, v14, s6
	v_add_co_ci_u32_e64 v25, s2, s7, v15, s2
	global_store_b16 v[24:25], v26, off
	s_or_b32 exec_lo, exec_lo, s4
	s_and_saveexec_b32 s3, vcc_lo
	s_cbranch_execz .LBB155_3
.LBB155_19:                             ;   in Loop: Header=BB155_4 Depth=1
	s_waitcnt vmcnt(0)
	v_lshlrev_b32_e32 v23, 16, v23
	s_delay_alu instid0(VALU_DEP_1) | instskip(SKIP_1) | instid1(VALU_DEP_1)
	v_cmp_u_f32_e32 vcc_lo, v23, v23
	v_cmp_lt_f32_e64 s2, s18, v23
	s_or_b32 vcc_lo, vcc_lo, s2
	v_cndmask_b32_e32 v23, s18, v23, vcc_lo
	s_delay_alu instid0(VALU_DEP_1) | instskip(SKIP_1) | instid1(VALU_DEP_2)
	v_bfe_u32 v24, v23, 16, 1
	v_cmp_o_f32_e32 vcc_lo, v23, v23
	v_add3_u32 v24, v23, v24, 0x7fff
	s_delay_alu instid0(VALU_DEP_1) | instskip(NEXT) | instid1(VALU_DEP_1)
	v_lshrrev_b32_e32 v24, 16, v24
	v_cndmask_b32_e32 v25, 0x7fc0, v24, vcc_lo
	v_add_co_u32 v23, vcc_lo, v7, s6
	v_add_co_ci_u32_e32 v24, vcc_lo, s7, v8, vcc_lo
	global_store_b16 v[23:24], v25, off
	s_branch .LBB155_3
.LBB155_20:
	s_mov_b32 s2, 0
.LBB155_21:
	s_delay_alu instid0(SALU_CYCLE_1)
	s_and_not1_b32 vcc_lo, exec_lo, s2
	s_cbranch_vccnz .LBB155_25
; %bb.22:
	v_dual_mov_b32 v2, 0 :: v_dual_lshlrev_b32 v1, 2, v0
	s_mov_b32 s14, 0
	s_mov_b32 s2, exec_lo
	s_delay_alu instid0(VALU_DEP_1)
	v_cmpx_gt_i64_e64 s[12:13], v[1:2]
	s_cbranch_execz .LBB155_25
; %bb.23:
	s_load_b32 s0, s[0:1], 0xd54
	v_lshlrev_b32_e32 v1, 3, v0
	s_delay_alu instid0(VALU_DEP_1) | instskip(NEXT) | instid1(VALU_DEP_1)
	v_add_co_u32 v3, s1, s6, v1
	v_add_co_ci_u32_e64 v4, null, s7, 0, s1
	s_waitcnt lgkmcnt(0)
	s_and_b32 s0, s0, 0xffff
	s_delay_alu instid0(SALU_CYCLE_1)
	v_add_lshl_u32 v1, v0, s0, 2
	s_lshl_b32 s15, s0, 3
	s_lshl_b32 s16, s0, 2
.LBB155_24:                             ; =>This Inner Loop Header: Depth=1
	v_add_co_u32 v5, vcc_lo, s8, v3
	v_add_co_ci_u32_e32 v6, vcc_lo, s9, v4, vcc_lo
	v_add_co_u32 v7, vcc_lo, s10, v3
	v_add_co_ci_u32_e32 v8, vcc_lo, s11, v4, vcc_lo
	global_load_b64 v[5:6], v[5:6], off
	v_cmp_le_i64_e32 vcc_lo, s[12:13], v[1:2]
	v_cmp_lt_u64_e64 s0, 0xffff, v[1:2]
	v_add_co_u32 v3, s1, v3, s15
	s_delay_alu instid0(VALU_DEP_1) | instskip(SKIP_1) | instid1(VALU_DEP_4)
	v_add_co_ci_u32_e64 v4, s1, 0, v4, s1
	v_add_co_u32 v1, s1, v1, s16
	s_or_b32 s0, vcc_lo, s0
	v_add_co_ci_u32_e64 v2, s1, 0, v2, s1
	s_waitcnt vmcnt(0)
	v_lshlrev_b32_e32 v0, 16, v5
	v_and_b32_e32 v9, 0xffff0000, v5
	v_alignbit_b32 v5, v6, v5, 16
	v_and_b32_e32 v6, 0xffff0000, v6
	s_delay_alu instid0(VALU_DEP_4)
	v_cmp_u_f32_e64 s2, v0, v0
	v_cmp_lt_f32_e64 s3, s18, v0
	v_cmp_u_f32_e64 s4, v9, v9
	v_cmp_lt_f32_e64 s5, s18, v9
	v_and_b32_e32 v5, 0xffff0000, v5
	v_cmp_u_f32_e64 s6, v6, v6
	v_cmp_lt_f32_e64 s7, s18, v6
	s_or_b32 s2, s2, s3
	s_or_b32 s4, s4, s5
	v_cndmask_b32_e64 v0, s18, v0, s2
	v_cmp_u_f32_e64 s2, v5, v5
	v_cmp_lt_f32_e64 s3, s18, v5
	v_cndmask_b32_e64 v9, s18, v9, s4
	s_or_b32 s4, s6, s7
	v_bfe_u32 v10, v0, 16, 1
	v_cndmask_b32_e64 v6, s18, v6, s4
	s_or_b32 s2, s2, s3
	v_bfe_u32 v11, v9, 16, 1
	v_cndmask_b32_e64 v5, s18, v5, s2
	v_add3_u32 v10, v0, v10, 0x7fff
	v_bfe_u32 v12, v6, 16, 1
	v_cmp_o_f32_e64 s2, v0, v0
	v_add3_u32 v11, v9, v11, 0x7fff
	v_bfe_u32 v13, v5, 16, 1
	v_lshrrev_b32_e32 v10, 16, v10
	v_add3_u32 v12, v6, v12, 0x7fff
	v_cmp_o_f32_e64 s3, v9, v9
	v_and_b32_e32 v11, 0xffff0000, v11
	v_add3_u32 v13, v5, v13, 0x7fff
	v_cndmask_b32_e64 v10, 0x7fc0, v10, s2
	v_and_b32_e32 v12, 0xffff0000, v12
	v_cmp_o_f32_e64 s2, v6, v6
	v_cndmask_b32_e64 v9, 0x7fc00000, v11, s3
	v_lshrrev_b32_e32 v0, 16, v13
	s_and_b32 s0, exec_lo, s0
	s_delay_alu instid0(VALU_DEP_3) | instskip(SKIP_3) | instid1(VALU_DEP_2)
	v_cndmask_b32_e64 v6, 0x7fc00000, v12, s2
	v_cmp_o_f32_e64 s2, v5, v5
	v_or_b32_e32 v5, v10, v9
	s_or_b32 s14, s0, s14
	v_cndmask_b32_e64 v0, 0x7fc0, v0, s2
	s_delay_alu instid0(VALU_DEP_2) | instskip(NEXT) | instid1(VALU_DEP_2)
	v_or3_b32 v5, v5, 0, 0
	v_or3_b32 v6, 0, v0, v6
	global_store_b64 v[7:8], v[5:6], off
	s_and_not1_b32 exec_lo, exec_lo, s14
	s_cbranch_execnz .LBB155_24
.LBB155_25:
	s_nop 0
	s_sendmsg sendmsg(MSG_DEALLOC_VGPRS)
	s_endpgm
	.section	.rodata,"a",@progbits
	.p2align	6, 0x0
	.amdhsa_kernel _ZN2at6native12_GLOBAL__N_125multi_tensor_apply_kernelINS1_28TensorListScalarListMetadataIfLi2EEENS1_25BinaryOpScalarListFunctorIN3c108BFloat16ELi2ELi1ELi1EEEJNS0_7maximumIfEEEEEvT_T0_DpT1_
		.amdhsa_group_segment_fixed_size 0
		.amdhsa_private_segment_fixed_size 0
		.amdhsa_kernarg_size 3656
		.amdhsa_user_sgpr_count 15
		.amdhsa_user_sgpr_dispatch_ptr 0
		.amdhsa_user_sgpr_queue_ptr 0
		.amdhsa_user_sgpr_kernarg_segment_ptr 1
		.amdhsa_user_sgpr_dispatch_id 0
		.amdhsa_user_sgpr_private_segment_size 0
		.amdhsa_wavefront_size32 1
		.amdhsa_uses_dynamic_stack 0
		.amdhsa_enable_private_segment 0
		.amdhsa_system_sgpr_workgroup_id_x 1
		.amdhsa_system_sgpr_workgroup_id_y 0
		.amdhsa_system_sgpr_workgroup_id_z 0
		.amdhsa_system_sgpr_workgroup_info 0
		.amdhsa_system_vgpr_workitem_id 0
		.amdhsa_next_free_vgpr 30
		.amdhsa_next_free_sgpr 22
		.amdhsa_reserve_vcc 1
		.amdhsa_float_round_mode_32 0
		.amdhsa_float_round_mode_16_64 0
		.amdhsa_float_denorm_mode_32 3
		.amdhsa_float_denorm_mode_16_64 3
		.amdhsa_dx10_clamp 1
		.amdhsa_ieee_mode 1
		.amdhsa_fp16_overflow 0
		.amdhsa_workgroup_processor_mode 1
		.amdhsa_memory_ordered 1
		.amdhsa_forward_progress 0
		.amdhsa_shared_vgpr_count 0
		.amdhsa_exception_fp_ieee_invalid_op 0
		.amdhsa_exception_fp_denorm_src 0
		.amdhsa_exception_fp_ieee_div_zero 0
		.amdhsa_exception_fp_ieee_overflow 0
		.amdhsa_exception_fp_ieee_underflow 0
		.amdhsa_exception_fp_ieee_inexact 0
		.amdhsa_exception_int_div_zero 0
	.end_amdhsa_kernel
	.section	.text._ZN2at6native12_GLOBAL__N_125multi_tensor_apply_kernelINS1_28TensorListScalarListMetadataIfLi2EEENS1_25BinaryOpScalarListFunctorIN3c108BFloat16ELi2ELi1ELi1EEEJNS0_7maximumIfEEEEEvT_T0_DpT1_,"axG",@progbits,_ZN2at6native12_GLOBAL__N_125multi_tensor_apply_kernelINS1_28TensorListScalarListMetadataIfLi2EEENS1_25BinaryOpScalarListFunctorIN3c108BFloat16ELi2ELi1ELi1EEEJNS0_7maximumIfEEEEEvT_T0_DpT1_,comdat
.Lfunc_end155:
	.size	_ZN2at6native12_GLOBAL__N_125multi_tensor_apply_kernelINS1_28TensorListScalarListMetadataIfLi2EEENS1_25BinaryOpScalarListFunctorIN3c108BFloat16ELi2ELi1ELi1EEEJNS0_7maximumIfEEEEEvT_T0_DpT1_, .Lfunc_end155-_ZN2at6native12_GLOBAL__N_125multi_tensor_apply_kernelINS1_28TensorListScalarListMetadataIfLi2EEENS1_25BinaryOpScalarListFunctorIN3c108BFloat16ELi2ELi1ELi1EEEJNS0_7maximumIfEEEEEvT_T0_DpT1_
                                        ; -- End function
	.section	.AMDGPU.csdata,"",@progbits
; Kernel info:
; codeLenInByte = 2064
; NumSgprs: 24
; NumVgprs: 30
; ScratchSize: 0
; MemoryBound: 0
; FloatMode: 240
; IeeeMode: 1
; LDSByteSize: 0 bytes/workgroup (compile time only)
; SGPRBlocks: 2
; VGPRBlocks: 3
; NumSGPRsForWavesPerEU: 24
; NumVGPRsForWavesPerEU: 30
; Occupancy: 16
; WaveLimiterHint : 0
; COMPUTE_PGM_RSRC2:SCRATCH_EN: 0
; COMPUTE_PGM_RSRC2:USER_SGPR: 15
; COMPUTE_PGM_RSRC2:TRAP_HANDLER: 0
; COMPUTE_PGM_RSRC2:TGID_X_EN: 1
; COMPUTE_PGM_RSRC2:TGID_Y_EN: 0
; COMPUTE_PGM_RSRC2:TGID_Z_EN: 0
; COMPUTE_PGM_RSRC2:TIDIG_COMP_CNT: 0
	.text
	.p2alignl 7, 3214868480
	.fill 96, 4, 3214868480
	.type	__hip_cuid_484e3e39172c9da8,@object ; @__hip_cuid_484e3e39172c9da8
	.section	.bss,"aw",@nobits
	.globl	__hip_cuid_484e3e39172c9da8
__hip_cuid_484e3e39172c9da8:
	.byte	0                               ; 0x0
	.size	__hip_cuid_484e3e39172c9da8, 1

	.ident	"AMD clang version 19.0.0git (https://github.com/RadeonOpenCompute/llvm-project roc-6.4.0 25133 c7fe45cf4b819c5991fe208aaa96edf142730f1d)"
	.section	".note.GNU-stack","",@progbits
	.addrsig
	.addrsig_sym __hip_cuid_484e3e39172c9da8
	.amdgpu_metadata
---
amdhsa.kernels:
  - .args:
      - .offset:         0
        .size:           3232
        .value_kind:     by_value
      - .offset:         3232
        .size:           1
        .value_kind:     by_value
      - .offset:         3233
        .size:           1
        .value_kind:     by_value
      - .offset:         3240
        .size:           4
        .value_kind:     hidden_block_count_x
      - .offset:         3244
        .size:           4
        .value_kind:     hidden_block_count_y
      - .offset:         3248
        .size:           4
        .value_kind:     hidden_block_count_z
      - .offset:         3252
        .size:           2
        .value_kind:     hidden_group_size_x
      - .offset:         3254
        .size:           2
        .value_kind:     hidden_group_size_y
      - .offset:         3256
        .size:           2
        .value_kind:     hidden_group_size_z
      - .offset:         3258
        .size:           2
        .value_kind:     hidden_remainder_x
      - .offset:         3260
        .size:           2
        .value_kind:     hidden_remainder_y
      - .offset:         3262
        .size:           2
        .value_kind:     hidden_remainder_z
      - .offset:         3280
        .size:           8
        .value_kind:     hidden_global_offset_x
      - .offset:         3288
        .size:           8
        .value_kind:     hidden_global_offset_y
      - .offset:         3296
        .size:           8
        .value_kind:     hidden_global_offset_z
      - .offset:         3304
        .size:           2
        .value_kind:     hidden_grid_dims
    .group_segment_fixed_size: 0
    .kernarg_segment_align: 8
    .kernarg_segment_size: 3496
    .language:       OpenCL C
    .language_version:
      - 2
      - 0
    .max_flat_workgroup_size: 512
    .name:           _ZN2at6native12_GLOBAL__N_125multi_tensor_apply_kernelINS1_28TensorListScalarListMetadataIhLi1EEENS1_25BinaryOpScalarListFunctorIhLi1ELi1ELi0EEEJSt4plusIhEEEEvT_T0_DpT1_
    .private_segment_fixed_size: 0
    .sgpr_count:     19
    .sgpr_spill_count: 0
    .symbol:         _ZN2at6native12_GLOBAL__N_125multi_tensor_apply_kernelINS1_28TensorListScalarListMetadataIhLi1EEENS1_25BinaryOpScalarListFunctorIhLi1ELi1ELi0EEEJSt4plusIhEEEEvT_T0_DpT1_.kd
    .uniform_work_group_size: 1
    .uses_dynamic_stack: false
    .vgpr_count:     22
    .vgpr_spill_count: 0
    .wavefront_size: 32
    .workgroup_processor_mode: 1
  - .args:
      - .offset:         0
        .size:           3232
        .value_kind:     by_value
      - .offset:         3232
        .size:           1
        .value_kind:     by_value
      - .offset:         3233
        .size:           1
        .value_kind:     by_value
      - .offset:         3240
        .size:           4
        .value_kind:     hidden_block_count_x
      - .offset:         3244
        .size:           4
        .value_kind:     hidden_block_count_y
      - .offset:         3248
        .size:           4
        .value_kind:     hidden_block_count_z
      - .offset:         3252
        .size:           2
        .value_kind:     hidden_group_size_x
      - .offset:         3254
        .size:           2
        .value_kind:     hidden_group_size_y
      - .offset:         3256
        .size:           2
        .value_kind:     hidden_group_size_z
      - .offset:         3258
        .size:           2
        .value_kind:     hidden_remainder_x
      - .offset:         3260
        .size:           2
        .value_kind:     hidden_remainder_y
      - .offset:         3262
        .size:           2
        .value_kind:     hidden_remainder_z
      - .offset:         3280
        .size:           8
        .value_kind:     hidden_global_offset_x
      - .offset:         3288
        .size:           8
        .value_kind:     hidden_global_offset_y
      - .offset:         3296
        .size:           8
        .value_kind:     hidden_global_offset_z
      - .offset:         3304
        .size:           2
        .value_kind:     hidden_grid_dims
    .group_segment_fixed_size: 0
    .kernarg_segment_align: 8
    .kernarg_segment_size: 3496
    .language:       OpenCL C
    .language_version:
      - 2
      - 0
    .max_flat_workgroup_size: 512
    .name:           _ZN2at6native12_GLOBAL__N_125multi_tensor_apply_kernelINS1_28TensorListScalarListMetadataIaLi1EEENS1_25BinaryOpScalarListFunctorIaLi1ELi1ELi0EEEJSt4plusIaEEEEvT_T0_DpT1_
    .private_segment_fixed_size: 0
    .sgpr_count:     19
    .sgpr_spill_count: 0
    .symbol:         _ZN2at6native12_GLOBAL__N_125multi_tensor_apply_kernelINS1_28TensorListScalarListMetadataIaLi1EEENS1_25BinaryOpScalarListFunctorIaLi1ELi1ELi0EEEJSt4plusIaEEEEvT_T0_DpT1_.kd
    .uniform_work_group_size: 1
    .uses_dynamic_stack: false
    .vgpr_count:     22
    .vgpr_spill_count: 0
    .wavefront_size: 32
    .workgroup_processor_mode: 1
  - .args:
      - .offset:         0
        .size:           3520
        .value_kind:     by_value
      - .offset:         3520
        .size:           1
        .value_kind:     by_value
      - .offset:         3521
        .size:           1
        .value_kind:     by_value
      - .offset:         3528
        .size:           4
        .value_kind:     hidden_block_count_x
      - .offset:         3532
        .size:           4
        .value_kind:     hidden_block_count_y
      - .offset:         3536
        .size:           4
        .value_kind:     hidden_block_count_z
      - .offset:         3540
        .size:           2
        .value_kind:     hidden_group_size_x
      - .offset:         3542
        .size:           2
        .value_kind:     hidden_group_size_y
      - .offset:         3544
        .size:           2
        .value_kind:     hidden_group_size_z
      - .offset:         3546
        .size:           2
        .value_kind:     hidden_remainder_x
      - .offset:         3548
        .size:           2
        .value_kind:     hidden_remainder_y
      - .offset:         3550
        .size:           2
        .value_kind:     hidden_remainder_z
      - .offset:         3568
        .size:           8
        .value_kind:     hidden_global_offset_x
      - .offset:         3576
        .size:           8
        .value_kind:     hidden_global_offset_y
      - .offset:         3584
        .size:           8
        .value_kind:     hidden_global_offset_z
      - .offset:         3592
        .size:           2
        .value_kind:     hidden_grid_dims
    .group_segment_fixed_size: 0
    .kernarg_segment_align: 8
    .kernarg_segment_size: 3784
    .language:       OpenCL C
    .language_version:
      - 2
      - 0
    .max_flat_workgroup_size: 512
    .name:           _ZN2at6native12_GLOBAL__N_125multi_tensor_apply_kernelINS1_28TensorListScalarListMetadataIiLi1EEENS1_25BinaryOpScalarListFunctorIiLi1ELi1ELi0EEEJSt4plusIiEEEEvT_T0_DpT1_
    .private_segment_fixed_size: 0
    .sgpr_count:     24
    .sgpr_spill_count: 0
    .symbol:         _ZN2at6native12_GLOBAL__N_125multi_tensor_apply_kernelINS1_28TensorListScalarListMetadataIiLi1EEENS1_25BinaryOpScalarListFunctorIiLi1ELi1ELi0EEEJSt4plusIiEEEEvT_T0_DpT1_.kd
    .uniform_work_group_size: 1
    .uses_dynamic_stack: false
    .vgpr_count:     17
    .vgpr_spill_count: 0
    .wavefront_size: 32
    .workgroup_processor_mode: 1
  - .args:
      - .offset:         0
        .size:           3904
        .value_kind:     by_value
      - .offset:         3904
        .size:           1
        .value_kind:     by_value
      - .offset:         3905
        .size:           1
        .value_kind:     by_value
      - .offset:         3912
        .size:           4
        .value_kind:     hidden_block_count_x
      - .offset:         3916
        .size:           4
        .value_kind:     hidden_block_count_y
      - .offset:         3920
        .size:           4
        .value_kind:     hidden_block_count_z
      - .offset:         3924
        .size:           2
        .value_kind:     hidden_group_size_x
      - .offset:         3926
        .size:           2
        .value_kind:     hidden_group_size_y
      - .offset:         3928
        .size:           2
        .value_kind:     hidden_group_size_z
      - .offset:         3930
        .size:           2
        .value_kind:     hidden_remainder_x
      - .offset:         3932
        .size:           2
        .value_kind:     hidden_remainder_y
      - .offset:         3934
        .size:           2
        .value_kind:     hidden_remainder_z
      - .offset:         3952
        .size:           8
        .value_kind:     hidden_global_offset_x
      - .offset:         3960
        .size:           8
        .value_kind:     hidden_global_offset_y
      - .offset:         3968
        .size:           8
        .value_kind:     hidden_global_offset_z
      - .offset:         3976
        .size:           2
        .value_kind:     hidden_grid_dims
    .group_segment_fixed_size: 0
    .kernarg_segment_align: 8
    .kernarg_segment_size: 4168
    .language:       OpenCL C
    .language_version:
      - 2
      - 0
    .max_flat_workgroup_size: 512
    .name:           _ZN2at6native12_GLOBAL__N_125multi_tensor_apply_kernelINS1_28TensorListScalarListMetadataIlLi1EEENS1_25BinaryOpScalarListFunctorIlLi1ELi1ELi0EEEJSt4plusIlEEEEvT_T0_DpT1_
    .private_segment_fixed_size: 0
    .sgpr_count:     25
    .sgpr_spill_count: 0
    .symbol:         _ZN2at6native12_GLOBAL__N_125multi_tensor_apply_kernelINS1_28TensorListScalarListMetadataIlLi1EEENS1_25BinaryOpScalarListFunctorIlLi1ELi1ELi0EEEJSt4plusIlEEEEvT_T0_DpT1_.kd
    .uniform_work_group_size: 1
    .uses_dynamic_stack: false
    .vgpr_count:     21
    .vgpr_spill_count: 0
    .wavefront_size: 32
    .workgroup_processor_mode: 1
  - .args:
      - .offset:         0
        .size:           3328
        .value_kind:     by_value
      - .offset:         3328
        .size:           1
        .value_kind:     by_value
      - .offset:         3329
        .size:           1
        .value_kind:     by_value
      - .offset:         3336
        .size:           4
        .value_kind:     hidden_block_count_x
      - .offset:         3340
        .size:           4
        .value_kind:     hidden_block_count_y
      - .offset:         3344
        .size:           4
        .value_kind:     hidden_block_count_z
      - .offset:         3348
        .size:           2
        .value_kind:     hidden_group_size_x
      - .offset:         3350
        .size:           2
        .value_kind:     hidden_group_size_y
      - .offset:         3352
        .size:           2
        .value_kind:     hidden_group_size_z
      - .offset:         3354
        .size:           2
        .value_kind:     hidden_remainder_x
      - .offset:         3356
        .size:           2
        .value_kind:     hidden_remainder_y
      - .offset:         3358
        .size:           2
        .value_kind:     hidden_remainder_z
      - .offset:         3376
        .size:           8
        .value_kind:     hidden_global_offset_x
      - .offset:         3384
        .size:           8
        .value_kind:     hidden_global_offset_y
      - .offset:         3392
        .size:           8
        .value_kind:     hidden_global_offset_z
      - .offset:         3400
        .size:           2
        .value_kind:     hidden_grid_dims
    .group_segment_fixed_size: 0
    .kernarg_segment_align: 8
    .kernarg_segment_size: 3592
    .language:       OpenCL C
    .language_version:
      - 2
      - 0
    .max_flat_workgroup_size: 512
    .name:           _ZN2at6native12_GLOBAL__N_125multi_tensor_apply_kernelINS1_28TensorListScalarListMetadataIsLi1EEENS1_25BinaryOpScalarListFunctorIsLi1ELi1ELi0EEEJSt4plusIsEEEEvT_T0_DpT1_
    .private_segment_fixed_size: 0
    .sgpr_count:     22
    .sgpr_spill_count: 0
    .symbol:         _ZN2at6native12_GLOBAL__N_125multi_tensor_apply_kernelINS1_28TensorListScalarListMetadataIsLi1EEENS1_25BinaryOpScalarListFunctorIsLi1ELi1ELi0EEEJSt4plusIsEEEEvT_T0_DpT1_.kd
    .uniform_work_group_size: 1
    .uses_dynamic_stack: false
    .vgpr_count:     18
    .vgpr_spill_count: 0
    .wavefront_size: 32
    .workgroup_processor_mode: 1
  - .args:
      - .offset:         0
        .size:           3904
        .value_kind:     by_value
      - .offset:         3904
        .size:           1
        .value_kind:     by_value
      - .offset:         3905
        .size:           1
        .value_kind:     by_value
      - .offset:         3912
        .size:           4
        .value_kind:     hidden_block_count_x
      - .offset:         3916
        .size:           4
        .value_kind:     hidden_block_count_y
      - .offset:         3920
        .size:           4
        .value_kind:     hidden_block_count_z
      - .offset:         3924
        .size:           2
        .value_kind:     hidden_group_size_x
      - .offset:         3926
        .size:           2
        .value_kind:     hidden_group_size_y
      - .offset:         3928
        .size:           2
        .value_kind:     hidden_group_size_z
      - .offset:         3930
        .size:           2
        .value_kind:     hidden_remainder_x
      - .offset:         3932
        .size:           2
        .value_kind:     hidden_remainder_y
      - .offset:         3934
        .size:           2
        .value_kind:     hidden_remainder_z
      - .offset:         3952
        .size:           8
        .value_kind:     hidden_global_offset_x
      - .offset:         3960
        .size:           8
        .value_kind:     hidden_global_offset_y
      - .offset:         3968
        .size:           8
        .value_kind:     hidden_global_offset_z
      - .offset:         3976
        .size:           2
        .value_kind:     hidden_grid_dims
    .group_segment_fixed_size: 0
    .kernarg_segment_align: 8
    .kernarg_segment_size: 4168
    .language:       OpenCL C
    .language_version:
      - 2
      - 0
    .max_flat_workgroup_size: 512
    .name:           _ZN2at6native12_GLOBAL__N_125multi_tensor_apply_kernelINS1_28TensorListScalarListMetadataIdLi1EEENS1_25BinaryOpScalarListFunctorIdLi1ELi1ELi0EEEJSt4plusIdEEEEvT_T0_DpT1_
    .private_segment_fixed_size: 0
    .sgpr_count:     25
    .sgpr_spill_count: 0
    .symbol:         _ZN2at6native12_GLOBAL__N_125multi_tensor_apply_kernelINS1_28TensorListScalarListMetadataIdLi1EEENS1_25BinaryOpScalarListFunctorIdLi1ELi1ELi0EEEJSt4plusIdEEEEvT_T0_DpT1_.kd
    .uniform_work_group_size: 1
    .uses_dynamic_stack: false
    .vgpr_count:     21
    .vgpr_spill_count: 0
    .wavefront_size: 32
    .workgroup_processor_mode: 1
  - .args:
      - .offset:         0
        .size:           3520
        .value_kind:     by_value
      - .offset:         3520
        .size:           1
        .value_kind:     by_value
      - .offset:         3521
        .size:           1
        .value_kind:     by_value
      - .offset:         3528
        .size:           4
        .value_kind:     hidden_block_count_x
      - .offset:         3532
        .size:           4
        .value_kind:     hidden_block_count_y
      - .offset:         3536
        .size:           4
        .value_kind:     hidden_block_count_z
      - .offset:         3540
        .size:           2
        .value_kind:     hidden_group_size_x
      - .offset:         3542
        .size:           2
        .value_kind:     hidden_group_size_y
      - .offset:         3544
        .size:           2
        .value_kind:     hidden_group_size_z
      - .offset:         3546
        .size:           2
        .value_kind:     hidden_remainder_x
      - .offset:         3548
        .size:           2
        .value_kind:     hidden_remainder_y
      - .offset:         3550
        .size:           2
        .value_kind:     hidden_remainder_z
      - .offset:         3568
        .size:           8
        .value_kind:     hidden_global_offset_x
      - .offset:         3576
        .size:           8
        .value_kind:     hidden_global_offset_y
      - .offset:         3584
        .size:           8
        .value_kind:     hidden_global_offset_z
      - .offset:         3592
        .size:           2
        .value_kind:     hidden_grid_dims
    .group_segment_fixed_size: 0
    .kernarg_segment_align: 8
    .kernarg_segment_size: 3784
    .language:       OpenCL C
    .language_version:
      - 2
      - 0
    .max_flat_workgroup_size: 512
    .name:           _ZN2at6native12_GLOBAL__N_125multi_tensor_apply_kernelINS1_28TensorListScalarListMetadataIfLi1EEENS1_25BinaryOpScalarListFunctorIfLi1ELi1ELi0EEEJSt4plusIfEEEEvT_T0_DpT1_
    .private_segment_fixed_size: 0
    .sgpr_count:     24
    .sgpr_spill_count: 0
    .symbol:         _ZN2at6native12_GLOBAL__N_125multi_tensor_apply_kernelINS1_28TensorListScalarListMetadataIfLi1EEENS1_25BinaryOpScalarListFunctorIfLi1ELi1ELi0EEEJSt4plusIfEEEEvT_T0_DpT1_.kd
    .uniform_work_group_size: 1
    .uses_dynamic_stack: false
    .vgpr_count:     17
    .vgpr_spill_count: 0
    .wavefront_size: 32
    .workgroup_processor_mode: 1
  - .args:
      - .offset:         0
        .size:           3904
        .value_kind:     by_value
      - .offset:         3904
        .size:           1
        .value_kind:     by_value
      - .offset:         3905
        .size:           1
        .value_kind:     by_value
      - .offset:         3912
        .size:           4
        .value_kind:     hidden_block_count_x
      - .offset:         3916
        .size:           4
        .value_kind:     hidden_block_count_y
      - .offset:         3920
        .size:           4
        .value_kind:     hidden_block_count_z
      - .offset:         3924
        .size:           2
        .value_kind:     hidden_group_size_x
      - .offset:         3926
        .size:           2
        .value_kind:     hidden_group_size_y
      - .offset:         3928
        .size:           2
        .value_kind:     hidden_group_size_z
      - .offset:         3930
        .size:           2
        .value_kind:     hidden_remainder_x
      - .offset:         3932
        .size:           2
        .value_kind:     hidden_remainder_y
      - .offset:         3934
        .size:           2
        .value_kind:     hidden_remainder_z
      - .offset:         3952
        .size:           8
        .value_kind:     hidden_global_offset_x
      - .offset:         3960
        .size:           8
        .value_kind:     hidden_global_offset_y
      - .offset:         3968
        .size:           8
        .value_kind:     hidden_global_offset_z
      - .offset:         3976
        .size:           2
        .value_kind:     hidden_grid_dims
    .group_segment_fixed_size: 0
    .kernarg_segment_align: 16
    .kernarg_segment_size: 4168
    .language:       OpenCL C
    .language_version:
      - 2
      - 0
    .max_flat_workgroup_size: 512
    .name:           _ZN2at6native12_GLOBAL__N_125multi_tensor_apply_kernelINS1_28TensorListScalarListMetadataIN3c107complexIdEELi1EEENS1_25BinaryOpScalarListFunctorIS6_Li1ELi1ELi0EEEJSt4plusIS6_EEEEvT_T0_DpT1_
    .private_segment_fixed_size: 0
    .sgpr_count:     27
    .sgpr_spill_count: 0
    .symbol:         _ZN2at6native12_GLOBAL__N_125multi_tensor_apply_kernelINS1_28TensorListScalarListMetadataIN3c107complexIdEELi1EEENS1_25BinaryOpScalarListFunctorIS6_Li1ELi1ELi0EEEJSt4plusIS6_EEEEvT_T0_DpT1_.kd
    .uniform_work_group_size: 1
    .uses_dynamic_stack: false
    .vgpr_count:     31
    .vgpr_spill_count: 0
    .wavefront_size: 32
    .workgroup_processor_mode: 1
  - .args:
      - .offset:         0
        .size:           3904
        .value_kind:     by_value
      - .offset:         3904
        .size:           1
        .value_kind:     by_value
      - .offset:         3905
        .size:           1
        .value_kind:     by_value
      - .offset:         3912
        .size:           4
        .value_kind:     hidden_block_count_x
      - .offset:         3916
        .size:           4
        .value_kind:     hidden_block_count_y
      - .offset:         3920
        .size:           4
        .value_kind:     hidden_block_count_z
      - .offset:         3924
        .size:           2
        .value_kind:     hidden_group_size_x
      - .offset:         3926
        .size:           2
        .value_kind:     hidden_group_size_y
      - .offset:         3928
        .size:           2
        .value_kind:     hidden_group_size_z
      - .offset:         3930
        .size:           2
        .value_kind:     hidden_remainder_x
      - .offset:         3932
        .size:           2
        .value_kind:     hidden_remainder_y
      - .offset:         3934
        .size:           2
        .value_kind:     hidden_remainder_z
      - .offset:         3952
        .size:           8
        .value_kind:     hidden_global_offset_x
      - .offset:         3960
        .size:           8
        .value_kind:     hidden_global_offset_y
      - .offset:         3968
        .size:           8
        .value_kind:     hidden_global_offset_z
      - .offset:         3976
        .size:           2
        .value_kind:     hidden_grid_dims
    .group_segment_fixed_size: 4096
    .kernarg_segment_align: 8
    .kernarg_segment_size: 4168
    .language:       OpenCL C
    .language_version:
      - 2
      - 0
    .max_flat_workgroup_size: 512
    .name:           _ZN2at6native12_GLOBAL__N_125multi_tensor_apply_kernelINS1_28TensorListScalarListMetadataIN3c107complexIfEELi1EEENS1_25BinaryOpScalarListFunctorIS6_Li1ELi1ELi0EEEJSt4plusIS6_EEEEvT_T0_DpT1_
    .private_segment_fixed_size: 0
    .sgpr_count:     25
    .sgpr_spill_count: 0
    .symbol:         _ZN2at6native12_GLOBAL__N_125multi_tensor_apply_kernelINS1_28TensorListScalarListMetadataIN3c107complexIfEELi1EEENS1_25BinaryOpScalarListFunctorIS6_Li1ELi1ELi0EEEJSt4plusIS6_EEEEvT_T0_DpT1_.kd
    .uniform_work_group_size: 1
    .uses_dynamic_stack: false
    .vgpr_count:     28
    .vgpr_spill_count: 0
    .wavefront_size: 32
    .workgroup_processor_mode: 1
  - .args:
      - .offset:         0
        .size:           3232
        .value_kind:     by_value
      - .offset:         3232
        .size:           1
        .value_kind:     by_value
      - .offset:         3233
        .size:           1
        .value_kind:     by_value
      - .offset:         3240
        .size:           4
        .value_kind:     hidden_block_count_x
      - .offset:         3244
        .size:           4
        .value_kind:     hidden_block_count_y
      - .offset:         3248
        .size:           4
        .value_kind:     hidden_block_count_z
      - .offset:         3252
        .size:           2
        .value_kind:     hidden_group_size_x
      - .offset:         3254
        .size:           2
        .value_kind:     hidden_group_size_y
      - .offset:         3256
        .size:           2
        .value_kind:     hidden_group_size_z
      - .offset:         3258
        .size:           2
        .value_kind:     hidden_remainder_x
      - .offset:         3260
        .size:           2
        .value_kind:     hidden_remainder_y
      - .offset:         3262
        .size:           2
        .value_kind:     hidden_remainder_z
      - .offset:         3280
        .size:           8
        .value_kind:     hidden_global_offset_x
      - .offset:         3288
        .size:           8
        .value_kind:     hidden_global_offset_y
      - .offset:         3296
        .size:           8
        .value_kind:     hidden_global_offset_z
      - .offset:         3304
        .size:           2
        .value_kind:     hidden_grid_dims
    .group_segment_fixed_size: 0
    .kernarg_segment_align: 8
    .kernarg_segment_size: 3496
    .language:       OpenCL C
    .language_version:
      - 2
      - 0
    .max_flat_workgroup_size: 512
    .name:           _ZN2at6native12_GLOBAL__N_125multi_tensor_apply_kernelINS1_28TensorListScalarListMetadataIbLi1EEENS1_25BinaryOpScalarListFunctorIbLi1ELi1ELi0EEEJSt4plusIbEEEEvT_T0_DpT1_
    .private_segment_fixed_size: 0
    .sgpr_count:     19
    .sgpr_spill_count: 0
    .symbol:         _ZN2at6native12_GLOBAL__N_125multi_tensor_apply_kernelINS1_28TensorListScalarListMetadataIbLi1EEENS1_25BinaryOpScalarListFunctorIbLi1ELi1ELi0EEEJSt4plusIbEEEEvT_T0_DpT1_.kd
    .uniform_work_group_size: 1
    .uses_dynamic_stack: false
    .vgpr_count:     22
    .vgpr_spill_count: 0
    .wavefront_size: 32
    .workgroup_processor_mode: 1
  - .args:
      - .offset:         0
        .size:           3520
        .value_kind:     by_value
      - .offset:         3520
        .size:           1
        .value_kind:     by_value
      - .offset:         3521
        .size:           1
        .value_kind:     by_value
      - .offset:         3528
        .size:           4
        .value_kind:     hidden_block_count_x
      - .offset:         3532
        .size:           4
        .value_kind:     hidden_block_count_y
      - .offset:         3536
        .size:           4
        .value_kind:     hidden_block_count_z
      - .offset:         3540
        .size:           2
        .value_kind:     hidden_group_size_x
      - .offset:         3542
        .size:           2
        .value_kind:     hidden_group_size_y
      - .offset:         3544
        .size:           2
        .value_kind:     hidden_group_size_z
      - .offset:         3546
        .size:           2
        .value_kind:     hidden_remainder_x
      - .offset:         3548
        .size:           2
        .value_kind:     hidden_remainder_y
      - .offset:         3550
        .size:           2
        .value_kind:     hidden_remainder_z
      - .offset:         3568
        .size:           8
        .value_kind:     hidden_global_offset_x
      - .offset:         3576
        .size:           8
        .value_kind:     hidden_global_offset_y
      - .offset:         3584
        .size:           8
        .value_kind:     hidden_global_offset_z
      - .offset:         3592
        .size:           2
        .value_kind:     hidden_grid_dims
    .group_segment_fixed_size: 0
    .kernarg_segment_align: 8
    .kernarg_segment_size: 3784
    .language:       OpenCL C
    .language_version:
      - 2
      - 0
    .max_flat_workgroup_size: 512
    .name:           _ZN2at6native12_GLOBAL__N_125multi_tensor_apply_kernelINS1_28TensorListScalarListMetadataIfLi1EEENS1_25BinaryOpScalarListFunctorIN3c104HalfELi1ELi1ELi0EEEJSt4plusIfEEEEvT_T0_DpT1_
    .private_segment_fixed_size: 0
    .sgpr_count:     23
    .sgpr_spill_count: 0
    .symbol:         _ZN2at6native12_GLOBAL__N_125multi_tensor_apply_kernelINS1_28TensorListScalarListMetadataIfLi1EEENS1_25BinaryOpScalarListFunctorIN3c104HalfELi1ELi1ELi0EEEJSt4plusIfEEEEvT_T0_DpT1_.kd
    .uniform_work_group_size: 1
    .uses_dynamic_stack: false
    .vgpr_count:     17
    .vgpr_spill_count: 0
    .wavefront_size: 32
    .workgroup_processor_mode: 1
  - .args:
      - .offset:         0
        .size:           3520
        .value_kind:     by_value
      - .offset:         3520
        .size:           1
        .value_kind:     by_value
      - .offset:         3521
        .size:           1
        .value_kind:     by_value
      - .offset:         3528
        .size:           4
        .value_kind:     hidden_block_count_x
      - .offset:         3532
        .size:           4
        .value_kind:     hidden_block_count_y
      - .offset:         3536
        .size:           4
        .value_kind:     hidden_block_count_z
      - .offset:         3540
        .size:           2
        .value_kind:     hidden_group_size_x
      - .offset:         3542
        .size:           2
        .value_kind:     hidden_group_size_y
      - .offset:         3544
        .size:           2
        .value_kind:     hidden_group_size_z
      - .offset:         3546
        .size:           2
        .value_kind:     hidden_remainder_x
      - .offset:         3548
        .size:           2
        .value_kind:     hidden_remainder_y
      - .offset:         3550
        .size:           2
        .value_kind:     hidden_remainder_z
      - .offset:         3568
        .size:           8
        .value_kind:     hidden_global_offset_x
      - .offset:         3576
        .size:           8
        .value_kind:     hidden_global_offset_y
      - .offset:         3584
        .size:           8
        .value_kind:     hidden_global_offset_z
      - .offset:         3592
        .size:           2
        .value_kind:     hidden_grid_dims
    .group_segment_fixed_size: 0
    .kernarg_segment_align: 8
    .kernarg_segment_size: 3784
    .language:       OpenCL C
    .language_version:
      - 2
      - 0
    .max_flat_workgroup_size: 512
    .name:           _ZN2at6native12_GLOBAL__N_125multi_tensor_apply_kernelINS1_28TensorListScalarListMetadataIfLi1EEENS1_25BinaryOpScalarListFunctorIN3c108BFloat16ELi1ELi1ELi0EEEJSt4plusIfEEEEvT_T0_DpT1_
    .private_segment_fixed_size: 0
    .sgpr_count:     23
    .sgpr_spill_count: 0
    .symbol:         _ZN2at6native12_GLOBAL__N_125multi_tensor_apply_kernelINS1_28TensorListScalarListMetadataIfLi1EEENS1_25BinaryOpScalarListFunctorIN3c108BFloat16ELi1ELi1ELi0EEEJSt4plusIfEEEEvT_T0_DpT1_.kd
    .uniform_work_group_size: 1
    .uses_dynamic_stack: false
    .vgpr_count:     17
    .vgpr_spill_count: 0
    .wavefront_size: 32
    .workgroup_processor_mode: 1
  - .args:
      - .offset:         0
        .size:           3200
        .value_kind:     by_value
      - .offset:         3200
        .size:           1
        .value_kind:     by_value
      - .offset:         3201
        .size:           1
        .value_kind:     by_value
      - .offset:         3208
        .size:           4
        .value_kind:     hidden_block_count_x
      - .offset:         3212
        .size:           4
        .value_kind:     hidden_block_count_y
      - .offset:         3216
        .size:           4
        .value_kind:     hidden_block_count_z
      - .offset:         3220
        .size:           2
        .value_kind:     hidden_group_size_x
      - .offset:         3222
        .size:           2
        .value_kind:     hidden_group_size_y
      - .offset:         3224
        .size:           2
        .value_kind:     hidden_group_size_z
      - .offset:         3226
        .size:           2
        .value_kind:     hidden_remainder_x
      - .offset:         3228
        .size:           2
        .value_kind:     hidden_remainder_y
      - .offset:         3230
        .size:           2
        .value_kind:     hidden_remainder_z
      - .offset:         3248
        .size:           8
        .value_kind:     hidden_global_offset_x
      - .offset:         3256
        .size:           8
        .value_kind:     hidden_global_offset_y
      - .offset:         3264
        .size:           8
        .value_kind:     hidden_global_offset_z
      - .offset:         3272
        .size:           2
        .value_kind:     hidden_grid_dims
    .group_segment_fixed_size: 0
    .kernarg_segment_align: 8
    .kernarg_segment_size: 3464
    .language:       OpenCL C
    .language_version:
      - 2
      - 0
    .max_flat_workgroup_size: 512
    .name:           _ZN2at6native12_GLOBAL__N_125multi_tensor_apply_kernelINS1_28TensorListScalarListMetadataIhLi2EEENS1_25BinaryOpScalarListFunctorIhLi2ELi1ELi1EEEJSt4plusIhEEEEvT_T0_DpT1_
    .private_segment_fixed_size: 0
    .sgpr_count:     24
    .sgpr_spill_count: 0
    .symbol:         _ZN2at6native12_GLOBAL__N_125multi_tensor_apply_kernelINS1_28TensorListScalarListMetadataIhLi2EEENS1_25BinaryOpScalarListFunctorIhLi2ELi1ELi1EEEJSt4plusIhEEEEvT_T0_DpT1_.kd
    .uniform_work_group_size: 1
    .uses_dynamic_stack: false
    .vgpr_count:     30
    .vgpr_spill_count: 0
    .wavefront_size: 32
    .workgroup_processor_mode: 1
  - .args:
      - .offset:         0
        .size:           3200
        .value_kind:     by_value
      - .offset:         3200
        .size:           1
        .value_kind:     by_value
      - .offset:         3201
        .size:           1
        .value_kind:     by_value
      - .offset:         3208
        .size:           4
        .value_kind:     hidden_block_count_x
      - .offset:         3212
        .size:           4
        .value_kind:     hidden_block_count_y
      - .offset:         3216
        .size:           4
        .value_kind:     hidden_block_count_z
      - .offset:         3220
        .size:           2
        .value_kind:     hidden_group_size_x
      - .offset:         3222
        .size:           2
        .value_kind:     hidden_group_size_y
      - .offset:         3224
        .size:           2
        .value_kind:     hidden_group_size_z
      - .offset:         3226
        .size:           2
        .value_kind:     hidden_remainder_x
      - .offset:         3228
        .size:           2
        .value_kind:     hidden_remainder_y
      - .offset:         3230
        .size:           2
        .value_kind:     hidden_remainder_z
      - .offset:         3248
        .size:           8
        .value_kind:     hidden_global_offset_x
      - .offset:         3256
        .size:           8
        .value_kind:     hidden_global_offset_y
      - .offset:         3264
        .size:           8
        .value_kind:     hidden_global_offset_z
      - .offset:         3272
        .size:           2
        .value_kind:     hidden_grid_dims
    .group_segment_fixed_size: 0
    .kernarg_segment_align: 8
    .kernarg_segment_size: 3464
    .language:       OpenCL C
    .language_version:
      - 2
      - 0
    .max_flat_workgroup_size: 512
    .name:           _ZN2at6native12_GLOBAL__N_125multi_tensor_apply_kernelINS1_28TensorListScalarListMetadataIaLi2EEENS1_25BinaryOpScalarListFunctorIaLi2ELi1ELi1EEEJSt4plusIaEEEEvT_T0_DpT1_
    .private_segment_fixed_size: 0
    .sgpr_count:     24
    .sgpr_spill_count: 0
    .symbol:         _ZN2at6native12_GLOBAL__N_125multi_tensor_apply_kernelINS1_28TensorListScalarListMetadataIaLi2EEENS1_25BinaryOpScalarListFunctorIaLi2ELi1ELi1EEEJSt4plusIaEEEEvT_T0_DpT1_.kd
    .uniform_work_group_size: 1
    .uses_dynamic_stack: false
    .vgpr_count:     30
    .vgpr_spill_count: 0
    .wavefront_size: 32
    .workgroup_processor_mode: 1
  - .args:
      - .offset:         0
        .size:           3392
        .value_kind:     by_value
      - .offset:         3392
        .size:           1
        .value_kind:     by_value
      - .offset:         3393
        .size:           1
        .value_kind:     by_value
      - .offset:         3400
        .size:           4
        .value_kind:     hidden_block_count_x
      - .offset:         3404
        .size:           4
        .value_kind:     hidden_block_count_y
      - .offset:         3408
        .size:           4
        .value_kind:     hidden_block_count_z
      - .offset:         3412
        .size:           2
        .value_kind:     hidden_group_size_x
      - .offset:         3414
        .size:           2
        .value_kind:     hidden_group_size_y
      - .offset:         3416
        .size:           2
        .value_kind:     hidden_group_size_z
      - .offset:         3418
        .size:           2
        .value_kind:     hidden_remainder_x
      - .offset:         3420
        .size:           2
        .value_kind:     hidden_remainder_y
      - .offset:         3422
        .size:           2
        .value_kind:     hidden_remainder_z
      - .offset:         3440
        .size:           8
        .value_kind:     hidden_global_offset_x
      - .offset:         3448
        .size:           8
        .value_kind:     hidden_global_offset_y
      - .offset:         3456
        .size:           8
        .value_kind:     hidden_global_offset_z
      - .offset:         3464
        .size:           2
        .value_kind:     hidden_grid_dims
    .group_segment_fixed_size: 0
    .kernarg_segment_align: 8
    .kernarg_segment_size: 3656
    .language:       OpenCL C
    .language_version:
      - 2
      - 0
    .max_flat_workgroup_size: 512
    .name:           _ZN2at6native12_GLOBAL__N_125multi_tensor_apply_kernelINS1_28TensorListScalarListMetadataIiLi2EEENS1_25BinaryOpScalarListFunctorIiLi2ELi1ELi1EEEJSt4plusIiEEEEvT_T0_DpT1_
    .private_segment_fixed_size: 0
    .sgpr_count:     24
    .sgpr_spill_count: 0
    .symbol:         _ZN2at6native12_GLOBAL__N_125multi_tensor_apply_kernelINS1_28TensorListScalarListMetadataIiLi2EEENS1_25BinaryOpScalarListFunctorIiLi2ELi1ELi1EEEJSt4plusIiEEEEvT_T0_DpT1_.kd
    .uniform_work_group_size: 1
    .uses_dynamic_stack: false
    .vgpr_count:     29
    .vgpr_spill_count: 0
    .wavefront_size: 32
    .workgroup_processor_mode: 1
  - .args:
      - .offset:         0
        .size:           3648
        .value_kind:     by_value
      - .offset:         3648
        .size:           1
        .value_kind:     by_value
      - .offset:         3649
        .size:           1
        .value_kind:     by_value
      - .offset:         3656
        .size:           4
        .value_kind:     hidden_block_count_x
      - .offset:         3660
        .size:           4
        .value_kind:     hidden_block_count_y
      - .offset:         3664
        .size:           4
        .value_kind:     hidden_block_count_z
      - .offset:         3668
        .size:           2
        .value_kind:     hidden_group_size_x
      - .offset:         3670
        .size:           2
        .value_kind:     hidden_group_size_y
      - .offset:         3672
        .size:           2
        .value_kind:     hidden_group_size_z
      - .offset:         3674
        .size:           2
        .value_kind:     hidden_remainder_x
      - .offset:         3676
        .size:           2
        .value_kind:     hidden_remainder_y
      - .offset:         3678
        .size:           2
        .value_kind:     hidden_remainder_z
      - .offset:         3696
        .size:           8
        .value_kind:     hidden_global_offset_x
      - .offset:         3704
        .size:           8
        .value_kind:     hidden_global_offset_y
      - .offset:         3712
        .size:           8
        .value_kind:     hidden_global_offset_z
      - .offset:         3720
        .size:           2
        .value_kind:     hidden_grid_dims
    .group_segment_fixed_size: 0
    .kernarg_segment_align: 8
    .kernarg_segment_size: 3912
    .language:       OpenCL C
    .language_version:
      - 2
      - 0
    .max_flat_workgroup_size: 512
    .name:           _ZN2at6native12_GLOBAL__N_125multi_tensor_apply_kernelINS1_28TensorListScalarListMetadataIlLi2EEENS1_25BinaryOpScalarListFunctorIlLi2ELi1ELi1EEEJSt4plusIlEEEEvT_T0_DpT1_
    .private_segment_fixed_size: 0
    .sgpr_count:     26
    .sgpr_spill_count: 0
    .symbol:         _ZN2at6native12_GLOBAL__N_125multi_tensor_apply_kernelINS1_28TensorListScalarListMetadataIlLi2EEENS1_25BinaryOpScalarListFunctorIlLi2ELi1ELi1EEEJSt4plusIlEEEEvT_T0_DpT1_.kd
    .uniform_work_group_size: 1
    .uses_dynamic_stack: false
    .vgpr_count:     33
    .vgpr_spill_count: 0
    .wavefront_size: 32
    .workgroup_processor_mode: 1
  - .args:
      - .offset:         0
        .size:           3264
        .value_kind:     by_value
      - .offset:         3264
        .size:           1
        .value_kind:     by_value
      - .offset:         3265
        .size:           1
        .value_kind:     by_value
      - .offset:         3272
        .size:           4
        .value_kind:     hidden_block_count_x
      - .offset:         3276
        .size:           4
        .value_kind:     hidden_block_count_y
      - .offset:         3280
        .size:           4
        .value_kind:     hidden_block_count_z
      - .offset:         3284
        .size:           2
        .value_kind:     hidden_group_size_x
      - .offset:         3286
        .size:           2
        .value_kind:     hidden_group_size_y
      - .offset:         3288
        .size:           2
        .value_kind:     hidden_group_size_z
      - .offset:         3290
        .size:           2
        .value_kind:     hidden_remainder_x
      - .offset:         3292
        .size:           2
        .value_kind:     hidden_remainder_y
      - .offset:         3294
        .size:           2
        .value_kind:     hidden_remainder_z
      - .offset:         3312
        .size:           8
        .value_kind:     hidden_global_offset_x
      - .offset:         3320
        .size:           8
        .value_kind:     hidden_global_offset_y
      - .offset:         3328
        .size:           8
        .value_kind:     hidden_global_offset_z
      - .offset:         3336
        .size:           2
        .value_kind:     hidden_grid_dims
    .group_segment_fixed_size: 0
    .kernarg_segment_align: 8
    .kernarg_segment_size: 3528
    .language:       OpenCL C
    .language_version:
      - 2
      - 0
    .max_flat_workgroup_size: 512
    .name:           _ZN2at6native12_GLOBAL__N_125multi_tensor_apply_kernelINS1_28TensorListScalarListMetadataIsLi2EEENS1_25BinaryOpScalarListFunctorIsLi2ELi1ELi1EEEJSt4plusIsEEEEvT_T0_DpT1_
    .private_segment_fixed_size: 0
    .sgpr_count:     23
    .sgpr_spill_count: 0
    .symbol:         _ZN2at6native12_GLOBAL__N_125multi_tensor_apply_kernelINS1_28TensorListScalarListMetadataIsLi2EEENS1_25BinaryOpScalarListFunctorIsLi2ELi1ELi1EEEJSt4plusIsEEEEvT_T0_DpT1_.kd
    .uniform_work_group_size: 1
    .uses_dynamic_stack: false
    .vgpr_count:     30
    .vgpr_spill_count: 0
    .wavefront_size: 32
    .workgroup_processor_mode: 1
  - .args:
      - .offset:         0
        .size:           3648
        .value_kind:     by_value
      - .offset:         3648
        .size:           1
        .value_kind:     by_value
      - .offset:         3649
        .size:           1
        .value_kind:     by_value
      - .offset:         3656
        .size:           4
        .value_kind:     hidden_block_count_x
      - .offset:         3660
        .size:           4
        .value_kind:     hidden_block_count_y
      - .offset:         3664
        .size:           4
        .value_kind:     hidden_block_count_z
      - .offset:         3668
        .size:           2
        .value_kind:     hidden_group_size_x
      - .offset:         3670
        .size:           2
        .value_kind:     hidden_group_size_y
      - .offset:         3672
        .size:           2
        .value_kind:     hidden_group_size_z
      - .offset:         3674
        .size:           2
        .value_kind:     hidden_remainder_x
      - .offset:         3676
        .size:           2
        .value_kind:     hidden_remainder_y
      - .offset:         3678
        .size:           2
        .value_kind:     hidden_remainder_z
      - .offset:         3696
        .size:           8
        .value_kind:     hidden_global_offset_x
      - .offset:         3704
        .size:           8
        .value_kind:     hidden_global_offset_y
      - .offset:         3712
        .size:           8
        .value_kind:     hidden_global_offset_z
      - .offset:         3720
        .size:           2
        .value_kind:     hidden_grid_dims
    .group_segment_fixed_size: 0
    .kernarg_segment_align: 8
    .kernarg_segment_size: 3912
    .language:       OpenCL C
    .language_version:
      - 2
      - 0
    .max_flat_workgroup_size: 512
    .name:           _ZN2at6native12_GLOBAL__N_125multi_tensor_apply_kernelINS1_28TensorListScalarListMetadataIdLi2EEENS1_25BinaryOpScalarListFunctorIdLi2ELi1ELi1EEEJSt4plusIdEEEEvT_T0_DpT1_
    .private_segment_fixed_size: 0
    .sgpr_count:     26
    .sgpr_spill_count: 0
    .symbol:         _ZN2at6native12_GLOBAL__N_125multi_tensor_apply_kernelINS1_28TensorListScalarListMetadataIdLi2EEENS1_25BinaryOpScalarListFunctorIdLi2ELi1ELi1EEEJSt4plusIdEEEEvT_T0_DpT1_.kd
    .uniform_work_group_size: 1
    .uses_dynamic_stack: false
    .vgpr_count:     33
    .vgpr_spill_count: 0
    .wavefront_size: 32
    .workgroup_processor_mode: 1
  - .args:
      - .offset:         0
        .size:           3392
        .value_kind:     by_value
      - .offset:         3392
        .size:           1
        .value_kind:     by_value
      - .offset:         3393
        .size:           1
        .value_kind:     by_value
      - .offset:         3400
        .size:           4
        .value_kind:     hidden_block_count_x
      - .offset:         3404
        .size:           4
        .value_kind:     hidden_block_count_y
      - .offset:         3408
        .size:           4
        .value_kind:     hidden_block_count_z
      - .offset:         3412
        .size:           2
        .value_kind:     hidden_group_size_x
      - .offset:         3414
        .size:           2
        .value_kind:     hidden_group_size_y
      - .offset:         3416
        .size:           2
        .value_kind:     hidden_group_size_z
      - .offset:         3418
        .size:           2
        .value_kind:     hidden_remainder_x
      - .offset:         3420
        .size:           2
        .value_kind:     hidden_remainder_y
      - .offset:         3422
        .size:           2
        .value_kind:     hidden_remainder_z
      - .offset:         3440
        .size:           8
        .value_kind:     hidden_global_offset_x
      - .offset:         3448
        .size:           8
        .value_kind:     hidden_global_offset_y
      - .offset:         3456
        .size:           8
        .value_kind:     hidden_global_offset_z
      - .offset:         3464
        .size:           2
        .value_kind:     hidden_grid_dims
    .group_segment_fixed_size: 0
    .kernarg_segment_align: 8
    .kernarg_segment_size: 3656
    .language:       OpenCL C
    .language_version:
      - 2
      - 0
    .max_flat_workgroup_size: 512
    .name:           _ZN2at6native12_GLOBAL__N_125multi_tensor_apply_kernelINS1_28TensorListScalarListMetadataIfLi2EEENS1_25BinaryOpScalarListFunctorIfLi2ELi1ELi1EEEJSt4plusIfEEEEvT_T0_DpT1_
    .private_segment_fixed_size: 0
    .sgpr_count:     24
    .sgpr_spill_count: 0
    .symbol:         _ZN2at6native12_GLOBAL__N_125multi_tensor_apply_kernelINS1_28TensorListScalarListMetadataIfLi2EEENS1_25BinaryOpScalarListFunctorIfLi2ELi1ELi1EEEJSt4plusIfEEEEvT_T0_DpT1_.kd
    .uniform_work_group_size: 1
    .uses_dynamic_stack: false
    .vgpr_count:     29
    .vgpr_spill_count: 0
    .wavefront_size: 32
    .workgroup_processor_mode: 1
  - .args:
      - .offset:         0
        .size:           4000
        .value_kind:     by_value
      - .offset:         4000
        .size:           1
        .value_kind:     by_value
      - .offset:         4001
        .size:           1
        .value_kind:     by_value
      - .offset:         4008
        .size:           4
        .value_kind:     hidden_block_count_x
      - .offset:         4012
        .size:           4
        .value_kind:     hidden_block_count_y
      - .offset:         4016
        .size:           4
        .value_kind:     hidden_block_count_z
      - .offset:         4020
        .size:           2
        .value_kind:     hidden_group_size_x
      - .offset:         4022
        .size:           2
        .value_kind:     hidden_group_size_y
      - .offset:         4024
        .size:           2
        .value_kind:     hidden_group_size_z
      - .offset:         4026
        .size:           2
        .value_kind:     hidden_remainder_x
      - .offset:         4028
        .size:           2
        .value_kind:     hidden_remainder_y
      - .offset:         4030
        .size:           2
        .value_kind:     hidden_remainder_z
      - .offset:         4048
        .size:           8
        .value_kind:     hidden_global_offset_x
      - .offset:         4056
        .size:           8
        .value_kind:     hidden_global_offset_y
      - .offset:         4064
        .size:           8
        .value_kind:     hidden_global_offset_z
      - .offset:         4072
        .size:           2
        .value_kind:     hidden_grid_dims
    .group_segment_fixed_size: 0
    .kernarg_segment_align: 16
    .kernarg_segment_size: 4264
    .language:       OpenCL C
    .language_version:
      - 2
      - 0
    .max_flat_workgroup_size: 512
    .name:           _ZN2at6native12_GLOBAL__N_125multi_tensor_apply_kernelINS1_28TensorListScalarListMetadataIN3c107complexIdEELi2EEENS1_25BinaryOpScalarListFunctorIS6_Li2ELi1ELi1EEEJSt4plusIS6_EEEEvT_T0_DpT1_
    .private_segment_fixed_size: 0
    .sgpr_count:     30
    .sgpr_spill_count: 0
    .symbol:         _ZN2at6native12_GLOBAL__N_125multi_tensor_apply_kernelINS1_28TensorListScalarListMetadataIN3c107complexIdEELi2EEENS1_25BinaryOpScalarListFunctorIS6_Li2ELi1ELi1EEEJSt4plusIS6_EEEEvT_T0_DpT1_.kd
    .uniform_work_group_size: 1
    .uses_dynamic_stack: false
    .vgpr_count:     37
    .vgpr_spill_count: 0
    .wavefront_size: 32
    .workgroup_processor_mode: 1
  - .args:
      - .offset:         0
        .size:           3648
        .value_kind:     by_value
      - .offset:         3648
        .size:           1
        .value_kind:     by_value
      - .offset:         3649
        .size:           1
        .value_kind:     by_value
      - .offset:         3656
        .size:           4
        .value_kind:     hidden_block_count_x
      - .offset:         3660
        .size:           4
        .value_kind:     hidden_block_count_y
      - .offset:         3664
        .size:           4
        .value_kind:     hidden_block_count_z
      - .offset:         3668
        .size:           2
        .value_kind:     hidden_group_size_x
      - .offset:         3670
        .size:           2
        .value_kind:     hidden_group_size_y
      - .offset:         3672
        .size:           2
        .value_kind:     hidden_group_size_z
      - .offset:         3674
        .size:           2
        .value_kind:     hidden_remainder_x
      - .offset:         3676
        .size:           2
        .value_kind:     hidden_remainder_y
      - .offset:         3678
        .size:           2
        .value_kind:     hidden_remainder_z
      - .offset:         3696
        .size:           8
        .value_kind:     hidden_global_offset_x
      - .offset:         3704
        .size:           8
        .value_kind:     hidden_global_offset_y
      - .offset:         3712
        .size:           8
        .value_kind:     hidden_global_offset_z
      - .offset:         3720
        .size:           2
        .value_kind:     hidden_grid_dims
    .group_segment_fixed_size: 4096
    .kernarg_segment_align: 8
    .kernarg_segment_size: 3912
    .language:       OpenCL C
    .language_version:
      - 2
      - 0
    .max_flat_workgroup_size: 512
    .name:           _ZN2at6native12_GLOBAL__N_125multi_tensor_apply_kernelINS1_28TensorListScalarListMetadataIN3c107complexIfEELi2EEENS1_25BinaryOpScalarListFunctorIS6_Li2ELi1ELi1EEEJSt4plusIS6_EEEEvT_T0_DpT1_
    .private_segment_fixed_size: 0
    .sgpr_count:     27
    .sgpr_spill_count: 0
    .symbol:         _ZN2at6native12_GLOBAL__N_125multi_tensor_apply_kernelINS1_28TensorListScalarListMetadataIN3c107complexIfEELi2EEENS1_25BinaryOpScalarListFunctorIS6_Li2ELi1ELi1EEEJSt4plusIS6_EEEEvT_T0_DpT1_.kd
    .uniform_work_group_size: 1
    .uses_dynamic_stack: false
    .vgpr_count:     33
    .vgpr_spill_count: 0
    .wavefront_size: 32
    .workgroup_processor_mode: 1
  - .args:
      - .offset:         0
        .size:           3200
        .value_kind:     by_value
      - .offset:         3200
        .size:           1
        .value_kind:     by_value
      - .offset:         3201
        .size:           1
        .value_kind:     by_value
      - .offset:         3208
        .size:           4
        .value_kind:     hidden_block_count_x
      - .offset:         3212
        .size:           4
        .value_kind:     hidden_block_count_y
      - .offset:         3216
        .size:           4
        .value_kind:     hidden_block_count_z
      - .offset:         3220
        .size:           2
        .value_kind:     hidden_group_size_x
      - .offset:         3222
        .size:           2
        .value_kind:     hidden_group_size_y
      - .offset:         3224
        .size:           2
        .value_kind:     hidden_group_size_z
      - .offset:         3226
        .size:           2
        .value_kind:     hidden_remainder_x
      - .offset:         3228
        .size:           2
        .value_kind:     hidden_remainder_y
      - .offset:         3230
        .size:           2
        .value_kind:     hidden_remainder_z
      - .offset:         3248
        .size:           8
        .value_kind:     hidden_global_offset_x
      - .offset:         3256
        .size:           8
        .value_kind:     hidden_global_offset_y
      - .offset:         3264
        .size:           8
        .value_kind:     hidden_global_offset_z
      - .offset:         3272
        .size:           2
        .value_kind:     hidden_grid_dims
    .group_segment_fixed_size: 0
    .kernarg_segment_align: 8
    .kernarg_segment_size: 3464
    .language:       OpenCL C
    .language_version:
      - 2
      - 0
    .max_flat_workgroup_size: 512
    .name:           _ZN2at6native12_GLOBAL__N_125multi_tensor_apply_kernelINS1_28TensorListScalarListMetadataIbLi2EEENS1_25BinaryOpScalarListFunctorIbLi2ELi1ELi1EEEJSt4plusIbEEEEvT_T0_DpT1_
    .private_segment_fixed_size: 0
    .sgpr_count:     24
    .sgpr_spill_count: 0
    .symbol:         _ZN2at6native12_GLOBAL__N_125multi_tensor_apply_kernelINS1_28TensorListScalarListMetadataIbLi2EEENS1_25BinaryOpScalarListFunctorIbLi2ELi1ELi1EEEJSt4plusIbEEEEvT_T0_DpT1_.kd
    .uniform_work_group_size: 1
    .uses_dynamic_stack: false
    .vgpr_count:     30
    .vgpr_spill_count: 0
    .wavefront_size: 32
    .workgroup_processor_mode: 1
  - .args:
      - .offset:         0
        .size:           3392
        .value_kind:     by_value
      - .offset:         3392
        .size:           1
        .value_kind:     by_value
      - .offset:         3393
        .size:           1
        .value_kind:     by_value
      - .offset:         3400
        .size:           4
        .value_kind:     hidden_block_count_x
      - .offset:         3404
        .size:           4
        .value_kind:     hidden_block_count_y
      - .offset:         3408
        .size:           4
        .value_kind:     hidden_block_count_z
      - .offset:         3412
        .size:           2
        .value_kind:     hidden_group_size_x
      - .offset:         3414
        .size:           2
        .value_kind:     hidden_group_size_y
      - .offset:         3416
        .size:           2
        .value_kind:     hidden_group_size_z
      - .offset:         3418
        .size:           2
        .value_kind:     hidden_remainder_x
      - .offset:         3420
        .size:           2
        .value_kind:     hidden_remainder_y
      - .offset:         3422
        .size:           2
        .value_kind:     hidden_remainder_z
      - .offset:         3440
        .size:           8
        .value_kind:     hidden_global_offset_x
      - .offset:         3448
        .size:           8
        .value_kind:     hidden_global_offset_y
      - .offset:         3456
        .size:           8
        .value_kind:     hidden_global_offset_z
      - .offset:         3464
        .size:           2
        .value_kind:     hidden_grid_dims
    .group_segment_fixed_size: 0
    .kernarg_segment_align: 8
    .kernarg_segment_size: 3656
    .language:       OpenCL C
    .language_version:
      - 2
      - 0
    .max_flat_workgroup_size: 512
    .name:           _ZN2at6native12_GLOBAL__N_125multi_tensor_apply_kernelINS1_28TensorListScalarListMetadataIfLi2EEENS1_25BinaryOpScalarListFunctorIN3c104HalfELi2ELi1ELi1EEEJSt4plusIfEEEEvT_T0_DpT1_
    .private_segment_fixed_size: 0
    .sgpr_count:     24
    .sgpr_spill_count: 0
    .symbol:         _ZN2at6native12_GLOBAL__N_125multi_tensor_apply_kernelINS1_28TensorListScalarListMetadataIfLi2EEENS1_25BinaryOpScalarListFunctorIN3c104HalfELi2ELi1ELi1EEEJSt4plusIfEEEEvT_T0_DpT1_.kd
    .uniform_work_group_size: 1
    .uses_dynamic_stack: false
    .vgpr_count:     29
    .vgpr_spill_count: 0
    .wavefront_size: 32
    .workgroup_processor_mode: 1
  - .args:
      - .offset:         0
        .size:           3392
        .value_kind:     by_value
      - .offset:         3392
        .size:           1
        .value_kind:     by_value
      - .offset:         3393
        .size:           1
        .value_kind:     by_value
      - .offset:         3400
        .size:           4
        .value_kind:     hidden_block_count_x
      - .offset:         3404
        .size:           4
        .value_kind:     hidden_block_count_y
      - .offset:         3408
        .size:           4
        .value_kind:     hidden_block_count_z
      - .offset:         3412
        .size:           2
        .value_kind:     hidden_group_size_x
      - .offset:         3414
        .size:           2
        .value_kind:     hidden_group_size_y
      - .offset:         3416
        .size:           2
        .value_kind:     hidden_group_size_z
      - .offset:         3418
        .size:           2
        .value_kind:     hidden_remainder_x
      - .offset:         3420
        .size:           2
        .value_kind:     hidden_remainder_y
      - .offset:         3422
        .size:           2
        .value_kind:     hidden_remainder_z
      - .offset:         3440
        .size:           8
        .value_kind:     hidden_global_offset_x
      - .offset:         3448
        .size:           8
        .value_kind:     hidden_global_offset_y
      - .offset:         3456
        .size:           8
        .value_kind:     hidden_global_offset_z
      - .offset:         3464
        .size:           2
        .value_kind:     hidden_grid_dims
    .group_segment_fixed_size: 0
    .kernarg_segment_align: 8
    .kernarg_segment_size: 3656
    .language:       OpenCL C
    .language_version:
      - 2
      - 0
    .max_flat_workgroup_size: 512
    .name:           _ZN2at6native12_GLOBAL__N_125multi_tensor_apply_kernelINS1_28TensorListScalarListMetadataIfLi2EEENS1_25BinaryOpScalarListFunctorIN3c108BFloat16ELi2ELi1ELi1EEEJSt4plusIfEEEEvT_T0_DpT1_
    .private_segment_fixed_size: 0
    .sgpr_count:     24
    .sgpr_spill_count: 0
    .symbol:         _ZN2at6native12_GLOBAL__N_125multi_tensor_apply_kernelINS1_28TensorListScalarListMetadataIfLi2EEENS1_25BinaryOpScalarListFunctorIN3c108BFloat16ELi2ELi1ELi1EEEJSt4plusIfEEEEvT_T0_DpT1_.kd
    .uniform_work_group_size: 1
    .uses_dynamic_stack: false
    .vgpr_count:     30
    .vgpr_spill_count: 0
    .wavefront_size: 32
    .workgroup_processor_mode: 1
  - .args:
      - .offset:         0
        .size:           3232
        .value_kind:     by_value
      - .offset:         3232
        .size:           1
        .value_kind:     by_value
      - .offset:         3233
        .size:           1
        .value_kind:     by_value
      - .offset:         3240
        .size:           4
        .value_kind:     hidden_block_count_x
      - .offset:         3244
        .size:           4
        .value_kind:     hidden_block_count_y
      - .offset:         3248
        .size:           4
        .value_kind:     hidden_block_count_z
      - .offset:         3252
        .size:           2
        .value_kind:     hidden_group_size_x
      - .offset:         3254
        .size:           2
        .value_kind:     hidden_group_size_y
      - .offset:         3256
        .size:           2
        .value_kind:     hidden_group_size_z
      - .offset:         3258
        .size:           2
        .value_kind:     hidden_remainder_x
      - .offset:         3260
        .size:           2
        .value_kind:     hidden_remainder_y
      - .offset:         3262
        .size:           2
        .value_kind:     hidden_remainder_z
      - .offset:         3280
        .size:           8
        .value_kind:     hidden_global_offset_x
      - .offset:         3288
        .size:           8
        .value_kind:     hidden_global_offset_y
      - .offset:         3296
        .size:           8
        .value_kind:     hidden_global_offset_z
      - .offset:         3304
        .size:           2
        .value_kind:     hidden_grid_dims
    .group_segment_fixed_size: 0
    .kernarg_segment_align: 8
    .kernarg_segment_size: 3496
    .language:       OpenCL C
    .language_version:
      - 2
      - 0
    .max_flat_workgroup_size: 512
    .name:           _ZN2at6native12_GLOBAL__N_125multi_tensor_apply_kernelINS1_28TensorListScalarListMetadataIhLi1EEENS1_25BinaryOpScalarListFunctorIhLi1ELi1ELi0EEEJSt10multipliesIhEEEEvT_T0_DpT1_
    .private_segment_fixed_size: 0
    .sgpr_count:     19
    .sgpr_spill_count: 0
    .symbol:         _ZN2at6native12_GLOBAL__N_125multi_tensor_apply_kernelINS1_28TensorListScalarListMetadataIhLi1EEENS1_25BinaryOpScalarListFunctorIhLi1ELi1ELi0EEEJSt10multipliesIhEEEEvT_T0_DpT1_.kd
    .uniform_work_group_size: 1
    .uses_dynamic_stack: false
    .vgpr_count:     22
    .vgpr_spill_count: 0
    .wavefront_size: 32
    .workgroup_processor_mode: 1
  - .args:
      - .offset:         0
        .size:           3232
        .value_kind:     by_value
      - .offset:         3232
        .size:           1
        .value_kind:     by_value
      - .offset:         3233
        .size:           1
        .value_kind:     by_value
      - .offset:         3240
        .size:           4
        .value_kind:     hidden_block_count_x
      - .offset:         3244
        .size:           4
        .value_kind:     hidden_block_count_y
      - .offset:         3248
        .size:           4
        .value_kind:     hidden_block_count_z
      - .offset:         3252
        .size:           2
        .value_kind:     hidden_group_size_x
      - .offset:         3254
        .size:           2
        .value_kind:     hidden_group_size_y
      - .offset:         3256
        .size:           2
        .value_kind:     hidden_group_size_z
      - .offset:         3258
        .size:           2
        .value_kind:     hidden_remainder_x
      - .offset:         3260
        .size:           2
        .value_kind:     hidden_remainder_y
      - .offset:         3262
        .size:           2
        .value_kind:     hidden_remainder_z
      - .offset:         3280
        .size:           8
        .value_kind:     hidden_global_offset_x
      - .offset:         3288
        .size:           8
        .value_kind:     hidden_global_offset_y
      - .offset:         3296
        .size:           8
        .value_kind:     hidden_global_offset_z
      - .offset:         3304
        .size:           2
        .value_kind:     hidden_grid_dims
    .group_segment_fixed_size: 0
    .kernarg_segment_align: 8
    .kernarg_segment_size: 3496
    .language:       OpenCL C
    .language_version:
      - 2
      - 0
    .max_flat_workgroup_size: 512
    .name:           _ZN2at6native12_GLOBAL__N_125multi_tensor_apply_kernelINS1_28TensorListScalarListMetadataIaLi1EEENS1_25BinaryOpScalarListFunctorIaLi1ELi1ELi0EEEJSt10multipliesIaEEEEvT_T0_DpT1_
    .private_segment_fixed_size: 0
    .sgpr_count:     19
    .sgpr_spill_count: 0
    .symbol:         _ZN2at6native12_GLOBAL__N_125multi_tensor_apply_kernelINS1_28TensorListScalarListMetadataIaLi1EEENS1_25BinaryOpScalarListFunctorIaLi1ELi1ELi0EEEJSt10multipliesIaEEEEvT_T0_DpT1_.kd
    .uniform_work_group_size: 1
    .uses_dynamic_stack: false
    .vgpr_count:     22
    .vgpr_spill_count: 0
    .wavefront_size: 32
    .workgroup_processor_mode: 1
  - .args:
      - .offset:         0
        .size:           3520
        .value_kind:     by_value
      - .offset:         3520
        .size:           1
        .value_kind:     by_value
      - .offset:         3521
        .size:           1
        .value_kind:     by_value
      - .offset:         3528
        .size:           4
        .value_kind:     hidden_block_count_x
      - .offset:         3532
        .size:           4
        .value_kind:     hidden_block_count_y
      - .offset:         3536
        .size:           4
        .value_kind:     hidden_block_count_z
      - .offset:         3540
        .size:           2
        .value_kind:     hidden_group_size_x
      - .offset:         3542
        .size:           2
        .value_kind:     hidden_group_size_y
      - .offset:         3544
        .size:           2
        .value_kind:     hidden_group_size_z
      - .offset:         3546
        .size:           2
        .value_kind:     hidden_remainder_x
      - .offset:         3548
        .size:           2
        .value_kind:     hidden_remainder_y
      - .offset:         3550
        .size:           2
        .value_kind:     hidden_remainder_z
      - .offset:         3568
        .size:           8
        .value_kind:     hidden_global_offset_x
      - .offset:         3576
        .size:           8
        .value_kind:     hidden_global_offset_y
      - .offset:         3584
        .size:           8
        .value_kind:     hidden_global_offset_z
      - .offset:         3592
        .size:           2
        .value_kind:     hidden_grid_dims
    .group_segment_fixed_size: 0
    .kernarg_segment_align: 8
    .kernarg_segment_size: 3784
    .language:       OpenCL C
    .language_version:
      - 2
      - 0
    .max_flat_workgroup_size: 512
    .name:           _ZN2at6native12_GLOBAL__N_125multi_tensor_apply_kernelINS1_28TensorListScalarListMetadataIiLi1EEENS1_25BinaryOpScalarListFunctorIiLi1ELi1ELi0EEEJSt10multipliesIiEEEEvT_T0_DpT1_
    .private_segment_fixed_size: 0
    .sgpr_count:     24
    .sgpr_spill_count: 0
    .symbol:         _ZN2at6native12_GLOBAL__N_125multi_tensor_apply_kernelINS1_28TensorListScalarListMetadataIiLi1EEENS1_25BinaryOpScalarListFunctorIiLi1ELi1ELi0EEEJSt10multipliesIiEEEEvT_T0_DpT1_.kd
    .uniform_work_group_size: 1
    .uses_dynamic_stack: false
    .vgpr_count:     17
    .vgpr_spill_count: 0
    .wavefront_size: 32
    .workgroup_processor_mode: 1
  - .args:
      - .offset:         0
        .size:           3904
        .value_kind:     by_value
      - .offset:         3904
        .size:           1
        .value_kind:     by_value
      - .offset:         3905
        .size:           1
        .value_kind:     by_value
      - .offset:         3912
        .size:           4
        .value_kind:     hidden_block_count_x
      - .offset:         3916
        .size:           4
        .value_kind:     hidden_block_count_y
      - .offset:         3920
        .size:           4
        .value_kind:     hidden_block_count_z
      - .offset:         3924
        .size:           2
        .value_kind:     hidden_group_size_x
      - .offset:         3926
        .size:           2
        .value_kind:     hidden_group_size_y
      - .offset:         3928
        .size:           2
        .value_kind:     hidden_group_size_z
      - .offset:         3930
        .size:           2
        .value_kind:     hidden_remainder_x
      - .offset:         3932
        .size:           2
        .value_kind:     hidden_remainder_y
      - .offset:         3934
        .size:           2
        .value_kind:     hidden_remainder_z
      - .offset:         3952
        .size:           8
        .value_kind:     hidden_global_offset_x
      - .offset:         3960
        .size:           8
        .value_kind:     hidden_global_offset_y
      - .offset:         3968
        .size:           8
        .value_kind:     hidden_global_offset_z
      - .offset:         3976
        .size:           2
        .value_kind:     hidden_grid_dims
    .group_segment_fixed_size: 0
    .kernarg_segment_align: 8
    .kernarg_segment_size: 4168
    .language:       OpenCL C
    .language_version:
      - 2
      - 0
    .max_flat_workgroup_size: 512
    .name:           _ZN2at6native12_GLOBAL__N_125multi_tensor_apply_kernelINS1_28TensorListScalarListMetadataIlLi1EEENS1_25BinaryOpScalarListFunctorIlLi1ELi1ELi0EEEJSt10multipliesIlEEEEvT_T0_DpT1_
    .private_segment_fixed_size: 0
    .sgpr_count:     25
    .sgpr_spill_count: 0
    .symbol:         _ZN2at6native12_GLOBAL__N_125multi_tensor_apply_kernelINS1_28TensorListScalarListMetadataIlLi1EEENS1_25BinaryOpScalarListFunctorIlLi1ELi1ELi0EEEJSt10multipliesIlEEEEvT_T0_DpT1_.kd
    .uniform_work_group_size: 1
    .uses_dynamic_stack: false
    .vgpr_count:     22
    .vgpr_spill_count: 0
    .wavefront_size: 32
    .workgroup_processor_mode: 1
  - .args:
      - .offset:         0
        .size:           3328
        .value_kind:     by_value
      - .offset:         3328
        .size:           1
        .value_kind:     by_value
      - .offset:         3329
        .size:           1
        .value_kind:     by_value
      - .offset:         3336
        .size:           4
        .value_kind:     hidden_block_count_x
      - .offset:         3340
        .size:           4
        .value_kind:     hidden_block_count_y
      - .offset:         3344
        .size:           4
        .value_kind:     hidden_block_count_z
      - .offset:         3348
        .size:           2
        .value_kind:     hidden_group_size_x
      - .offset:         3350
        .size:           2
        .value_kind:     hidden_group_size_y
      - .offset:         3352
        .size:           2
        .value_kind:     hidden_group_size_z
      - .offset:         3354
        .size:           2
        .value_kind:     hidden_remainder_x
      - .offset:         3356
        .size:           2
        .value_kind:     hidden_remainder_y
      - .offset:         3358
        .size:           2
        .value_kind:     hidden_remainder_z
      - .offset:         3376
        .size:           8
        .value_kind:     hidden_global_offset_x
      - .offset:         3384
        .size:           8
        .value_kind:     hidden_global_offset_y
      - .offset:         3392
        .size:           8
        .value_kind:     hidden_global_offset_z
      - .offset:         3400
        .size:           2
        .value_kind:     hidden_grid_dims
    .group_segment_fixed_size: 0
    .kernarg_segment_align: 8
    .kernarg_segment_size: 3592
    .language:       OpenCL C
    .language_version:
      - 2
      - 0
    .max_flat_workgroup_size: 512
    .name:           _ZN2at6native12_GLOBAL__N_125multi_tensor_apply_kernelINS1_28TensorListScalarListMetadataIsLi1EEENS1_25BinaryOpScalarListFunctorIsLi1ELi1ELi0EEEJSt10multipliesIsEEEEvT_T0_DpT1_
    .private_segment_fixed_size: 0
    .sgpr_count:     22
    .sgpr_spill_count: 0
    .symbol:         _ZN2at6native12_GLOBAL__N_125multi_tensor_apply_kernelINS1_28TensorListScalarListMetadataIsLi1EEENS1_25BinaryOpScalarListFunctorIsLi1ELi1ELi0EEEJSt10multipliesIsEEEEvT_T0_DpT1_.kd
    .uniform_work_group_size: 1
    .uses_dynamic_stack: false
    .vgpr_count:     18
    .vgpr_spill_count: 0
    .wavefront_size: 32
    .workgroup_processor_mode: 1
  - .args:
      - .offset:         0
        .size:           3904
        .value_kind:     by_value
      - .offset:         3904
        .size:           1
        .value_kind:     by_value
      - .offset:         3905
        .size:           1
        .value_kind:     by_value
      - .offset:         3912
        .size:           4
        .value_kind:     hidden_block_count_x
      - .offset:         3916
        .size:           4
        .value_kind:     hidden_block_count_y
      - .offset:         3920
        .size:           4
        .value_kind:     hidden_block_count_z
      - .offset:         3924
        .size:           2
        .value_kind:     hidden_group_size_x
      - .offset:         3926
        .size:           2
        .value_kind:     hidden_group_size_y
      - .offset:         3928
        .size:           2
        .value_kind:     hidden_group_size_z
      - .offset:         3930
        .size:           2
        .value_kind:     hidden_remainder_x
      - .offset:         3932
        .size:           2
        .value_kind:     hidden_remainder_y
      - .offset:         3934
        .size:           2
        .value_kind:     hidden_remainder_z
      - .offset:         3952
        .size:           8
        .value_kind:     hidden_global_offset_x
      - .offset:         3960
        .size:           8
        .value_kind:     hidden_global_offset_y
      - .offset:         3968
        .size:           8
        .value_kind:     hidden_global_offset_z
      - .offset:         3976
        .size:           2
        .value_kind:     hidden_grid_dims
    .group_segment_fixed_size: 0
    .kernarg_segment_align: 8
    .kernarg_segment_size: 4168
    .language:       OpenCL C
    .language_version:
      - 2
      - 0
    .max_flat_workgroup_size: 512
    .name:           _ZN2at6native12_GLOBAL__N_125multi_tensor_apply_kernelINS1_28TensorListScalarListMetadataIdLi1EEENS1_25BinaryOpScalarListFunctorIdLi1ELi1ELi0EEEJSt10multipliesIdEEEEvT_T0_DpT1_
    .private_segment_fixed_size: 0
    .sgpr_count:     25
    .sgpr_spill_count: 0
    .symbol:         _ZN2at6native12_GLOBAL__N_125multi_tensor_apply_kernelINS1_28TensorListScalarListMetadataIdLi1EEENS1_25BinaryOpScalarListFunctorIdLi1ELi1ELi0EEEJSt10multipliesIdEEEEvT_T0_DpT1_.kd
    .uniform_work_group_size: 1
    .uses_dynamic_stack: false
    .vgpr_count:     21
    .vgpr_spill_count: 0
    .wavefront_size: 32
    .workgroup_processor_mode: 1
  - .args:
      - .offset:         0
        .size:           3520
        .value_kind:     by_value
      - .offset:         3520
        .size:           1
        .value_kind:     by_value
      - .offset:         3521
        .size:           1
        .value_kind:     by_value
      - .offset:         3528
        .size:           4
        .value_kind:     hidden_block_count_x
      - .offset:         3532
        .size:           4
        .value_kind:     hidden_block_count_y
      - .offset:         3536
        .size:           4
        .value_kind:     hidden_block_count_z
      - .offset:         3540
        .size:           2
        .value_kind:     hidden_group_size_x
      - .offset:         3542
        .size:           2
        .value_kind:     hidden_group_size_y
      - .offset:         3544
        .size:           2
        .value_kind:     hidden_group_size_z
      - .offset:         3546
        .size:           2
        .value_kind:     hidden_remainder_x
      - .offset:         3548
        .size:           2
        .value_kind:     hidden_remainder_y
      - .offset:         3550
        .size:           2
        .value_kind:     hidden_remainder_z
      - .offset:         3568
        .size:           8
        .value_kind:     hidden_global_offset_x
      - .offset:         3576
        .size:           8
        .value_kind:     hidden_global_offset_y
      - .offset:         3584
        .size:           8
        .value_kind:     hidden_global_offset_z
      - .offset:         3592
        .size:           2
        .value_kind:     hidden_grid_dims
    .group_segment_fixed_size: 0
    .kernarg_segment_align: 8
    .kernarg_segment_size: 3784
    .language:       OpenCL C
    .language_version:
      - 2
      - 0
    .max_flat_workgroup_size: 512
    .name:           _ZN2at6native12_GLOBAL__N_125multi_tensor_apply_kernelINS1_28TensorListScalarListMetadataIfLi1EEENS1_25BinaryOpScalarListFunctorIfLi1ELi1ELi0EEEJSt10multipliesIfEEEEvT_T0_DpT1_
    .private_segment_fixed_size: 0
    .sgpr_count:     24
    .sgpr_spill_count: 0
    .symbol:         _ZN2at6native12_GLOBAL__N_125multi_tensor_apply_kernelINS1_28TensorListScalarListMetadataIfLi1EEENS1_25BinaryOpScalarListFunctorIfLi1ELi1ELi0EEEJSt10multipliesIfEEEEvT_T0_DpT1_.kd
    .uniform_work_group_size: 1
    .uses_dynamic_stack: false
    .vgpr_count:     17
    .vgpr_spill_count: 0
    .wavefront_size: 32
    .workgroup_processor_mode: 1
  - .args:
      - .offset:         0
        .size:           3904
        .value_kind:     by_value
      - .offset:         3904
        .size:           1
        .value_kind:     by_value
      - .offset:         3905
        .size:           1
        .value_kind:     by_value
      - .offset:         3912
        .size:           4
        .value_kind:     hidden_block_count_x
      - .offset:         3916
        .size:           4
        .value_kind:     hidden_block_count_y
      - .offset:         3920
        .size:           4
        .value_kind:     hidden_block_count_z
      - .offset:         3924
        .size:           2
        .value_kind:     hidden_group_size_x
      - .offset:         3926
        .size:           2
        .value_kind:     hidden_group_size_y
      - .offset:         3928
        .size:           2
        .value_kind:     hidden_group_size_z
      - .offset:         3930
        .size:           2
        .value_kind:     hidden_remainder_x
      - .offset:         3932
        .size:           2
        .value_kind:     hidden_remainder_y
      - .offset:         3934
        .size:           2
        .value_kind:     hidden_remainder_z
      - .offset:         3952
        .size:           8
        .value_kind:     hidden_global_offset_x
      - .offset:         3960
        .size:           8
        .value_kind:     hidden_global_offset_y
      - .offset:         3968
        .size:           8
        .value_kind:     hidden_global_offset_z
      - .offset:         3976
        .size:           2
        .value_kind:     hidden_grid_dims
    .group_segment_fixed_size: 0
    .kernarg_segment_align: 16
    .kernarg_segment_size: 4168
    .language:       OpenCL C
    .language_version:
      - 2
      - 0
    .max_flat_workgroup_size: 512
    .name:           _ZN2at6native12_GLOBAL__N_125multi_tensor_apply_kernelINS1_28TensorListScalarListMetadataIN3c107complexIdEELi1EEENS1_25BinaryOpScalarListFunctorIS6_Li1ELi1ELi0EEEJSt10multipliesIS6_EEEEvT_T0_DpT1_
    .private_segment_fixed_size: 0
    .sgpr_count:     27
    .sgpr_spill_count: 0
    .symbol:         _ZN2at6native12_GLOBAL__N_125multi_tensor_apply_kernelINS1_28TensorListScalarListMetadataIN3c107complexIdEELi1EEENS1_25BinaryOpScalarListFunctorIS6_Li1ELi1ELi0EEEJSt10multipliesIS6_EEEEvT_T0_DpT1_.kd
    .uniform_work_group_size: 1
    .uses_dynamic_stack: false
    .vgpr_count:     33
    .vgpr_spill_count: 0
    .wavefront_size: 32
    .workgroup_processor_mode: 1
  - .args:
      - .offset:         0
        .size:           3904
        .value_kind:     by_value
      - .offset:         3904
        .size:           1
        .value_kind:     by_value
      - .offset:         3905
        .size:           1
        .value_kind:     by_value
      - .offset:         3912
        .size:           4
        .value_kind:     hidden_block_count_x
      - .offset:         3916
        .size:           4
        .value_kind:     hidden_block_count_y
      - .offset:         3920
        .size:           4
        .value_kind:     hidden_block_count_z
      - .offset:         3924
        .size:           2
        .value_kind:     hidden_group_size_x
      - .offset:         3926
        .size:           2
        .value_kind:     hidden_group_size_y
      - .offset:         3928
        .size:           2
        .value_kind:     hidden_group_size_z
      - .offset:         3930
        .size:           2
        .value_kind:     hidden_remainder_x
      - .offset:         3932
        .size:           2
        .value_kind:     hidden_remainder_y
      - .offset:         3934
        .size:           2
        .value_kind:     hidden_remainder_z
      - .offset:         3952
        .size:           8
        .value_kind:     hidden_global_offset_x
      - .offset:         3960
        .size:           8
        .value_kind:     hidden_global_offset_y
      - .offset:         3968
        .size:           8
        .value_kind:     hidden_global_offset_z
      - .offset:         3976
        .size:           2
        .value_kind:     hidden_grid_dims
    .group_segment_fixed_size: 4096
    .kernarg_segment_align: 8
    .kernarg_segment_size: 4168
    .language:       OpenCL C
    .language_version:
      - 2
      - 0
    .max_flat_workgroup_size: 512
    .name:           _ZN2at6native12_GLOBAL__N_125multi_tensor_apply_kernelINS1_28TensorListScalarListMetadataIN3c107complexIfEELi1EEENS1_25BinaryOpScalarListFunctorIS6_Li1ELi1ELi0EEEJSt10multipliesIS6_EEEEvT_T0_DpT1_
    .private_segment_fixed_size: 0
    .sgpr_count:     25
    .sgpr_spill_count: 0
    .symbol:         _ZN2at6native12_GLOBAL__N_125multi_tensor_apply_kernelINS1_28TensorListScalarListMetadataIN3c107complexIfEELi1EEENS1_25BinaryOpScalarListFunctorIS6_Li1ELi1ELi0EEEJSt10multipliesIS6_EEEEvT_T0_DpT1_.kd
    .uniform_work_group_size: 1
    .uses_dynamic_stack: false
    .vgpr_count:     30
    .vgpr_spill_count: 0
    .wavefront_size: 32
    .workgroup_processor_mode: 1
  - .args:
      - .offset:         0
        .size:           3232
        .value_kind:     by_value
      - .offset:         3232
        .size:           1
        .value_kind:     by_value
      - .offset:         3233
        .size:           1
        .value_kind:     by_value
      - .offset:         3240
        .size:           4
        .value_kind:     hidden_block_count_x
      - .offset:         3244
        .size:           4
        .value_kind:     hidden_block_count_y
      - .offset:         3248
        .size:           4
        .value_kind:     hidden_block_count_z
      - .offset:         3252
        .size:           2
        .value_kind:     hidden_group_size_x
      - .offset:         3254
        .size:           2
        .value_kind:     hidden_group_size_y
      - .offset:         3256
        .size:           2
        .value_kind:     hidden_group_size_z
      - .offset:         3258
        .size:           2
        .value_kind:     hidden_remainder_x
      - .offset:         3260
        .size:           2
        .value_kind:     hidden_remainder_y
      - .offset:         3262
        .size:           2
        .value_kind:     hidden_remainder_z
      - .offset:         3280
        .size:           8
        .value_kind:     hidden_global_offset_x
      - .offset:         3288
        .size:           8
        .value_kind:     hidden_global_offset_y
      - .offset:         3296
        .size:           8
        .value_kind:     hidden_global_offset_z
      - .offset:         3304
        .size:           2
        .value_kind:     hidden_grid_dims
    .group_segment_fixed_size: 0
    .kernarg_segment_align: 8
    .kernarg_segment_size: 3496
    .language:       OpenCL C
    .language_version:
      - 2
      - 0
    .max_flat_workgroup_size: 512
    .name:           _ZN2at6native12_GLOBAL__N_125multi_tensor_apply_kernelINS1_28TensorListScalarListMetadataIbLi1EEENS1_25BinaryOpScalarListFunctorIbLi1ELi1ELi0EEEJSt10multipliesIbEEEEvT_T0_DpT1_
    .private_segment_fixed_size: 0
    .sgpr_count:     20
    .sgpr_spill_count: 0
    .symbol:         _ZN2at6native12_GLOBAL__N_125multi_tensor_apply_kernelINS1_28TensorListScalarListMetadataIbLi1EEENS1_25BinaryOpScalarListFunctorIbLi1ELi1ELi0EEEJSt10multipliesIbEEEEvT_T0_DpT1_.kd
    .uniform_work_group_size: 1
    .uses_dynamic_stack: false
    .vgpr_count:     21
    .vgpr_spill_count: 0
    .wavefront_size: 32
    .workgroup_processor_mode: 1
  - .args:
      - .offset:         0
        .size:           3520
        .value_kind:     by_value
      - .offset:         3520
        .size:           1
        .value_kind:     by_value
      - .offset:         3521
        .size:           1
        .value_kind:     by_value
      - .offset:         3528
        .size:           4
        .value_kind:     hidden_block_count_x
      - .offset:         3532
        .size:           4
        .value_kind:     hidden_block_count_y
      - .offset:         3536
        .size:           4
        .value_kind:     hidden_block_count_z
      - .offset:         3540
        .size:           2
        .value_kind:     hidden_group_size_x
      - .offset:         3542
        .size:           2
        .value_kind:     hidden_group_size_y
      - .offset:         3544
        .size:           2
        .value_kind:     hidden_group_size_z
      - .offset:         3546
        .size:           2
        .value_kind:     hidden_remainder_x
      - .offset:         3548
        .size:           2
        .value_kind:     hidden_remainder_y
      - .offset:         3550
        .size:           2
        .value_kind:     hidden_remainder_z
      - .offset:         3568
        .size:           8
        .value_kind:     hidden_global_offset_x
      - .offset:         3576
        .size:           8
        .value_kind:     hidden_global_offset_y
      - .offset:         3584
        .size:           8
        .value_kind:     hidden_global_offset_z
      - .offset:         3592
        .size:           2
        .value_kind:     hidden_grid_dims
    .group_segment_fixed_size: 0
    .kernarg_segment_align: 8
    .kernarg_segment_size: 3784
    .language:       OpenCL C
    .language_version:
      - 2
      - 0
    .max_flat_workgroup_size: 512
    .name:           _ZN2at6native12_GLOBAL__N_125multi_tensor_apply_kernelINS1_28TensorListScalarListMetadataIfLi1EEENS1_25BinaryOpScalarListFunctorIN3c104HalfELi1ELi1ELi0EEEJSt10multipliesIfEEEEvT_T0_DpT1_
    .private_segment_fixed_size: 0
    .sgpr_count:     23
    .sgpr_spill_count: 0
    .symbol:         _ZN2at6native12_GLOBAL__N_125multi_tensor_apply_kernelINS1_28TensorListScalarListMetadataIfLi1EEENS1_25BinaryOpScalarListFunctorIN3c104HalfELi1ELi1ELi0EEEJSt10multipliesIfEEEEvT_T0_DpT1_.kd
    .uniform_work_group_size: 1
    .uses_dynamic_stack: false
    .vgpr_count:     17
    .vgpr_spill_count: 0
    .wavefront_size: 32
    .workgroup_processor_mode: 1
  - .args:
      - .offset:         0
        .size:           3520
        .value_kind:     by_value
      - .offset:         3520
        .size:           1
        .value_kind:     by_value
      - .offset:         3521
        .size:           1
        .value_kind:     by_value
      - .offset:         3528
        .size:           4
        .value_kind:     hidden_block_count_x
      - .offset:         3532
        .size:           4
        .value_kind:     hidden_block_count_y
      - .offset:         3536
        .size:           4
        .value_kind:     hidden_block_count_z
      - .offset:         3540
        .size:           2
        .value_kind:     hidden_group_size_x
      - .offset:         3542
        .size:           2
        .value_kind:     hidden_group_size_y
      - .offset:         3544
        .size:           2
        .value_kind:     hidden_group_size_z
      - .offset:         3546
        .size:           2
        .value_kind:     hidden_remainder_x
      - .offset:         3548
        .size:           2
        .value_kind:     hidden_remainder_y
      - .offset:         3550
        .size:           2
        .value_kind:     hidden_remainder_z
      - .offset:         3568
        .size:           8
        .value_kind:     hidden_global_offset_x
      - .offset:         3576
        .size:           8
        .value_kind:     hidden_global_offset_y
      - .offset:         3584
        .size:           8
        .value_kind:     hidden_global_offset_z
      - .offset:         3592
        .size:           2
        .value_kind:     hidden_grid_dims
    .group_segment_fixed_size: 0
    .kernarg_segment_align: 8
    .kernarg_segment_size: 3784
    .language:       OpenCL C
    .language_version:
      - 2
      - 0
    .max_flat_workgroup_size: 512
    .name:           _ZN2at6native12_GLOBAL__N_125multi_tensor_apply_kernelINS1_28TensorListScalarListMetadataIfLi1EEENS1_25BinaryOpScalarListFunctorIN3c108BFloat16ELi1ELi1ELi0EEEJSt10multipliesIfEEEEvT_T0_DpT1_
    .private_segment_fixed_size: 0
    .sgpr_count:     23
    .sgpr_spill_count: 0
    .symbol:         _ZN2at6native12_GLOBAL__N_125multi_tensor_apply_kernelINS1_28TensorListScalarListMetadataIfLi1EEENS1_25BinaryOpScalarListFunctorIN3c108BFloat16ELi1ELi1ELi0EEEJSt10multipliesIfEEEEvT_T0_DpT1_.kd
    .uniform_work_group_size: 1
    .uses_dynamic_stack: false
    .vgpr_count:     17
    .vgpr_spill_count: 0
    .wavefront_size: 32
    .workgroup_processor_mode: 1
  - .args:
      - .offset:         0
        .size:           3200
        .value_kind:     by_value
      - .offset:         3200
        .size:           1
        .value_kind:     by_value
      - .offset:         3201
        .size:           1
        .value_kind:     by_value
      - .offset:         3208
        .size:           4
        .value_kind:     hidden_block_count_x
      - .offset:         3212
        .size:           4
        .value_kind:     hidden_block_count_y
      - .offset:         3216
        .size:           4
        .value_kind:     hidden_block_count_z
      - .offset:         3220
        .size:           2
        .value_kind:     hidden_group_size_x
      - .offset:         3222
        .size:           2
        .value_kind:     hidden_group_size_y
      - .offset:         3224
        .size:           2
        .value_kind:     hidden_group_size_z
      - .offset:         3226
        .size:           2
        .value_kind:     hidden_remainder_x
      - .offset:         3228
        .size:           2
        .value_kind:     hidden_remainder_y
      - .offset:         3230
        .size:           2
        .value_kind:     hidden_remainder_z
      - .offset:         3248
        .size:           8
        .value_kind:     hidden_global_offset_x
      - .offset:         3256
        .size:           8
        .value_kind:     hidden_global_offset_y
      - .offset:         3264
        .size:           8
        .value_kind:     hidden_global_offset_z
      - .offset:         3272
        .size:           2
        .value_kind:     hidden_grid_dims
    .group_segment_fixed_size: 0
    .kernarg_segment_align: 8
    .kernarg_segment_size: 3464
    .language:       OpenCL C
    .language_version:
      - 2
      - 0
    .max_flat_workgroup_size: 512
    .name:           _ZN2at6native12_GLOBAL__N_125multi_tensor_apply_kernelINS1_28TensorListScalarListMetadataIhLi2EEENS1_25BinaryOpScalarListFunctorIhLi2ELi1ELi1EEEJSt10multipliesIhEEEEvT_T0_DpT1_
    .private_segment_fixed_size: 0
    .sgpr_count:     24
    .sgpr_spill_count: 0
    .symbol:         _ZN2at6native12_GLOBAL__N_125multi_tensor_apply_kernelINS1_28TensorListScalarListMetadataIhLi2EEENS1_25BinaryOpScalarListFunctorIhLi2ELi1ELi1EEEJSt10multipliesIhEEEEvT_T0_DpT1_.kd
    .uniform_work_group_size: 1
    .uses_dynamic_stack: false
    .vgpr_count:     30
    .vgpr_spill_count: 0
    .wavefront_size: 32
    .workgroup_processor_mode: 1
  - .args:
      - .offset:         0
        .size:           3200
        .value_kind:     by_value
      - .offset:         3200
        .size:           1
        .value_kind:     by_value
      - .offset:         3201
        .size:           1
        .value_kind:     by_value
      - .offset:         3208
        .size:           4
        .value_kind:     hidden_block_count_x
      - .offset:         3212
        .size:           4
        .value_kind:     hidden_block_count_y
      - .offset:         3216
        .size:           4
        .value_kind:     hidden_block_count_z
      - .offset:         3220
        .size:           2
        .value_kind:     hidden_group_size_x
      - .offset:         3222
        .size:           2
        .value_kind:     hidden_group_size_y
      - .offset:         3224
        .size:           2
        .value_kind:     hidden_group_size_z
      - .offset:         3226
        .size:           2
        .value_kind:     hidden_remainder_x
      - .offset:         3228
        .size:           2
        .value_kind:     hidden_remainder_y
      - .offset:         3230
        .size:           2
        .value_kind:     hidden_remainder_z
      - .offset:         3248
        .size:           8
        .value_kind:     hidden_global_offset_x
      - .offset:         3256
        .size:           8
        .value_kind:     hidden_global_offset_y
      - .offset:         3264
        .size:           8
        .value_kind:     hidden_global_offset_z
      - .offset:         3272
        .size:           2
        .value_kind:     hidden_grid_dims
    .group_segment_fixed_size: 0
    .kernarg_segment_align: 8
    .kernarg_segment_size: 3464
    .language:       OpenCL C
    .language_version:
      - 2
      - 0
    .max_flat_workgroup_size: 512
    .name:           _ZN2at6native12_GLOBAL__N_125multi_tensor_apply_kernelINS1_28TensorListScalarListMetadataIaLi2EEENS1_25BinaryOpScalarListFunctorIaLi2ELi1ELi1EEEJSt10multipliesIaEEEEvT_T0_DpT1_
    .private_segment_fixed_size: 0
    .sgpr_count:     24
    .sgpr_spill_count: 0
    .symbol:         _ZN2at6native12_GLOBAL__N_125multi_tensor_apply_kernelINS1_28TensorListScalarListMetadataIaLi2EEENS1_25BinaryOpScalarListFunctorIaLi2ELi1ELi1EEEJSt10multipliesIaEEEEvT_T0_DpT1_.kd
    .uniform_work_group_size: 1
    .uses_dynamic_stack: false
    .vgpr_count:     30
    .vgpr_spill_count: 0
    .wavefront_size: 32
    .workgroup_processor_mode: 1
  - .args:
      - .offset:         0
        .size:           3392
        .value_kind:     by_value
      - .offset:         3392
        .size:           1
        .value_kind:     by_value
      - .offset:         3393
        .size:           1
        .value_kind:     by_value
      - .offset:         3400
        .size:           4
        .value_kind:     hidden_block_count_x
      - .offset:         3404
        .size:           4
        .value_kind:     hidden_block_count_y
      - .offset:         3408
        .size:           4
        .value_kind:     hidden_block_count_z
      - .offset:         3412
        .size:           2
        .value_kind:     hidden_group_size_x
      - .offset:         3414
        .size:           2
        .value_kind:     hidden_group_size_y
      - .offset:         3416
        .size:           2
        .value_kind:     hidden_group_size_z
      - .offset:         3418
        .size:           2
        .value_kind:     hidden_remainder_x
      - .offset:         3420
        .size:           2
        .value_kind:     hidden_remainder_y
      - .offset:         3422
        .size:           2
        .value_kind:     hidden_remainder_z
      - .offset:         3440
        .size:           8
        .value_kind:     hidden_global_offset_x
      - .offset:         3448
        .size:           8
        .value_kind:     hidden_global_offset_y
      - .offset:         3456
        .size:           8
        .value_kind:     hidden_global_offset_z
      - .offset:         3464
        .size:           2
        .value_kind:     hidden_grid_dims
    .group_segment_fixed_size: 0
    .kernarg_segment_align: 8
    .kernarg_segment_size: 3656
    .language:       OpenCL C
    .language_version:
      - 2
      - 0
    .max_flat_workgroup_size: 512
    .name:           _ZN2at6native12_GLOBAL__N_125multi_tensor_apply_kernelINS1_28TensorListScalarListMetadataIiLi2EEENS1_25BinaryOpScalarListFunctorIiLi2ELi1ELi1EEEJSt10multipliesIiEEEEvT_T0_DpT1_
    .private_segment_fixed_size: 0
    .sgpr_count:     24
    .sgpr_spill_count: 0
    .symbol:         _ZN2at6native12_GLOBAL__N_125multi_tensor_apply_kernelINS1_28TensorListScalarListMetadataIiLi2EEENS1_25BinaryOpScalarListFunctorIiLi2ELi1ELi1EEEJSt10multipliesIiEEEEvT_T0_DpT1_.kd
    .uniform_work_group_size: 1
    .uses_dynamic_stack: false
    .vgpr_count:     29
    .vgpr_spill_count: 0
    .wavefront_size: 32
    .workgroup_processor_mode: 1
  - .args:
      - .offset:         0
        .size:           3648
        .value_kind:     by_value
      - .offset:         3648
        .size:           1
        .value_kind:     by_value
      - .offset:         3649
        .size:           1
        .value_kind:     by_value
      - .offset:         3656
        .size:           4
        .value_kind:     hidden_block_count_x
      - .offset:         3660
        .size:           4
        .value_kind:     hidden_block_count_y
      - .offset:         3664
        .size:           4
        .value_kind:     hidden_block_count_z
      - .offset:         3668
        .size:           2
        .value_kind:     hidden_group_size_x
      - .offset:         3670
        .size:           2
        .value_kind:     hidden_group_size_y
      - .offset:         3672
        .size:           2
        .value_kind:     hidden_group_size_z
      - .offset:         3674
        .size:           2
        .value_kind:     hidden_remainder_x
      - .offset:         3676
        .size:           2
        .value_kind:     hidden_remainder_y
      - .offset:         3678
        .size:           2
        .value_kind:     hidden_remainder_z
      - .offset:         3696
        .size:           8
        .value_kind:     hidden_global_offset_x
      - .offset:         3704
        .size:           8
        .value_kind:     hidden_global_offset_y
      - .offset:         3712
        .size:           8
        .value_kind:     hidden_global_offset_z
      - .offset:         3720
        .size:           2
        .value_kind:     hidden_grid_dims
    .group_segment_fixed_size: 0
    .kernarg_segment_align: 8
    .kernarg_segment_size: 3912
    .language:       OpenCL C
    .language_version:
      - 2
      - 0
    .max_flat_workgroup_size: 512
    .name:           _ZN2at6native12_GLOBAL__N_125multi_tensor_apply_kernelINS1_28TensorListScalarListMetadataIlLi2EEENS1_25BinaryOpScalarListFunctorIlLi2ELi1ELi1EEEJSt10multipliesIlEEEEvT_T0_DpT1_
    .private_segment_fixed_size: 0
    .sgpr_count:     26
    .sgpr_spill_count: 0
    .symbol:         _ZN2at6native12_GLOBAL__N_125multi_tensor_apply_kernelINS1_28TensorListScalarListMetadataIlLi2EEENS1_25BinaryOpScalarListFunctorIlLi2ELi1ELi1EEEJSt10multipliesIlEEEEvT_T0_DpT1_.kd
    .uniform_work_group_size: 1
    .uses_dynamic_stack: false
    .vgpr_count:     35
    .vgpr_spill_count: 0
    .wavefront_size: 32
    .workgroup_processor_mode: 1
  - .args:
      - .offset:         0
        .size:           3264
        .value_kind:     by_value
      - .offset:         3264
        .size:           1
        .value_kind:     by_value
      - .offset:         3265
        .size:           1
        .value_kind:     by_value
      - .offset:         3272
        .size:           4
        .value_kind:     hidden_block_count_x
      - .offset:         3276
        .size:           4
        .value_kind:     hidden_block_count_y
      - .offset:         3280
        .size:           4
        .value_kind:     hidden_block_count_z
      - .offset:         3284
        .size:           2
        .value_kind:     hidden_group_size_x
      - .offset:         3286
        .size:           2
        .value_kind:     hidden_group_size_y
      - .offset:         3288
        .size:           2
        .value_kind:     hidden_group_size_z
      - .offset:         3290
        .size:           2
        .value_kind:     hidden_remainder_x
      - .offset:         3292
        .size:           2
        .value_kind:     hidden_remainder_y
      - .offset:         3294
        .size:           2
        .value_kind:     hidden_remainder_z
      - .offset:         3312
        .size:           8
        .value_kind:     hidden_global_offset_x
      - .offset:         3320
        .size:           8
        .value_kind:     hidden_global_offset_y
      - .offset:         3328
        .size:           8
        .value_kind:     hidden_global_offset_z
      - .offset:         3336
        .size:           2
        .value_kind:     hidden_grid_dims
    .group_segment_fixed_size: 0
    .kernarg_segment_align: 8
    .kernarg_segment_size: 3528
    .language:       OpenCL C
    .language_version:
      - 2
      - 0
    .max_flat_workgroup_size: 512
    .name:           _ZN2at6native12_GLOBAL__N_125multi_tensor_apply_kernelINS1_28TensorListScalarListMetadataIsLi2EEENS1_25BinaryOpScalarListFunctorIsLi2ELi1ELi1EEEJSt10multipliesIsEEEEvT_T0_DpT1_
    .private_segment_fixed_size: 0
    .sgpr_count:     23
    .sgpr_spill_count: 0
    .symbol:         _ZN2at6native12_GLOBAL__N_125multi_tensor_apply_kernelINS1_28TensorListScalarListMetadataIsLi2EEENS1_25BinaryOpScalarListFunctorIsLi2ELi1ELi1EEEJSt10multipliesIsEEEEvT_T0_DpT1_.kd
    .uniform_work_group_size: 1
    .uses_dynamic_stack: false
    .vgpr_count:     30
    .vgpr_spill_count: 0
    .wavefront_size: 32
    .workgroup_processor_mode: 1
  - .args:
      - .offset:         0
        .size:           3648
        .value_kind:     by_value
      - .offset:         3648
        .size:           1
        .value_kind:     by_value
      - .offset:         3649
        .size:           1
        .value_kind:     by_value
      - .offset:         3656
        .size:           4
        .value_kind:     hidden_block_count_x
      - .offset:         3660
        .size:           4
        .value_kind:     hidden_block_count_y
      - .offset:         3664
        .size:           4
        .value_kind:     hidden_block_count_z
      - .offset:         3668
        .size:           2
        .value_kind:     hidden_group_size_x
      - .offset:         3670
        .size:           2
        .value_kind:     hidden_group_size_y
      - .offset:         3672
        .size:           2
        .value_kind:     hidden_group_size_z
      - .offset:         3674
        .size:           2
        .value_kind:     hidden_remainder_x
      - .offset:         3676
        .size:           2
        .value_kind:     hidden_remainder_y
      - .offset:         3678
        .size:           2
        .value_kind:     hidden_remainder_z
      - .offset:         3696
        .size:           8
        .value_kind:     hidden_global_offset_x
      - .offset:         3704
        .size:           8
        .value_kind:     hidden_global_offset_y
      - .offset:         3712
        .size:           8
        .value_kind:     hidden_global_offset_z
      - .offset:         3720
        .size:           2
        .value_kind:     hidden_grid_dims
    .group_segment_fixed_size: 0
    .kernarg_segment_align: 8
    .kernarg_segment_size: 3912
    .language:       OpenCL C
    .language_version:
      - 2
      - 0
    .max_flat_workgroup_size: 512
    .name:           _ZN2at6native12_GLOBAL__N_125multi_tensor_apply_kernelINS1_28TensorListScalarListMetadataIdLi2EEENS1_25BinaryOpScalarListFunctorIdLi2ELi1ELi1EEEJSt10multipliesIdEEEEvT_T0_DpT1_
    .private_segment_fixed_size: 0
    .sgpr_count:     26
    .sgpr_spill_count: 0
    .symbol:         _ZN2at6native12_GLOBAL__N_125multi_tensor_apply_kernelINS1_28TensorListScalarListMetadataIdLi2EEENS1_25BinaryOpScalarListFunctorIdLi2ELi1ELi1EEEJSt10multipliesIdEEEEvT_T0_DpT1_.kd
    .uniform_work_group_size: 1
    .uses_dynamic_stack: false
    .vgpr_count:     33
    .vgpr_spill_count: 0
    .wavefront_size: 32
    .workgroup_processor_mode: 1
  - .args:
      - .offset:         0
        .size:           3392
        .value_kind:     by_value
      - .offset:         3392
        .size:           1
        .value_kind:     by_value
      - .offset:         3393
        .size:           1
        .value_kind:     by_value
      - .offset:         3400
        .size:           4
        .value_kind:     hidden_block_count_x
      - .offset:         3404
        .size:           4
        .value_kind:     hidden_block_count_y
      - .offset:         3408
        .size:           4
        .value_kind:     hidden_block_count_z
      - .offset:         3412
        .size:           2
        .value_kind:     hidden_group_size_x
      - .offset:         3414
        .size:           2
        .value_kind:     hidden_group_size_y
      - .offset:         3416
        .size:           2
        .value_kind:     hidden_group_size_z
      - .offset:         3418
        .size:           2
        .value_kind:     hidden_remainder_x
      - .offset:         3420
        .size:           2
        .value_kind:     hidden_remainder_y
      - .offset:         3422
        .size:           2
        .value_kind:     hidden_remainder_z
      - .offset:         3440
        .size:           8
        .value_kind:     hidden_global_offset_x
      - .offset:         3448
        .size:           8
        .value_kind:     hidden_global_offset_y
      - .offset:         3456
        .size:           8
        .value_kind:     hidden_global_offset_z
      - .offset:         3464
        .size:           2
        .value_kind:     hidden_grid_dims
    .group_segment_fixed_size: 0
    .kernarg_segment_align: 8
    .kernarg_segment_size: 3656
    .language:       OpenCL C
    .language_version:
      - 2
      - 0
    .max_flat_workgroup_size: 512
    .name:           _ZN2at6native12_GLOBAL__N_125multi_tensor_apply_kernelINS1_28TensorListScalarListMetadataIfLi2EEENS1_25BinaryOpScalarListFunctorIfLi2ELi1ELi1EEEJSt10multipliesIfEEEEvT_T0_DpT1_
    .private_segment_fixed_size: 0
    .sgpr_count:     24
    .sgpr_spill_count: 0
    .symbol:         _ZN2at6native12_GLOBAL__N_125multi_tensor_apply_kernelINS1_28TensorListScalarListMetadataIfLi2EEENS1_25BinaryOpScalarListFunctorIfLi2ELi1ELi1EEEJSt10multipliesIfEEEEvT_T0_DpT1_.kd
    .uniform_work_group_size: 1
    .uses_dynamic_stack: false
    .vgpr_count:     29
    .vgpr_spill_count: 0
    .wavefront_size: 32
    .workgroup_processor_mode: 1
  - .args:
      - .offset:         0
        .size:           4000
        .value_kind:     by_value
      - .offset:         4000
        .size:           1
        .value_kind:     by_value
      - .offset:         4001
        .size:           1
        .value_kind:     by_value
      - .offset:         4008
        .size:           4
        .value_kind:     hidden_block_count_x
      - .offset:         4012
        .size:           4
        .value_kind:     hidden_block_count_y
      - .offset:         4016
        .size:           4
        .value_kind:     hidden_block_count_z
      - .offset:         4020
        .size:           2
        .value_kind:     hidden_group_size_x
      - .offset:         4022
        .size:           2
        .value_kind:     hidden_group_size_y
      - .offset:         4024
        .size:           2
        .value_kind:     hidden_group_size_z
      - .offset:         4026
        .size:           2
        .value_kind:     hidden_remainder_x
      - .offset:         4028
        .size:           2
        .value_kind:     hidden_remainder_y
      - .offset:         4030
        .size:           2
        .value_kind:     hidden_remainder_z
      - .offset:         4048
        .size:           8
        .value_kind:     hidden_global_offset_x
      - .offset:         4056
        .size:           8
        .value_kind:     hidden_global_offset_y
      - .offset:         4064
        .size:           8
        .value_kind:     hidden_global_offset_z
      - .offset:         4072
        .size:           2
        .value_kind:     hidden_grid_dims
    .group_segment_fixed_size: 0
    .kernarg_segment_align: 16
    .kernarg_segment_size: 4264
    .language:       OpenCL C
    .language_version:
      - 2
      - 0
    .max_flat_workgroup_size: 512
    .name:           _ZN2at6native12_GLOBAL__N_125multi_tensor_apply_kernelINS1_28TensorListScalarListMetadataIN3c107complexIdEELi2EEENS1_25BinaryOpScalarListFunctorIS6_Li2ELi1ELi1EEEJSt10multipliesIS6_EEEEvT_T0_DpT1_
    .private_segment_fixed_size: 0
    .sgpr_count:     30
    .sgpr_spill_count: 0
    .symbol:         _ZN2at6native12_GLOBAL__N_125multi_tensor_apply_kernelINS1_28TensorListScalarListMetadataIN3c107complexIdEELi2EEENS1_25BinaryOpScalarListFunctorIS6_Li2ELi1ELi1EEEJSt10multipliesIS6_EEEEvT_T0_DpT1_.kd
    .uniform_work_group_size: 1
    .uses_dynamic_stack: false
    .vgpr_count:     39
    .vgpr_spill_count: 0
    .wavefront_size: 32
    .workgroup_processor_mode: 1
  - .args:
      - .offset:         0
        .size:           3648
        .value_kind:     by_value
      - .offset:         3648
        .size:           1
        .value_kind:     by_value
      - .offset:         3649
        .size:           1
        .value_kind:     by_value
      - .offset:         3656
        .size:           4
        .value_kind:     hidden_block_count_x
      - .offset:         3660
        .size:           4
        .value_kind:     hidden_block_count_y
      - .offset:         3664
        .size:           4
        .value_kind:     hidden_block_count_z
      - .offset:         3668
        .size:           2
        .value_kind:     hidden_group_size_x
      - .offset:         3670
        .size:           2
        .value_kind:     hidden_group_size_y
      - .offset:         3672
        .size:           2
        .value_kind:     hidden_group_size_z
      - .offset:         3674
        .size:           2
        .value_kind:     hidden_remainder_x
      - .offset:         3676
        .size:           2
        .value_kind:     hidden_remainder_y
      - .offset:         3678
        .size:           2
        .value_kind:     hidden_remainder_z
      - .offset:         3696
        .size:           8
        .value_kind:     hidden_global_offset_x
      - .offset:         3704
        .size:           8
        .value_kind:     hidden_global_offset_y
      - .offset:         3712
        .size:           8
        .value_kind:     hidden_global_offset_z
      - .offset:         3720
        .size:           2
        .value_kind:     hidden_grid_dims
    .group_segment_fixed_size: 4096
    .kernarg_segment_align: 8
    .kernarg_segment_size: 3912
    .language:       OpenCL C
    .language_version:
      - 2
      - 0
    .max_flat_workgroup_size: 512
    .name:           _ZN2at6native12_GLOBAL__N_125multi_tensor_apply_kernelINS1_28TensorListScalarListMetadataIN3c107complexIfEELi2EEENS1_25BinaryOpScalarListFunctorIS6_Li2ELi1ELi1EEEJSt10multipliesIS6_EEEEvT_T0_DpT1_
    .private_segment_fixed_size: 0
    .sgpr_count:     27
    .sgpr_spill_count: 0
    .symbol:         _ZN2at6native12_GLOBAL__N_125multi_tensor_apply_kernelINS1_28TensorListScalarListMetadataIN3c107complexIfEELi2EEENS1_25BinaryOpScalarListFunctorIS6_Li2ELi1ELi1EEEJSt10multipliesIS6_EEEEvT_T0_DpT1_.kd
    .uniform_work_group_size: 1
    .uses_dynamic_stack: false
    .vgpr_count:     34
    .vgpr_spill_count: 0
    .wavefront_size: 32
    .workgroup_processor_mode: 1
  - .args:
      - .offset:         0
        .size:           3200
        .value_kind:     by_value
      - .offset:         3200
        .size:           1
        .value_kind:     by_value
      - .offset:         3201
        .size:           1
        .value_kind:     by_value
      - .offset:         3208
        .size:           4
        .value_kind:     hidden_block_count_x
      - .offset:         3212
        .size:           4
        .value_kind:     hidden_block_count_y
      - .offset:         3216
        .size:           4
        .value_kind:     hidden_block_count_z
      - .offset:         3220
        .size:           2
        .value_kind:     hidden_group_size_x
      - .offset:         3222
        .size:           2
        .value_kind:     hidden_group_size_y
      - .offset:         3224
        .size:           2
        .value_kind:     hidden_group_size_z
      - .offset:         3226
        .size:           2
        .value_kind:     hidden_remainder_x
      - .offset:         3228
        .size:           2
        .value_kind:     hidden_remainder_y
      - .offset:         3230
        .size:           2
        .value_kind:     hidden_remainder_z
      - .offset:         3248
        .size:           8
        .value_kind:     hidden_global_offset_x
      - .offset:         3256
        .size:           8
        .value_kind:     hidden_global_offset_y
      - .offset:         3264
        .size:           8
        .value_kind:     hidden_global_offset_z
      - .offset:         3272
        .size:           2
        .value_kind:     hidden_grid_dims
    .group_segment_fixed_size: 0
    .kernarg_segment_align: 8
    .kernarg_segment_size: 3464
    .language:       OpenCL C
    .language_version:
      - 2
      - 0
    .max_flat_workgroup_size: 512
    .name:           _ZN2at6native12_GLOBAL__N_125multi_tensor_apply_kernelINS1_28TensorListScalarListMetadataIbLi2EEENS1_25BinaryOpScalarListFunctorIbLi2ELi1ELi1EEEJSt10multipliesIbEEEEvT_T0_DpT1_
    .private_segment_fixed_size: 0
    .sgpr_count:     25
    .sgpr_spill_count: 0
    .symbol:         _ZN2at6native12_GLOBAL__N_125multi_tensor_apply_kernelINS1_28TensorListScalarListMetadataIbLi2EEENS1_25BinaryOpScalarListFunctorIbLi2ELi1ELi1EEEJSt10multipliesIbEEEEvT_T0_DpT1_.kd
    .uniform_work_group_size: 1
    .uses_dynamic_stack: false
    .vgpr_count:     29
    .vgpr_spill_count: 0
    .wavefront_size: 32
    .workgroup_processor_mode: 1
  - .args:
      - .offset:         0
        .size:           3392
        .value_kind:     by_value
      - .offset:         3392
        .size:           1
        .value_kind:     by_value
      - .offset:         3393
        .size:           1
        .value_kind:     by_value
      - .offset:         3400
        .size:           4
        .value_kind:     hidden_block_count_x
      - .offset:         3404
        .size:           4
        .value_kind:     hidden_block_count_y
      - .offset:         3408
        .size:           4
        .value_kind:     hidden_block_count_z
      - .offset:         3412
        .size:           2
        .value_kind:     hidden_group_size_x
      - .offset:         3414
        .size:           2
        .value_kind:     hidden_group_size_y
      - .offset:         3416
        .size:           2
        .value_kind:     hidden_group_size_z
      - .offset:         3418
        .size:           2
        .value_kind:     hidden_remainder_x
      - .offset:         3420
        .size:           2
        .value_kind:     hidden_remainder_y
      - .offset:         3422
        .size:           2
        .value_kind:     hidden_remainder_z
      - .offset:         3440
        .size:           8
        .value_kind:     hidden_global_offset_x
      - .offset:         3448
        .size:           8
        .value_kind:     hidden_global_offset_y
      - .offset:         3456
        .size:           8
        .value_kind:     hidden_global_offset_z
      - .offset:         3464
        .size:           2
        .value_kind:     hidden_grid_dims
    .group_segment_fixed_size: 0
    .kernarg_segment_align: 8
    .kernarg_segment_size: 3656
    .language:       OpenCL C
    .language_version:
      - 2
      - 0
    .max_flat_workgroup_size: 512
    .name:           _ZN2at6native12_GLOBAL__N_125multi_tensor_apply_kernelINS1_28TensorListScalarListMetadataIfLi2EEENS1_25BinaryOpScalarListFunctorIN3c104HalfELi2ELi1ELi1EEEJSt10multipliesIfEEEEvT_T0_DpT1_
    .private_segment_fixed_size: 0
    .sgpr_count:     24
    .sgpr_spill_count: 0
    .symbol:         _ZN2at6native12_GLOBAL__N_125multi_tensor_apply_kernelINS1_28TensorListScalarListMetadataIfLi2EEENS1_25BinaryOpScalarListFunctorIN3c104HalfELi2ELi1ELi1EEEJSt10multipliesIfEEEEvT_T0_DpT1_.kd
    .uniform_work_group_size: 1
    .uses_dynamic_stack: false
    .vgpr_count:     29
    .vgpr_spill_count: 0
    .wavefront_size: 32
    .workgroup_processor_mode: 1
  - .args:
      - .offset:         0
        .size:           3392
        .value_kind:     by_value
      - .offset:         3392
        .size:           1
        .value_kind:     by_value
      - .offset:         3393
        .size:           1
        .value_kind:     by_value
      - .offset:         3400
        .size:           4
        .value_kind:     hidden_block_count_x
      - .offset:         3404
        .size:           4
        .value_kind:     hidden_block_count_y
      - .offset:         3408
        .size:           4
        .value_kind:     hidden_block_count_z
      - .offset:         3412
        .size:           2
        .value_kind:     hidden_group_size_x
      - .offset:         3414
        .size:           2
        .value_kind:     hidden_group_size_y
      - .offset:         3416
        .size:           2
        .value_kind:     hidden_group_size_z
      - .offset:         3418
        .size:           2
        .value_kind:     hidden_remainder_x
      - .offset:         3420
        .size:           2
        .value_kind:     hidden_remainder_y
      - .offset:         3422
        .size:           2
        .value_kind:     hidden_remainder_z
      - .offset:         3440
        .size:           8
        .value_kind:     hidden_global_offset_x
      - .offset:         3448
        .size:           8
        .value_kind:     hidden_global_offset_y
      - .offset:         3456
        .size:           8
        .value_kind:     hidden_global_offset_z
      - .offset:         3464
        .size:           2
        .value_kind:     hidden_grid_dims
    .group_segment_fixed_size: 0
    .kernarg_segment_align: 8
    .kernarg_segment_size: 3656
    .language:       OpenCL C
    .language_version:
      - 2
      - 0
    .max_flat_workgroup_size: 512
    .name:           _ZN2at6native12_GLOBAL__N_125multi_tensor_apply_kernelINS1_28TensorListScalarListMetadataIfLi2EEENS1_25BinaryOpScalarListFunctorIN3c108BFloat16ELi2ELi1ELi1EEEJSt10multipliesIfEEEEvT_T0_DpT1_
    .private_segment_fixed_size: 0
    .sgpr_count:     24
    .sgpr_spill_count: 0
    .symbol:         _ZN2at6native12_GLOBAL__N_125multi_tensor_apply_kernelINS1_28TensorListScalarListMetadataIfLi2EEENS1_25BinaryOpScalarListFunctorIN3c108BFloat16ELi2ELi1ELi1EEEJSt10multipliesIfEEEEvT_T0_DpT1_.kd
    .uniform_work_group_size: 1
    .uses_dynamic_stack: false
    .vgpr_count:     30
    .vgpr_spill_count: 0
    .wavefront_size: 32
    .workgroup_processor_mode: 1
  - .args:
      - .offset:         0
        .size:           3232
        .value_kind:     by_value
      - .offset:         3232
        .size:           1
        .value_kind:     by_value
      - .offset:         3233
        .size:           1
        .value_kind:     by_value
      - .offset:         3240
        .size:           4
        .value_kind:     hidden_block_count_x
      - .offset:         3244
        .size:           4
        .value_kind:     hidden_block_count_y
      - .offset:         3248
        .size:           4
        .value_kind:     hidden_block_count_z
      - .offset:         3252
        .size:           2
        .value_kind:     hidden_group_size_x
      - .offset:         3254
        .size:           2
        .value_kind:     hidden_group_size_y
      - .offset:         3256
        .size:           2
        .value_kind:     hidden_group_size_z
      - .offset:         3258
        .size:           2
        .value_kind:     hidden_remainder_x
      - .offset:         3260
        .size:           2
        .value_kind:     hidden_remainder_y
      - .offset:         3262
        .size:           2
        .value_kind:     hidden_remainder_z
      - .offset:         3280
        .size:           8
        .value_kind:     hidden_global_offset_x
      - .offset:         3288
        .size:           8
        .value_kind:     hidden_global_offset_y
      - .offset:         3296
        .size:           8
        .value_kind:     hidden_global_offset_z
      - .offset:         3304
        .size:           2
        .value_kind:     hidden_grid_dims
    .group_segment_fixed_size: 0
    .kernarg_segment_align: 8
    .kernarg_segment_size: 3496
    .language:       OpenCL C
    .language_version:
      - 2
      - 0
    .max_flat_workgroup_size: 512
    .name:           _ZN2at6native12_GLOBAL__N_125multi_tensor_apply_kernelINS1_28TensorListScalarListMetadataIhLi1EEENS1_25BinaryOpScalarListFunctorIhLi1ELi1ELi0EEEJSt7dividesIhEEEEvT_T0_DpT1_
    .private_segment_fixed_size: 0
    .sgpr_count:     20
    .sgpr_spill_count: 0
    .symbol:         _ZN2at6native12_GLOBAL__N_125multi_tensor_apply_kernelINS1_28TensorListScalarListMetadataIhLi1EEENS1_25BinaryOpScalarListFunctorIhLi1ELi1ELi0EEEJSt7dividesIhEEEEvT_T0_DpT1_.kd
    .uniform_work_group_size: 1
    .uses_dynamic_stack: false
    .vgpr_count:     25
    .vgpr_spill_count: 0
    .wavefront_size: 32
    .workgroup_processor_mode: 1
  - .args:
      - .offset:         0
        .size:           3232
        .value_kind:     by_value
      - .offset:         3232
        .size:           1
        .value_kind:     by_value
      - .offset:         3233
        .size:           1
        .value_kind:     by_value
      - .offset:         3240
        .size:           4
        .value_kind:     hidden_block_count_x
      - .offset:         3244
        .size:           4
        .value_kind:     hidden_block_count_y
      - .offset:         3248
        .size:           4
        .value_kind:     hidden_block_count_z
      - .offset:         3252
        .size:           2
        .value_kind:     hidden_group_size_x
      - .offset:         3254
        .size:           2
        .value_kind:     hidden_group_size_y
      - .offset:         3256
        .size:           2
        .value_kind:     hidden_group_size_z
      - .offset:         3258
        .size:           2
        .value_kind:     hidden_remainder_x
      - .offset:         3260
        .size:           2
        .value_kind:     hidden_remainder_y
      - .offset:         3262
        .size:           2
        .value_kind:     hidden_remainder_z
      - .offset:         3280
        .size:           8
        .value_kind:     hidden_global_offset_x
      - .offset:         3288
        .size:           8
        .value_kind:     hidden_global_offset_y
      - .offset:         3296
        .size:           8
        .value_kind:     hidden_global_offset_z
      - .offset:         3304
        .size:           2
        .value_kind:     hidden_grid_dims
    .group_segment_fixed_size: 0
    .kernarg_segment_align: 8
    .kernarg_segment_size: 3496
    .language:       OpenCL C
    .language_version:
      - 2
      - 0
    .max_flat_workgroup_size: 512
    .name:           _ZN2at6native12_GLOBAL__N_125multi_tensor_apply_kernelINS1_28TensorListScalarListMetadataIaLi1EEENS1_25BinaryOpScalarListFunctorIaLi1ELi1ELi0EEEJSt7dividesIaEEEEvT_T0_DpT1_
    .private_segment_fixed_size: 0
    .sgpr_count:     20
    .sgpr_spill_count: 0
    .symbol:         _ZN2at6native12_GLOBAL__N_125multi_tensor_apply_kernelINS1_28TensorListScalarListMetadataIaLi1EEENS1_25BinaryOpScalarListFunctorIaLi1ELi1ELi0EEEJSt7dividesIaEEEEvT_T0_DpT1_.kd
    .uniform_work_group_size: 1
    .uses_dynamic_stack: false
    .vgpr_count:     26
    .vgpr_spill_count: 0
    .wavefront_size: 32
    .workgroup_processor_mode: 1
  - .args:
      - .offset:         0
        .size:           3520
        .value_kind:     by_value
      - .offset:         3520
        .size:           1
        .value_kind:     by_value
      - .offset:         3521
        .size:           1
        .value_kind:     by_value
      - .offset:         3528
        .size:           4
        .value_kind:     hidden_block_count_x
      - .offset:         3532
        .size:           4
        .value_kind:     hidden_block_count_y
      - .offset:         3536
        .size:           4
        .value_kind:     hidden_block_count_z
      - .offset:         3540
        .size:           2
        .value_kind:     hidden_group_size_x
      - .offset:         3542
        .size:           2
        .value_kind:     hidden_group_size_y
      - .offset:         3544
        .size:           2
        .value_kind:     hidden_group_size_z
      - .offset:         3546
        .size:           2
        .value_kind:     hidden_remainder_x
      - .offset:         3548
        .size:           2
        .value_kind:     hidden_remainder_y
      - .offset:         3550
        .size:           2
        .value_kind:     hidden_remainder_z
      - .offset:         3568
        .size:           8
        .value_kind:     hidden_global_offset_x
      - .offset:         3576
        .size:           8
        .value_kind:     hidden_global_offset_y
      - .offset:         3584
        .size:           8
        .value_kind:     hidden_global_offset_z
      - .offset:         3592
        .size:           2
        .value_kind:     hidden_grid_dims
    .group_segment_fixed_size: 0
    .kernarg_segment_align: 8
    .kernarg_segment_size: 3784
    .language:       OpenCL C
    .language_version:
      - 2
      - 0
    .max_flat_workgroup_size: 512
    .name:           _ZN2at6native12_GLOBAL__N_125multi_tensor_apply_kernelINS1_28TensorListScalarListMetadataIiLi1EEENS1_25BinaryOpScalarListFunctorIiLi1ELi1ELi0EEEJSt7dividesIiEEEEvT_T0_DpT1_
    .private_segment_fixed_size: 0
    .sgpr_count:     26
    .sgpr_spill_count: 0
    .symbol:         _ZN2at6native12_GLOBAL__N_125multi_tensor_apply_kernelINS1_28TensorListScalarListMetadataIiLi1EEENS1_25BinaryOpScalarListFunctorIiLi1ELi1ELi0EEEJSt7dividesIiEEEEvT_T0_DpT1_.kd
    .uniform_work_group_size: 1
    .uses_dynamic_stack: false
    .vgpr_count:     24
    .vgpr_spill_count: 0
    .wavefront_size: 32
    .workgroup_processor_mode: 1
  - .args:
      - .offset:         0
        .size:           3904
        .value_kind:     by_value
      - .offset:         3904
        .size:           1
        .value_kind:     by_value
      - .offset:         3905
        .size:           1
        .value_kind:     by_value
      - .offset:         3912
        .size:           4
        .value_kind:     hidden_block_count_x
      - .offset:         3916
        .size:           4
        .value_kind:     hidden_block_count_y
      - .offset:         3920
        .size:           4
        .value_kind:     hidden_block_count_z
      - .offset:         3924
        .size:           2
        .value_kind:     hidden_group_size_x
      - .offset:         3926
        .size:           2
        .value_kind:     hidden_group_size_y
      - .offset:         3928
        .size:           2
        .value_kind:     hidden_group_size_z
      - .offset:         3930
        .size:           2
        .value_kind:     hidden_remainder_x
      - .offset:         3932
        .size:           2
        .value_kind:     hidden_remainder_y
      - .offset:         3934
        .size:           2
        .value_kind:     hidden_remainder_z
      - .offset:         3952
        .size:           8
        .value_kind:     hidden_global_offset_x
      - .offset:         3960
        .size:           8
        .value_kind:     hidden_global_offset_y
      - .offset:         3968
        .size:           8
        .value_kind:     hidden_global_offset_z
      - .offset:         3976
        .size:           2
        .value_kind:     hidden_grid_dims
    .group_segment_fixed_size: 0
    .kernarg_segment_align: 8
    .kernarg_segment_size: 4168
    .language:       OpenCL C
    .language_version:
      - 2
      - 0
    .max_flat_workgroup_size: 512
    .name:           _ZN2at6native12_GLOBAL__N_125multi_tensor_apply_kernelINS1_28TensorListScalarListMetadataIlLi1EEENS1_25BinaryOpScalarListFunctorIlLi1ELi1ELi0EEEJSt7dividesIlEEEEvT_T0_DpT1_
    .private_segment_fixed_size: 0
    .sgpr_count:     30
    .sgpr_spill_count: 0
    .symbol:         _ZN2at6native12_GLOBAL__N_125multi_tensor_apply_kernelINS1_28TensorListScalarListMetadataIlLi1EEENS1_25BinaryOpScalarListFunctorIlLi1ELi1ELi0EEEJSt7dividesIlEEEEvT_T0_DpT1_.kd
    .uniform_work_group_size: 1
    .uses_dynamic_stack: false
    .vgpr_count:     31
    .vgpr_spill_count: 0
    .wavefront_size: 32
    .workgroup_processor_mode: 1
  - .args:
      - .offset:         0
        .size:           3328
        .value_kind:     by_value
      - .offset:         3328
        .size:           1
        .value_kind:     by_value
      - .offset:         3329
        .size:           1
        .value_kind:     by_value
      - .offset:         3336
        .size:           4
        .value_kind:     hidden_block_count_x
      - .offset:         3340
        .size:           4
        .value_kind:     hidden_block_count_y
      - .offset:         3344
        .size:           4
        .value_kind:     hidden_block_count_z
      - .offset:         3348
        .size:           2
        .value_kind:     hidden_group_size_x
      - .offset:         3350
        .size:           2
        .value_kind:     hidden_group_size_y
      - .offset:         3352
        .size:           2
        .value_kind:     hidden_group_size_z
      - .offset:         3354
        .size:           2
        .value_kind:     hidden_remainder_x
      - .offset:         3356
        .size:           2
        .value_kind:     hidden_remainder_y
      - .offset:         3358
        .size:           2
        .value_kind:     hidden_remainder_z
      - .offset:         3376
        .size:           8
        .value_kind:     hidden_global_offset_x
      - .offset:         3384
        .size:           8
        .value_kind:     hidden_global_offset_y
      - .offset:         3392
        .size:           8
        .value_kind:     hidden_global_offset_z
      - .offset:         3400
        .size:           2
        .value_kind:     hidden_grid_dims
    .group_segment_fixed_size: 0
    .kernarg_segment_align: 8
    .kernarg_segment_size: 3592
    .language:       OpenCL C
    .language_version:
      - 2
      - 0
    .max_flat_workgroup_size: 512
    .name:           _ZN2at6native12_GLOBAL__N_125multi_tensor_apply_kernelINS1_28TensorListScalarListMetadataIsLi1EEENS1_25BinaryOpScalarListFunctorIsLi1ELi1ELi0EEEJSt7dividesIsEEEEvT_T0_DpT1_
    .private_segment_fixed_size: 0
    .sgpr_count:     22
    .sgpr_spill_count: 0
    .symbol:         _ZN2at6native12_GLOBAL__N_125multi_tensor_apply_kernelINS1_28TensorListScalarListMetadataIsLi1EEENS1_25BinaryOpScalarListFunctorIsLi1ELi1ELi0EEEJSt7dividesIsEEEEvT_T0_DpT1_.kd
    .uniform_work_group_size: 1
    .uses_dynamic_stack: false
    .vgpr_count:     20
    .vgpr_spill_count: 0
    .wavefront_size: 32
    .workgroup_processor_mode: 1
  - .args:
      - .offset:         0
        .size:           3904
        .value_kind:     by_value
      - .offset:         3904
        .size:           1
        .value_kind:     by_value
      - .offset:         3905
        .size:           1
        .value_kind:     by_value
      - .offset:         3912
        .size:           4
        .value_kind:     hidden_block_count_x
      - .offset:         3916
        .size:           4
        .value_kind:     hidden_block_count_y
      - .offset:         3920
        .size:           4
        .value_kind:     hidden_block_count_z
      - .offset:         3924
        .size:           2
        .value_kind:     hidden_group_size_x
      - .offset:         3926
        .size:           2
        .value_kind:     hidden_group_size_y
      - .offset:         3928
        .size:           2
        .value_kind:     hidden_group_size_z
      - .offset:         3930
        .size:           2
        .value_kind:     hidden_remainder_x
      - .offset:         3932
        .size:           2
        .value_kind:     hidden_remainder_y
      - .offset:         3934
        .size:           2
        .value_kind:     hidden_remainder_z
      - .offset:         3952
        .size:           8
        .value_kind:     hidden_global_offset_x
      - .offset:         3960
        .size:           8
        .value_kind:     hidden_global_offset_y
      - .offset:         3968
        .size:           8
        .value_kind:     hidden_global_offset_z
      - .offset:         3976
        .size:           2
        .value_kind:     hidden_grid_dims
    .group_segment_fixed_size: 0
    .kernarg_segment_align: 8
    .kernarg_segment_size: 4168
    .language:       OpenCL C
    .language_version:
      - 2
      - 0
    .max_flat_workgroup_size: 512
    .name:           _ZN2at6native12_GLOBAL__N_125multi_tensor_apply_kernelINS1_28TensorListScalarListMetadataIdLi1EEENS1_25BinaryOpScalarListFunctorIdLi1ELi1ELi0EEEJSt7dividesIdEEEEvT_T0_DpT1_
    .private_segment_fixed_size: 0
    .sgpr_count:     25
    .sgpr_spill_count: 0
    .symbol:         _ZN2at6native12_GLOBAL__N_125multi_tensor_apply_kernelINS1_28TensorListScalarListMetadataIdLi1EEENS1_25BinaryOpScalarListFunctorIdLi1ELi1ELi0EEEJSt7dividesIdEEEEvT_T0_DpT1_.kd
    .uniform_work_group_size: 1
    .uses_dynamic_stack: false
    .vgpr_count:     45
    .vgpr_spill_count: 0
    .wavefront_size: 32
    .workgroup_processor_mode: 1
  - .args:
      - .offset:         0
        .size:           3520
        .value_kind:     by_value
      - .offset:         3520
        .size:           1
        .value_kind:     by_value
      - .offset:         3521
        .size:           1
        .value_kind:     by_value
      - .offset:         3528
        .size:           4
        .value_kind:     hidden_block_count_x
      - .offset:         3532
        .size:           4
        .value_kind:     hidden_block_count_y
      - .offset:         3536
        .size:           4
        .value_kind:     hidden_block_count_z
      - .offset:         3540
        .size:           2
        .value_kind:     hidden_group_size_x
      - .offset:         3542
        .size:           2
        .value_kind:     hidden_group_size_y
      - .offset:         3544
        .size:           2
        .value_kind:     hidden_group_size_z
      - .offset:         3546
        .size:           2
        .value_kind:     hidden_remainder_x
      - .offset:         3548
        .size:           2
        .value_kind:     hidden_remainder_y
      - .offset:         3550
        .size:           2
        .value_kind:     hidden_remainder_z
      - .offset:         3568
        .size:           8
        .value_kind:     hidden_global_offset_x
      - .offset:         3576
        .size:           8
        .value_kind:     hidden_global_offset_y
      - .offset:         3584
        .size:           8
        .value_kind:     hidden_global_offset_z
      - .offset:         3592
        .size:           2
        .value_kind:     hidden_grid_dims
    .group_segment_fixed_size: 0
    .kernarg_segment_align: 8
    .kernarg_segment_size: 3784
    .language:       OpenCL C
    .language_version:
      - 2
      - 0
    .max_flat_workgroup_size: 512
    .name:           _ZN2at6native12_GLOBAL__N_125multi_tensor_apply_kernelINS1_28TensorListScalarListMetadataIfLi1EEENS1_25BinaryOpScalarListFunctorIfLi1ELi1ELi0EEEJSt7dividesIfEEEEvT_T0_DpT1_
    .private_segment_fixed_size: 0
    .sgpr_count:     24
    .sgpr_spill_count: 0
    .symbol:         _ZN2at6native12_GLOBAL__N_125multi_tensor_apply_kernelINS1_28TensorListScalarListMetadataIfLi1EEENS1_25BinaryOpScalarListFunctorIfLi1ELi1ELi0EEEJSt7dividesIfEEEEvT_T0_DpT1_.kd
    .uniform_work_group_size: 1
    .uses_dynamic_stack: false
    .vgpr_count:     28
    .vgpr_spill_count: 0
    .wavefront_size: 32
    .workgroup_processor_mode: 1
  - .args:
      - .offset:         0
        .size:           3904
        .value_kind:     by_value
      - .offset:         3904
        .size:           1
        .value_kind:     by_value
      - .offset:         3905
        .size:           1
        .value_kind:     by_value
      - .offset:         3912
        .size:           4
        .value_kind:     hidden_block_count_x
      - .offset:         3916
        .size:           4
        .value_kind:     hidden_block_count_y
      - .offset:         3920
        .size:           4
        .value_kind:     hidden_block_count_z
      - .offset:         3924
        .size:           2
        .value_kind:     hidden_group_size_x
      - .offset:         3926
        .size:           2
        .value_kind:     hidden_group_size_y
      - .offset:         3928
        .size:           2
        .value_kind:     hidden_group_size_z
      - .offset:         3930
        .size:           2
        .value_kind:     hidden_remainder_x
      - .offset:         3932
        .size:           2
        .value_kind:     hidden_remainder_y
      - .offset:         3934
        .size:           2
        .value_kind:     hidden_remainder_z
      - .offset:         3952
        .size:           8
        .value_kind:     hidden_global_offset_x
      - .offset:         3960
        .size:           8
        .value_kind:     hidden_global_offset_y
      - .offset:         3968
        .size:           8
        .value_kind:     hidden_global_offset_z
      - .offset:         3976
        .size:           2
        .value_kind:     hidden_grid_dims
    .group_segment_fixed_size: 0
    .kernarg_segment_align: 16
    .kernarg_segment_size: 4168
    .language:       OpenCL C
    .language_version:
      - 2
      - 0
    .max_flat_workgroup_size: 512
    .name:           _ZN2at6native12_GLOBAL__N_125multi_tensor_apply_kernelINS1_28TensorListScalarListMetadataIN3c107complexIdEELi1EEENS1_25BinaryOpScalarListFunctorIS6_Li1ELi1ELi0EEEJSt7dividesIS6_EEEEvT_T0_DpT1_
    .private_segment_fixed_size: 0
    .sgpr_count:     33
    .sgpr_spill_count: 0
    .symbol:         _ZN2at6native12_GLOBAL__N_125multi_tensor_apply_kernelINS1_28TensorListScalarListMetadataIN3c107complexIdEELi1EEENS1_25BinaryOpScalarListFunctorIS6_Li1ELi1ELi0EEEJSt7dividesIS6_EEEEvT_T0_DpT1_.kd
    .uniform_work_group_size: 1
    .uses_dynamic_stack: false
    .vgpr_count:     53
    .vgpr_spill_count: 0
    .wavefront_size: 32
    .workgroup_processor_mode: 1
  - .args:
      - .offset:         0
        .size:           3904
        .value_kind:     by_value
      - .offset:         3904
        .size:           1
        .value_kind:     by_value
      - .offset:         3905
        .size:           1
        .value_kind:     by_value
      - .offset:         3912
        .size:           4
        .value_kind:     hidden_block_count_x
      - .offset:         3916
        .size:           4
        .value_kind:     hidden_block_count_y
      - .offset:         3920
        .size:           4
        .value_kind:     hidden_block_count_z
      - .offset:         3924
        .size:           2
        .value_kind:     hidden_group_size_x
      - .offset:         3926
        .size:           2
        .value_kind:     hidden_group_size_y
      - .offset:         3928
        .size:           2
        .value_kind:     hidden_group_size_z
      - .offset:         3930
        .size:           2
        .value_kind:     hidden_remainder_x
      - .offset:         3932
        .size:           2
        .value_kind:     hidden_remainder_y
      - .offset:         3934
        .size:           2
        .value_kind:     hidden_remainder_z
      - .offset:         3952
        .size:           8
        .value_kind:     hidden_global_offset_x
      - .offset:         3960
        .size:           8
        .value_kind:     hidden_global_offset_y
      - .offset:         3968
        .size:           8
        .value_kind:     hidden_global_offset_z
      - .offset:         3976
        .size:           2
        .value_kind:     hidden_grid_dims
    .group_segment_fixed_size: 0
    .kernarg_segment_align: 8
    .kernarg_segment_size: 4168
    .language:       OpenCL C
    .language_version:
      - 2
      - 0
    .max_flat_workgroup_size: 512
    .name:           _ZN2at6native12_GLOBAL__N_125multi_tensor_apply_kernelINS1_28TensorListScalarListMetadataIN3c107complexIfEELi1EEENS1_25BinaryOpScalarListFunctorIS6_Li1ELi1ELi0EEEJSt7dividesIS6_EEEEvT_T0_DpT1_
    .private_segment_fixed_size: 0
    .sgpr_count:     27
    .sgpr_spill_count: 0
    .symbol:         _ZN2at6native12_GLOBAL__N_125multi_tensor_apply_kernelINS1_28TensorListScalarListMetadataIN3c107complexIfEELi1EEENS1_25BinaryOpScalarListFunctorIS6_Li1ELi1ELi0EEEJSt7dividesIS6_EEEEvT_T0_DpT1_.kd
    .uniform_work_group_size: 1
    .uses_dynamic_stack: false
    .vgpr_count:     37
    .vgpr_spill_count: 0
    .wavefront_size: 32
    .workgroup_processor_mode: 1
  - .args:
      - .offset:         0
        .size:           3232
        .value_kind:     by_value
      - .offset:         3232
        .size:           1
        .value_kind:     by_value
      - .offset:         3233
        .size:           1
        .value_kind:     by_value
      - .offset:         3240
        .size:           4
        .value_kind:     hidden_block_count_x
      - .offset:         3244
        .size:           4
        .value_kind:     hidden_block_count_y
      - .offset:         3248
        .size:           4
        .value_kind:     hidden_block_count_z
      - .offset:         3252
        .size:           2
        .value_kind:     hidden_group_size_x
      - .offset:         3254
        .size:           2
        .value_kind:     hidden_group_size_y
      - .offset:         3256
        .size:           2
        .value_kind:     hidden_group_size_z
      - .offset:         3258
        .size:           2
        .value_kind:     hidden_remainder_x
      - .offset:         3260
        .size:           2
        .value_kind:     hidden_remainder_y
      - .offset:         3262
        .size:           2
        .value_kind:     hidden_remainder_z
      - .offset:         3280
        .size:           8
        .value_kind:     hidden_global_offset_x
      - .offset:         3288
        .size:           8
        .value_kind:     hidden_global_offset_y
      - .offset:         3296
        .size:           8
        .value_kind:     hidden_global_offset_z
      - .offset:         3304
        .size:           2
        .value_kind:     hidden_grid_dims
    .group_segment_fixed_size: 0
    .kernarg_segment_align: 8
    .kernarg_segment_size: 3496
    .language:       OpenCL C
    .language_version:
      - 2
      - 0
    .max_flat_workgroup_size: 512
    .name:           _ZN2at6native12_GLOBAL__N_125multi_tensor_apply_kernelINS1_28TensorListScalarListMetadataIbLi1EEENS1_25BinaryOpScalarListFunctorIbLi1ELi1ELi0EEEJSt7dividesIbEEEEvT_T0_DpT1_
    .private_segment_fixed_size: 0
    .sgpr_count:     18
    .sgpr_spill_count: 0
    .symbol:         _ZN2at6native12_GLOBAL__N_125multi_tensor_apply_kernelINS1_28TensorListScalarListMetadataIbLi1EEENS1_25BinaryOpScalarListFunctorIbLi1ELi1ELi0EEEJSt7dividesIbEEEEvT_T0_DpT1_.kd
    .uniform_work_group_size: 1
    .uses_dynamic_stack: false
    .vgpr_count:     21
    .vgpr_spill_count: 0
    .wavefront_size: 32
    .workgroup_processor_mode: 1
  - .args:
      - .offset:         0
        .size:           3520
        .value_kind:     by_value
      - .offset:         3520
        .size:           1
        .value_kind:     by_value
      - .offset:         3521
        .size:           1
        .value_kind:     by_value
      - .offset:         3528
        .size:           4
        .value_kind:     hidden_block_count_x
      - .offset:         3532
        .size:           4
        .value_kind:     hidden_block_count_y
      - .offset:         3536
        .size:           4
        .value_kind:     hidden_block_count_z
      - .offset:         3540
        .size:           2
        .value_kind:     hidden_group_size_x
      - .offset:         3542
        .size:           2
        .value_kind:     hidden_group_size_y
      - .offset:         3544
        .size:           2
        .value_kind:     hidden_group_size_z
      - .offset:         3546
        .size:           2
        .value_kind:     hidden_remainder_x
      - .offset:         3548
        .size:           2
        .value_kind:     hidden_remainder_y
      - .offset:         3550
        .size:           2
        .value_kind:     hidden_remainder_z
      - .offset:         3568
        .size:           8
        .value_kind:     hidden_global_offset_x
      - .offset:         3576
        .size:           8
        .value_kind:     hidden_global_offset_y
      - .offset:         3584
        .size:           8
        .value_kind:     hidden_global_offset_z
      - .offset:         3592
        .size:           2
        .value_kind:     hidden_grid_dims
    .group_segment_fixed_size: 0
    .kernarg_segment_align: 8
    .kernarg_segment_size: 3784
    .language:       OpenCL C
    .language_version:
      - 2
      - 0
    .max_flat_workgroup_size: 512
    .name:           _ZN2at6native12_GLOBAL__N_125multi_tensor_apply_kernelINS1_28TensorListScalarListMetadataIfLi1EEENS1_25BinaryOpScalarListFunctorIN3c104HalfELi1ELi1ELi0EEEJSt7dividesIfEEEEvT_T0_DpT1_
    .private_segment_fixed_size: 0
    .sgpr_count:     23
    .sgpr_spill_count: 0
    .symbol:         _ZN2at6native12_GLOBAL__N_125multi_tensor_apply_kernelINS1_28TensorListScalarListMetadataIfLi1EEENS1_25BinaryOpScalarListFunctorIN3c104HalfELi1ELi1ELi0EEEJSt7dividesIfEEEEvT_T0_DpT1_.kd
    .uniform_work_group_size: 1
    .uses_dynamic_stack: false
    .vgpr_count:     28
    .vgpr_spill_count: 0
    .wavefront_size: 32
    .workgroup_processor_mode: 1
  - .args:
      - .offset:         0
        .size:           3520
        .value_kind:     by_value
      - .offset:         3520
        .size:           1
        .value_kind:     by_value
      - .offset:         3521
        .size:           1
        .value_kind:     by_value
      - .offset:         3528
        .size:           4
        .value_kind:     hidden_block_count_x
      - .offset:         3532
        .size:           4
        .value_kind:     hidden_block_count_y
      - .offset:         3536
        .size:           4
        .value_kind:     hidden_block_count_z
      - .offset:         3540
        .size:           2
        .value_kind:     hidden_group_size_x
      - .offset:         3542
        .size:           2
        .value_kind:     hidden_group_size_y
      - .offset:         3544
        .size:           2
        .value_kind:     hidden_group_size_z
      - .offset:         3546
        .size:           2
        .value_kind:     hidden_remainder_x
      - .offset:         3548
        .size:           2
        .value_kind:     hidden_remainder_y
      - .offset:         3550
        .size:           2
        .value_kind:     hidden_remainder_z
      - .offset:         3568
        .size:           8
        .value_kind:     hidden_global_offset_x
      - .offset:         3576
        .size:           8
        .value_kind:     hidden_global_offset_y
      - .offset:         3584
        .size:           8
        .value_kind:     hidden_global_offset_z
      - .offset:         3592
        .size:           2
        .value_kind:     hidden_grid_dims
    .group_segment_fixed_size: 0
    .kernarg_segment_align: 8
    .kernarg_segment_size: 3784
    .language:       OpenCL C
    .language_version:
      - 2
      - 0
    .max_flat_workgroup_size: 512
    .name:           _ZN2at6native12_GLOBAL__N_125multi_tensor_apply_kernelINS1_28TensorListScalarListMetadataIfLi1EEENS1_25BinaryOpScalarListFunctorIN3c108BFloat16ELi1ELi1ELi0EEEJSt7dividesIfEEEEvT_T0_DpT1_
    .private_segment_fixed_size: 0
    .sgpr_count:     23
    .sgpr_spill_count: 0
    .symbol:         _ZN2at6native12_GLOBAL__N_125multi_tensor_apply_kernelINS1_28TensorListScalarListMetadataIfLi1EEENS1_25BinaryOpScalarListFunctorIN3c108BFloat16ELi1ELi1ELi0EEEJSt7dividesIfEEEEvT_T0_DpT1_.kd
    .uniform_work_group_size: 1
    .uses_dynamic_stack: false
    .vgpr_count:     27
    .vgpr_spill_count: 0
    .wavefront_size: 32
    .workgroup_processor_mode: 1
  - .args:
      - .offset:         0
        .size:           3200
        .value_kind:     by_value
      - .offset:         3200
        .size:           1
        .value_kind:     by_value
      - .offset:         3201
        .size:           1
        .value_kind:     by_value
      - .offset:         3208
        .size:           4
        .value_kind:     hidden_block_count_x
      - .offset:         3212
        .size:           4
        .value_kind:     hidden_block_count_y
      - .offset:         3216
        .size:           4
        .value_kind:     hidden_block_count_z
      - .offset:         3220
        .size:           2
        .value_kind:     hidden_group_size_x
      - .offset:         3222
        .size:           2
        .value_kind:     hidden_group_size_y
      - .offset:         3224
        .size:           2
        .value_kind:     hidden_group_size_z
      - .offset:         3226
        .size:           2
        .value_kind:     hidden_remainder_x
      - .offset:         3228
        .size:           2
        .value_kind:     hidden_remainder_y
      - .offset:         3230
        .size:           2
        .value_kind:     hidden_remainder_z
      - .offset:         3248
        .size:           8
        .value_kind:     hidden_global_offset_x
      - .offset:         3256
        .size:           8
        .value_kind:     hidden_global_offset_y
      - .offset:         3264
        .size:           8
        .value_kind:     hidden_global_offset_z
      - .offset:         3272
        .size:           2
        .value_kind:     hidden_grid_dims
    .group_segment_fixed_size: 0
    .kernarg_segment_align: 8
    .kernarg_segment_size: 3464
    .language:       OpenCL C
    .language_version:
      - 2
      - 0
    .max_flat_workgroup_size: 512
    .name:           _ZN2at6native12_GLOBAL__N_125multi_tensor_apply_kernelINS1_28TensorListScalarListMetadataIhLi2EEENS1_25BinaryOpScalarListFunctorIhLi2ELi1ELi1EEEJSt7dividesIhEEEEvT_T0_DpT1_
    .private_segment_fixed_size: 0
    .sgpr_count:     24
    .sgpr_spill_count: 0
    .symbol:         _ZN2at6native12_GLOBAL__N_125multi_tensor_apply_kernelINS1_28TensorListScalarListMetadataIhLi2EEENS1_25BinaryOpScalarListFunctorIhLi2ELi1ELi1EEEJSt7dividesIhEEEEvT_T0_DpT1_.kd
    .uniform_work_group_size: 1
    .uses_dynamic_stack: false
    .vgpr_count:     33
    .vgpr_spill_count: 0
    .wavefront_size: 32
    .workgroup_processor_mode: 1
  - .args:
      - .offset:         0
        .size:           3200
        .value_kind:     by_value
      - .offset:         3200
        .size:           1
        .value_kind:     by_value
      - .offset:         3201
        .size:           1
        .value_kind:     by_value
      - .offset:         3208
        .size:           4
        .value_kind:     hidden_block_count_x
      - .offset:         3212
        .size:           4
        .value_kind:     hidden_block_count_y
      - .offset:         3216
        .size:           4
        .value_kind:     hidden_block_count_z
      - .offset:         3220
        .size:           2
        .value_kind:     hidden_group_size_x
      - .offset:         3222
        .size:           2
        .value_kind:     hidden_group_size_y
      - .offset:         3224
        .size:           2
        .value_kind:     hidden_group_size_z
      - .offset:         3226
        .size:           2
        .value_kind:     hidden_remainder_x
      - .offset:         3228
        .size:           2
        .value_kind:     hidden_remainder_y
      - .offset:         3230
        .size:           2
        .value_kind:     hidden_remainder_z
      - .offset:         3248
        .size:           8
        .value_kind:     hidden_global_offset_x
      - .offset:         3256
        .size:           8
        .value_kind:     hidden_global_offset_y
      - .offset:         3264
        .size:           8
        .value_kind:     hidden_global_offset_z
      - .offset:         3272
        .size:           2
        .value_kind:     hidden_grid_dims
    .group_segment_fixed_size: 0
    .kernarg_segment_align: 8
    .kernarg_segment_size: 3464
    .language:       OpenCL C
    .language_version:
      - 2
      - 0
    .max_flat_workgroup_size: 512
    .name:           _ZN2at6native12_GLOBAL__N_125multi_tensor_apply_kernelINS1_28TensorListScalarListMetadataIaLi2EEENS1_25BinaryOpScalarListFunctorIaLi2ELi1ELi1EEEJSt7dividesIaEEEEvT_T0_DpT1_
    .private_segment_fixed_size: 0
    .sgpr_count:     24
    .sgpr_spill_count: 0
    .symbol:         _ZN2at6native12_GLOBAL__N_125multi_tensor_apply_kernelINS1_28TensorListScalarListMetadataIaLi2EEENS1_25BinaryOpScalarListFunctorIaLi2ELi1ELi1EEEJSt7dividesIaEEEEvT_T0_DpT1_.kd
    .uniform_work_group_size: 1
    .uses_dynamic_stack: false
    .vgpr_count:     34
    .vgpr_spill_count: 0
    .wavefront_size: 32
    .workgroup_processor_mode: 1
  - .args:
      - .offset:         0
        .size:           3392
        .value_kind:     by_value
      - .offset:         3392
        .size:           1
        .value_kind:     by_value
      - .offset:         3393
        .size:           1
        .value_kind:     by_value
      - .offset:         3400
        .size:           4
        .value_kind:     hidden_block_count_x
      - .offset:         3404
        .size:           4
        .value_kind:     hidden_block_count_y
      - .offset:         3408
        .size:           4
        .value_kind:     hidden_block_count_z
      - .offset:         3412
        .size:           2
        .value_kind:     hidden_group_size_x
      - .offset:         3414
        .size:           2
        .value_kind:     hidden_group_size_y
      - .offset:         3416
        .size:           2
        .value_kind:     hidden_group_size_z
      - .offset:         3418
        .size:           2
        .value_kind:     hidden_remainder_x
      - .offset:         3420
        .size:           2
        .value_kind:     hidden_remainder_y
      - .offset:         3422
        .size:           2
        .value_kind:     hidden_remainder_z
      - .offset:         3440
        .size:           8
        .value_kind:     hidden_global_offset_x
      - .offset:         3448
        .size:           8
        .value_kind:     hidden_global_offset_y
      - .offset:         3456
        .size:           8
        .value_kind:     hidden_global_offset_z
      - .offset:         3464
        .size:           2
        .value_kind:     hidden_grid_dims
    .group_segment_fixed_size: 0
    .kernarg_segment_align: 8
    .kernarg_segment_size: 3656
    .language:       OpenCL C
    .language_version:
      - 2
      - 0
    .max_flat_workgroup_size: 512
    .name:           _ZN2at6native12_GLOBAL__N_125multi_tensor_apply_kernelINS1_28TensorListScalarListMetadataIiLi2EEENS1_25BinaryOpScalarListFunctorIiLi2ELi1ELi1EEEJSt7dividesIiEEEEvT_T0_DpT1_
    .private_segment_fixed_size: 0
    .sgpr_count:     26
    .sgpr_spill_count: 0
    .symbol:         _ZN2at6native12_GLOBAL__N_125multi_tensor_apply_kernelINS1_28TensorListScalarListMetadataIiLi2EEENS1_25BinaryOpScalarListFunctorIiLi2ELi1ELi1EEEJSt7dividesIiEEEEvT_T0_DpT1_.kd
    .uniform_work_group_size: 1
    .uses_dynamic_stack: false
    .vgpr_count:     32
    .vgpr_spill_count: 0
    .wavefront_size: 32
    .workgroup_processor_mode: 1
  - .args:
      - .offset:         0
        .size:           3648
        .value_kind:     by_value
      - .offset:         3648
        .size:           1
        .value_kind:     by_value
      - .offset:         3649
        .size:           1
        .value_kind:     by_value
      - .offset:         3656
        .size:           4
        .value_kind:     hidden_block_count_x
      - .offset:         3660
        .size:           4
        .value_kind:     hidden_block_count_y
      - .offset:         3664
        .size:           4
        .value_kind:     hidden_block_count_z
      - .offset:         3668
        .size:           2
        .value_kind:     hidden_group_size_x
      - .offset:         3670
        .size:           2
        .value_kind:     hidden_group_size_y
      - .offset:         3672
        .size:           2
        .value_kind:     hidden_group_size_z
      - .offset:         3674
        .size:           2
        .value_kind:     hidden_remainder_x
      - .offset:         3676
        .size:           2
        .value_kind:     hidden_remainder_y
      - .offset:         3678
        .size:           2
        .value_kind:     hidden_remainder_z
      - .offset:         3696
        .size:           8
        .value_kind:     hidden_global_offset_x
      - .offset:         3704
        .size:           8
        .value_kind:     hidden_global_offset_y
      - .offset:         3712
        .size:           8
        .value_kind:     hidden_global_offset_z
      - .offset:         3720
        .size:           2
        .value_kind:     hidden_grid_dims
    .group_segment_fixed_size: 0
    .kernarg_segment_align: 8
    .kernarg_segment_size: 3912
    .language:       OpenCL C
    .language_version:
      - 2
      - 0
    .max_flat_workgroup_size: 512
    .name:           _ZN2at6native12_GLOBAL__N_125multi_tensor_apply_kernelINS1_28TensorListScalarListMetadataIlLi2EEENS1_25BinaryOpScalarListFunctorIlLi2ELi1ELi1EEEJSt7dividesIlEEEEvT_T0_DpT1_
    .private_segment_fixed_size: 0
    .sgpr_count:     31
    .sgpr_spill_count: 0
    .symbol:         _ZN2at6native12_GLOBAL__N_125multi_tensor_apply_kernelINS1_28TensorListScalarListMetadataIlLi2EEENS1_25BinaryOpScalarListFunctorIlLi2ELi1ELi1EEEJSt7dividesIlEEEEvT_T0_DpT1_.kd
    .uniform_work_group_size: 1
    .uses_dynamic_stack: false
    .vgpr_count:     42
    .vgpr_spill_count: 0
    .wavefront_size: 32
    .workgroup_processor_mode: 1
  - .args:
      - .offset:         0
        .size:           3264
        .value_kind:     by_value
      - .offset:         3264
        .size:           1
        .value_kind:     by_value
      - .offset:         3265
        .size:           1
        .value_kind:     by_value
      - .offset:         3272
        .size:           4
        .value_kind:     hidden_block_count_x
      - .offset:         3276
        .size:           4
        .value_kind:     hidden_block_count_y
      - .offset:         3280
        .size:           4
        .value_kind:     hidden_block_count_z
      - .offset:         3284
        .size:           2
        .value_kind:     hidden_group_size_x
      - .offset:         3286
        .size:           2
        .value_kind:     hidden_group_size_y
      - .offset:         3288
        .size:           2
        .value_kind:     hidden_group_size_z
      - .offset:         3290
        .size:           2
        .value_kind:     hidden_remainder_x
      - .offset:         3292
        .size:           2
        .value_kind:     hidden_remainder_y
      - .offset:         3294
        .size:           2
        .value_kind:     hidden_remainder_z
      - .offset:         3312
        .size:           8
        .value_kind:     hidden_global_offset_x
      - .offset:         3320
        .size:           8
        .value_kind:     hidden_global_offset_y
      - .offset:         3328
        .size:           8
        .value_kind:     hidden_global_offset_z
      - .offset:         3336
        .size:           2
        .value_kind:     hidden_grid_dims
    .group_segment_fixed_size: 0
    .kernarg_segment_align: 8
    .kernarg_segment_size: 3528
    .language:       OpenCL C
    .language_version:
      - 2
      - 0
    .max_flat_workgroup_size: 512
    .name:           _ZN2at6native12_GLOBAL__N_125multi_tensor_apply_kernelINS1_28TensorListScalarListMetadataIsLi2EEENS1_25BinaryOpScalarListFunctorIsLi2ELi1ELi1EEEJSt7dividesIsEEEEvT_T0_DpT1_
    .private_segment_fixed_size: 0
    .sgpr_count:     23
    .sgpr_spill_count: 0
    .symbol:         _ZN2at6native12_GLOBAL__N_125multi_tensor_apply_kernelINS1_28TensorListScalarListMetadataIsLi2EEENS1_25BinaryOpScalarListFunctorIsLi2ELi1ELi1EEEJSt7dividesIsEEEEvT_T0_DpT1_.kd
    .uniform_work_group_size: 1
    .uses_dynamic_stack: false
    .vgpr_count:     33
    .vgpr_spill_count: 0
    .wavefront_size: 32
    .workgroup_processor_mode: 1
  - .args:
      - .offset:         0
        .size:           3648
        .value_kind:     by_value
      - .offset:         3648
        .size:           1
        .value_kind:     by_value
      - .offset:         3649
        .size:           1
        .value_kind:     by_value
      - .offset:         3656
        .size:           4
        .value_kind:     hidden_block_count_x
      - .offset:         3660
        .size:           4
        .value_kind:     hidden_block_count_y
      - .offset:         3664
        .size:           4
        .value_kind:     hidden_block_count_z
      - .offset:         3668
        .size:           2
        .value_kind:     hidden_group_size_x
      - .offset:         3670
        .size:           2
        .value_kind:     hidden_group_size_y
      - .offset:         3672
        .size:           2
        .value_kind:     hidden_group_size_z
      - .offset:         3674
        .size:           2
        .value_kind:     hidden_remainder_x
      - .offset:         3676
        .size:           2
        .value_kind:     hidden_remainder_y
      - .offset:         3678
        .size:           2
        .value_kind:     hidden_remainder_z
      - .offset:         3696
        .size:           8
        .value_kind:     hidden_global_offset_x
      - .offset:         3704
        .size:           8
        .value_kind:     hidden_global_offset_y
      - .offset:         3712
        .size:           8
        .value_kind:     hidden_global_offset_z
      - .offset:         3720
        .size:           2
        .value_kind:     hidden_grid_dims
    .group_segment_fixed_size: 0
    .kernarg_segment_align: 8
    .kernarg_segment_size: 3912
    .language:       OpenCL C
    .language_version:
      - 2
      - 0
    .max_flat_workgroup_size: 512
    .name:           _ZN2at6native12_GLOBAL__N_125multi_tensor_apply_kernelINS1_28TensorListScalarListMetadataIdLi2EEENS1_25BinaryOpScalarListFunctorIdLi2ELi1ELi1EEEJSt7dividesIdEEEEvT_T0_DpT1_
    .private_segment_fixed_size: 0
    .sgpr_count:     26
    .sgpr_spill_count: 0
    .symbol:         _ZN2at6native12_GLOBAL__N_125multi_tensor_apply_kernelINS1_28TensorListScalarListMetadataIdLi2EEENS1_25BinaryOpScalarListFunctorIdLi2ELi1ELi1EEEJSt7dividesIdEEEEvT_T0_DpT1_.kd
    .uniform_work_group_size: 1
    .uses_dynamic_stack: false
    .vgpr_count:     43
    .vgpr_spill_count: 0
    .wavefront_size: 32
    .workgroup_processor_mode: 1
  - .args:
      - .offset:         0
        .size:           3392
        .value_kind:     by_value
      - .offset:         3392
        .size:           1
        .value_kind:     by_value
      - .offset:         3393
        .size:           1
        .value_kind:     by_value
      - .offset:         3400
        .size:           4
        .value_kind:     hidden_block_count_x
      - .offset:         3404
        .size:           4
        .value_kind:     hidden_block_count_y
      - .offset:         3408
        .size:           4
        .value_kind:     hidden_block_count_z
      - .offset:         3412
        .size:           2
        .value_kind:     hidden_group_size_x
      - .offset:         3414
        .size:           2
        .value_kind:     hidden_group_size_y
      - .offset:         3416
        .size:           2
        .value_kind:     hidden_group_size_z
      - .offset:         3418
        .size:           2
        .value_kind:     hidden_remainder_x
      - .offset:         3420
        .size:           2
        .value_kind:     hidden_remainder_y
      - .offset:         3422
        .size:           2
        .value_kind:     hidden_remainder_z
      - .offset:         3440
        .size:           8
        .value_kind:     hidden_global_offset_x
      - .offset:         3448
        .size:           8
        .value_kind:     hidden_global_offset_y
      - .offset:         3456
        .size:           8
        .value_kind:     hidden_global_offset_z
      - .offset:         3464
        .size:           2
        .value_kind:     hidden_grid_dims
    .group_segment_fixed_size: 0
    .kernarg_segment_align: 8
    .kernarg_segment_size: 3656
    .language:       OpenCL C
    .language_version:
      - 2
      - 0
    .max_flat_workgroup_size: 512
    .name:           _ZN2at6native12_GLOBAL__N_125multi_tensor_apply_kernelINS1_28TensorListScalarListMetadataIfLi2EEENS1_25BinaryOpScalarListFunctorIfLi2ELi1ELi1EEEJSt7dividesIfEEEEvT_T0_DpT1_
    .private_segment_fixed_size: 0
    .sgpr_count:     24
    .sgpr_spill_count: 0
    .symbol:         _ZN2at6native12_GLOBAL__N_125multi_tensor_apply_kernelINS1_28TensorListScalarListMetadataIfLi2EEENS1_25BinaryOpScalarListFunctorIfLi2ELi1ELi1EEEJSt7dividesIfEEEEvT_T0_DpT1_.kd
    .uniform_work_group_size: 1
    .uses_dynamic_stack: false
    .vgpr_count:     32
    .vgpr_spill_count: 0
    .wavefront_size: 32
    .workgroup_processor_mode: 1
  - .args:
      - .offset:         0
        .size:           4000
        .value_kind:     by_value
      - .offset:         4000
        .size:           1
        .value_kind:     by_value
      - .offset:         4001
        .size:           1
        .value_kind:     by_value
      - .offset:         4008
        .size:           4
        .value_kind:     hidden_block_count_x
      - .offset:         4012
        .size:           4
        .value_kind:     hidden_block_count_y
      - .offset:         4016
        .size:           4
        .value_kind:     hidden_block_count_z
      - .offset:         4020
        .size:           2
        .value_kind:     hidden_group_size_x
      - .offset:         4022
        .size:           2
        .value_kind:     hidden_group_size_y
      - .offset:         4024
        .size:           2
        .value_kind:     hidden_group_size_z
      - .offset:         4026
        .size:           2
        .value_kind:     hidden_remainder_x
      - .offset:         4028
        .size:           2
        .value_kind:     hidden_remainder_y
      - .offset:         4030
        .size:           2
        .value_kind:     hidden_remainder_z
      - .offset:         4048
        .size:           8
        .value_kind:     hidden_global_offset_x
      - .offset:         4056
        .size:           8
        .value_kind:     hidden_global_offset_y
      - .offset:         4064
        .size:           8
        .value_kind:     hidden_global_offset_z
      - .offset:         4072
        .size:           2
        .value_kind:     hidden_grid_dims
    .group_segment_fixed_size: 0
    .kernarg_segment_align: 16
    .kernarg_segment_size: 4264
    .language:       OpenCL C
    .language_version:
      - 2
      - 0
    .max_flat_workgroup_size: 512
    .name:           _ZN2at6native12_GLOBAL__N_125multi_tensor_apply_kernelINS1_28TensorListScalarListMetadataIN3c107complexIdEELi2EEENS1_25BinaryOpScalarListFunctorIS6_Li2ELi1ELi1EEEJSt7dividesIS6_EEEEvT_T0_DpT1_
    .private_segment_fixed_size: 0
    .sgpr_count:     38
    .sgpr_spill_count: 0
    .symbol:         _ZN2at6native12_GLOBAL__N_125multi_tensor_apply_kernelINS1_28TensorListScalarListMetadataIN3c107complexIdEELi2EEENS1_25BinaryOpScalarListFunctorIS6_Li2ELi1ELi1EEEJSt7dividesIS6_EEEEvT_T0_DpT1_.kd
    .uniform_work_group_size: 1
    .uses_dynamic_stack: false
    .vgpr_count:     59
    .vgpr_spill_count: 0
    .wavefront_size: 32
    .workgroup_processor_mode: 1
  - .args:
      - .offset:         0
        .size:           3648
        .value_kind:     by_value
      - .offset:         3648
        .size:           1
        .value_kind:     by_value
      - .offset:         3649
        .size:           1
        .value_kind:     by_value
      - .offset:         3656
        .size:           4
        .value_kind:     hidden_block_count_x
      - .offset:         3660
        .size:           4
        .value_kind:     hidden_block_count_y
      - .offset:         3664
        .size:           4
        .value_kind:     hidden_block_count_z
      - .offset:         3668
        .size:           2
        .value_kind:     hidden_group_size_x
      - .offset:         3670
        .size:           2
        .value_kind:     hidden_group_size_y
      - .offset:         3672
        .size:           2
        .value_kind:     hidden_group_size_z
      - .offset:         3674
        .size:           2
        .value_kind:     hidden_remainder_x
      - .offset:         3676
        .size:           2
        .value_kind:     hidden_remainder_y
      - .offset:         3678
        .size:           2
        .value_kind:     hidden_remainder_z
      - .offset:         3696
        .size:           8
        .value_kind:     hidden_global_offset_x
      - .offset:         3704
        .size:           8
        .value_kind:     hidden_global_offset_y
      - .offset:         3712
        .size:           8
        .value_kind:     hidden_global_offset_z
      - .offset:         3720
        .size:           2
        .value_kind:     hidden_grid_dims
    .group_segment_fixed_size: 0
    .kernarg_segment_align: 8
    .kernarg_segment_size: 3912
    .language:       OpenCL C
    .language_version:
      - 2
      - 0
    .max_flat_workgroup_size: 512
    .name:           _ZN2at6native12_GLOBAL__N_125multi_tensor_apply_kernelINS1_28TensorListScalarListMetadataIN3c107complexIfEELi2EEENS1_25BinaryOpScalarListFunctorIS6_Li2ELi1ELi1EEEJSt7dividesIS6_EEEEvT_T0_DpT1_
    .private_segment_fixed_size: 0
    .sgpr_count:     31
    .sgpr_spill_count: 0
    .symbol:         _ZN2at6native12_GLOBAL__N_125multi_tensor_apply_kernelINS1_28TensorListScalarListMetadataIN3c107complexIfEELi2EEENS1_25BinaryOpScalarListFunctorIS6_Li2ELi1ELi1EEEJSt7dividesIS6_EEEEvT_T0_DpT1_.kd
    .uniform_work_group_size: 1
    .uses_dynamic_stack: false
    .vgpr_count:     43
    .vgpr_spill_count: 0
    .wavefront_size: 32
    .workgroup_processor_mode: 1
  - .args:
      - .offset:         0
        .size:           3200
        .value_kind:     by_value
      - .offset:         3200
        .size:           1
        .value_kind:     by_value
      - .offset:         3201
        .size:           1
        .value_kind:     by_value
      - .offset:         3208
        .size:           4
        .value_kind:     hidden_block_count_x
      - .offset:         3212
        .size:           4
        .value_kind:     hidden_block_count_y
      - .offset:         3216
        .size:           4
        .value_kind:     hidden_block_count_z
      - .offset:         3220
        .size:           2
        .value_kind:     hidden_group_size_x
      - .offset:         3222
        .size:           2
        .value_kind:     hidden_group_size_y
      - .offset:         3224
        .size:           2
        .value_kind:     hidden_group_size_z
      - .offset:         3226
        .size:           2
        .value_kind:     hidden_remainder_x
      - .offset:         3228
        .size:           2
        .value_kind:     hidden_remainder_y
      - .offset:         3230
        .size:           2
        .value_kind:     hidden_remainder_z
      - .offset:         3248
        .size:           8
        .value_kind:     hidden_global_offset_x
      - .offset:         3256
        .size:           8
        .value_kind:     hidden_global_offset_y
      - .offset:         3264
        .size:           8
        .value_kind:     hidden_global_offset_z
      - .offset:         3272
        .size:           2
        .value_kind:     hidden_grid_dims
    .group_segment_fixed_size: 0
    .kernarg_segment_align: 8
    .kernarg_segment_size: 3464
    .language:       OpenCL C
    .language_version:
      - 2
      - 0
    .max_flat_workgroup_size: 512
    .name:           _ZN2at6native12_GLOBAL__N_125multi_tensor_apply_kernelINS1_28TensorListScalarListMetadataIbLi2EEENS1_25BinaryOpScalarListFunctorIbLi2ELi1ELi1EEEJSt7dividesIbEEEEvT_T0_DpT1_
    .private_segment_fixed_size: 0
    .sgpr_count:     24
    .sgpr_spill_count: 0
    .symbol:         _ZN2at6native12_GLOBAL__N_125multi_tensor_apply_kernelINS1_28TensorListScalarListMetadataIbLi2EEENS1_25BinaryOpScalarListFunctorIbLi2ELi1ELi1EEEJSt7dividesIbEEEEvT_T0_DpT1_.kd
    .uniform_work_group_size: 1
    .uses_dynamic_stack: false
    .vgpr_count:     29
    .vgpr_spill_count: 0
    .wavefront_size: 32
    .workgroup_processor_mode: 1
  - .args:
      - .offset:         0
        .size:           3392
        .value_kind:     by_value
      - .offset:         3392
        .size:           1
        .value_kind:     by_value
      - .offset:         3393
        .size:           1
        .value_kind:     by_value
      - .offset:         3400
        .size:           4
        .value_kind:     hidden_block_count_x
      - .offset:         3404
        .size:           4
        .value_kind:     hidden_block_count_y
      - .offset:         3408
        .size:           4
        .value_kind:     hidden_block_count_z
      - .offset:         3412
        .size:           2
        .value_kind:     hidden_group_size_x
      - .offset:         3414
        .size:           2
        .value_kind:     hidden_group_size_y
      - .offset:         3416
        .size:           2
        .value_kind:     hidden_group_size_z
      - .offset:         3418
        .size:           2
        .value_kind:     hidden_remainder_x
      - .offset:         3420
        .size:           2
        .value_kind:     hidden_remainder_y
      - .offset:         3422
        .size:           2
        .value_kind:     hidden_remainder_z
      - .offset:         3440
        .size:           8
        .value_kind:     hidden_global_offset_x
      - .offset:         3448
        .size:           8
        .value_kind:     hidden_global_offset_y
      - .offset:         3456
        .size:           8
        .value_kind:     hidden_global_offset_z
      - .offset:         3464
        .size:           2
        .value_kind:     hidden_grid_dims
    .group_segment_fixed_size: 0
    .kernarg_segment_align: 8
    .kernarg_segment_size: 3656
    .language:       OpenCL C
    .language_version:
      - 2
      - 0
    .max_flat_workgroup_size: 512
    .name:           _ZN2at6native12_GLOBAL__N_125multi_tensor_apply_kernelINS1_28TensorListScalarListMetadataIfLi2EEENS1_25BinaryOpScalarListFunctorIN3c104HalfELi2ELi1ELi1EEEJSt7dividesIfEEEEvT_T0_DpT1_
    .private_segment_fixed_size: 0
    .sgpr_count:     24
    .sgpr_spill_count: 0
    .symbol:         _ZN2at6native12_GLOBAL__N_125multi_tensor_apply_kernelINS1_28TensorListScalarListMetadataIfLi2EEENS1_25BinaryOpScalarListFunctorIN3c104HalfELi2ELi1ELi1EEEJSt7dividesIfEEEEvT_T0_DpT1_.kd
    .uniform_work_group_size: 1
    .uses_dynamic_stack: false
    .vgpr_count:     32
    .vgpr_spill_count: 0
    .wavefront_size: 32
    .workgroup_processor_mode: 1
  - .args:
      - .offset:         0
        .size:           3392
        .value_kind:     by_value
      - .offset:         3392
        .size:           1
        .value_kind:     by_value
      - .offset:         3393
        .size:           1
        .value_kind:     by_value
      - .offset:         3400
        .size:           4
        .value_kind:     hidden_block_count_x
      - .offset:         3404
        .size:           4
        .value_kind:     hidden_block_count_y
      - .offset:         3408
        .size:           4
        .value_kind:     hidden_block_count_z
      - .offset:         3412
        .size:           2
        .value_kind:     hidden_group_size_x
      - .offset:         3414
        .size:           2
        .value_kind:     hidden_group_size_y
      - .offset:         3416
        .size:           2
        .value_kind:     hidden_group_size_z
      - .offset:         3418
        .size:           2
        .value_kind:     hidden_remainder_x
      - .offset:         3420
        .size:           2
        .value_kind:     hidden_remainder_y
      - .offset:         3422
        .size:           2
        .value_kind:     hidden_remainder_z
      - .offset:         3440
        .size:           8
        .value_kind:     hidden_global_offset_x
      - .offset:         3448
        .size:           8
        .value_kind:     hidden_global_offset_y
      - .offset:         3456
        .size:           8
        .value_kind:     hidden_global_offset_z
      - .offset:         3464
        .size:           2
        .value_kind:     hidden_grid_dims
    .group_segment_fixed_size: 0
    .kernarg_segment_align: 8
    .kernarg_segment_size: 3656
    .language:       OpenCL C
    .language_version:
      - 2
      - 0
    .max_flat_workgroup_size: 512
    .name:           _ZN2at6native12_GLOBAL__N_125multi_tensor_apply_kernelINS1_28TensorListScalarListMetadataIfLi2EEENS1_25BinaryOpScalarListFunctorIN3c108BFloat16ELi2ELi1ELi1EEEJSt7dividesIfEEEEvT_T0_DpT1_
    .private_segment_fixed_size: 0
    .sgpr_count:     24
    .sgpr_spill_count: 0
    .symbol:         _ZN2at6native12_GLOBAL__N_125multi_tensor_apply_kernelINS1_28TensorListScalarListMetadataIfLi2EEENS1_25BinaryOpScalarListFunctorIN3c108BFloat16ELi2ELi1ELi1EEEJSt7dividesIfEEEEvT_T0_DpT1_.kd
    .uniform_work_group_size: 1
    .uses_dynamic_stack: false
    .vgpr_count:     32
    .vgpr_spill_count: 0
    .wavefront_size: 32
    .workgroup_processor_mode: 1
  - .args:
      - .offset:         0
        .size:           3232
        .value_kind:     by_value
      - .offset:         3232
        .size:           1
        .value_kind:     by_value
      - .offset:         3233
        .size:           1
        .value_kind:     by_value
      - .offset:         3240
        .size:           4
        .value_kind:     hidden_block_count_x
      - .offset:         3244
        .size:           4
        .value_kind:     hidden_block_count_y
      - .offset:         3248
        .size:           4
        .value_kind:     hidden_block_count_z
      - .offset:         3252
        .size:           2
        .value_kind:     hidden_group_size_x
      - .offset:         3254
        .size:           2
        .value_kind:     hidden_group_size_y
      - .offset:         3256
        .size:           2
        .value_kind:     hidden_group_size_z
      - .offset:         3258
        .size:           2
        .value_kind:     hidden_remainder_x
      - .offset:         3260
        .size:           2
        .value_kind:     hidden_remainder_y
      - .offset:         3262
        .size:           2
        .value_kind:     hidden_remainder_z
      - .offset:         3280
        .size:           8
        .value_kind:     hidden_global_offset_x
      - .offset:         3288
        .size:           8
        .value_kind:     hidden_global_offset_y
      - .offset:         3296
        .size:           8
        .value_kind:     hidden_global_offset_z
      - .offset:         3304
        .size:           2
        .value_kind:     hidden_grid_dims
    .group_segment_fixed_size: 0
    .kernarg_segment_align: 8
    .kernarg_segment_size: 3496
    .language:       OpenCL C
    .language_version:
      - 2
      - 0
    .max_flat_workgroup_size: 512
    .name:           _ZN2at6native12_GLOBAL__N_125multi_tensor_apply_kernelINS1_28TensorListScalarListMetadataIhLi1EEENS1_25BinaryOpScalarListFunctorIhLi1ELi1ELi0EEEJNS1_13power_functorIhEEEEEvT_T0_DpT1_
    .private_segment_fixed_size: 0
    .sgpr_count:     23
    .sgpr_spill_count: 0
    .symbol:         _ZN2at6native12_GLOBAL__N_125multi_tensor_apply_kernelINS1_28TensorListScalarListMetadataIhLi1EEENS1_25BinaryOpScalarListFunctorIhLi1ELi1ELi0EEEJNS1_13power_functorIhEEEEEvT_T0_DpT1_.kd
    .uniform_work_group_size: 1
    .uses_dynamic_stack: false
    .vgpr_count:     16
    .vgpr_spill_count: 0
    .wavefront_size: 32
    .workgroup_processor_mode: 1
  - .args:
      - .offset:         0
        .size:           3232
        .value_kind:     by_value
      - .offset:         3232
        .size:           1
        .value_kind:     by_value
      - .offset:         3233
        .size:           1
        .value_kind:     by_value
      - .offset:         3240
        .size:           4
        .value_kind:     hidden_block_count_x
      - .offset:         3244
        .size:           4
        .value_kind:     hidden_block_count_y
      - .offset:         3248
        .size:           4
        .value_kind:     hidden_block_count_z
      - .offset:         3252
        .size:           2
        .value_kind:     hidden_group_size_x
      - .offset:         3254
        .size:           2
        .value_kind:     hidden_group_size_y
      - .offset:         3256
        .size:           2
        .value_kind:     hidden_group_size_z
      - .offset:         3258
        .size:           2
        .value_kind:     hidden_remainder_x
      - .offset:         3260
        .size:           2
        .value_kind:     hidden_remainder_y
      - .offset:         3262
        .size:           2
        .value_kind:     hidden_remainder_z
      - .offset:         3280
        .size:           8
        .value_kind:     hidden_global_offset_x
      - .offset:         3288
        .size:           8
        .value_kind:     hidden_global_offset_y
      - .offset:         3296
        .size:           8
        .value_kind:     hidden_global_offset_z
      - .offset:         3304
        .size:           2
        .value_kind:     hidden_grid_dims
    .group_segment_fixed_size: 0
    .kernarg_segment_align: 8
    .kernarg_segment_size: 3496
    .language:       OpenCL C
    .language_version:
      - 2
      - 0
    .max_flat_workgroup_size: 512
    .name:           _ZN2at6native12_GLOBAL__N_125multi_tensor_apply_kernelINS1_28TensorListScalarListMetadataIaLi1EEENS1_25BinaryOpScalarListFunctorIaLi1ELi1ELi0EEEJNS1_13power_functorIaEEEEEvT_T0_DpT1_
    .private_segment_fixed_size: 0
    .sgpr_count:     26
    .sgpr_spill_count: 0
    .symbol:         _ZN2at6native12_GLOBAL__N_125multi_tensor_apply_kernelINS1_28TensorListScalarListMetadataIaLi1EEENS1_25BinaryOpScalarListFunctorIaLi1ELi1ELi0EEEJNS1_13power_functorIaEEEEEvT_T0_DpT1_.kd
    .uniform_work_group_size: 1
    .uses_dynamic_stack: false
    .vgpr_count:     19
    .vgpr_spill_count: 0
    .wavefront_size: 32
    .workgroup_processor_mode: 1
  - .args:
      - .offset:         0
        .size:           3520
        .value_kind:     by_value
      - .offset:         3520
        .size:           1
        .value_kind:     by_value
      - .offset:         3521
        .size:           1
        .value_kind:     by_value
      - .offset:         3528
        .size:           4
        .value_kind:     hidden_block_count_x
      - .offset:         3532
        .size:           4
        .value_kind:     hidden_block_count_y
      - .offset:         3536
        .size:           4
        .value_kind:     hidden_block_count_z
      - .offset:         3540
        .size:           2
        .value_kind:     hidden_group_size_x
      - .offset:         3542
        .size:           2
        .value_kind:     hidden_group_size_y
      - .offset:         3544
        .size:           2
        .value_kind:     hidden_group_size_z
      - .offset:         3546
        .size:           2
        .value_kind:     hidden_remainder_x
      - .offset:         3548
        .size:           2
        .value_kind:     hidden_remainder_y
      - .offset:         3550
        .size:           2
        .value_kind:     hidden_remainder_z
      - .offset:         3568
        .size:           8
        .value_kind:     hidden_global_offset_x
      - .offset:         3576
        .size:           8
        .value_kind:     hidden_global_offset_y
      - .offset:         3584
        .size:           8
        .value_kind:     hidden_global_offset_z
      - .offset:         3592
        .size:           2
        .value_kind:     hidden_grid_dims
    .group_segment_fixed_size: 0
    .kernarg_segment_align: 8
    .kernarg_segment_size: 3784
    .language:       OpenCL C
    .language_version:
      - 2
      - 0
    .max_flat_workgroup_size: 512
    .name:           _ZN2at6native12_GLOBAL__N_125multi_tensor_apply_kernelINS1_28TensorListScalarListMetadataIiLi1EEENS1_25BinaryOpScalarListFunctorIiLi1ELi1ELi0EEEJNS1_13power_functorIiEEEEEvT_T0_DpT1_
    .private_segment_fixed_size: 0
    .sgpr_count:     28
    .sgpr_spill_count: 0
    .symbol:         _ZN2at6native12_GLOBAL__N_125multi_tensor_apply_kernelINS1_28TensorListScalarListMetadataIiLi1EEENS1_25BinaryOpScalarListFunctorIiLi1ELi1ELi0EEEJNS1_13power_functorIiEEEEEvT_T0_DpT1_.kd
    .uniform_work_group_size: 1
    .uses_dynamic_stack: false
    .vgpr_count:     17
    .vgpr_spill_count: 0
    .wavefront_size: 32
    .workgroup_processor_mode: 1
  - .args:
      - .offset:         0
        .size:           3904
        .value_kind:     by_value
      - .offset:         3904
        .size:           1
        .value_kind:     by_value
      - .offset:         3905
        .size:           1
        .value_kind:     by_value
      - .offset:         3912
        .size:           4
        .value_kind:     hidden_block_count_x
      - .offset:         3916
        .size:           4
        .value_kind:     hidden_block_count_y
      - .offset:         3920
        .size:           4
        .value_kind:     hidden_block_count_z
      - .offset:         3924
        .size:           2
        .value_kind:     hidden_group_size_x
      - .offset:         3926
        .size:           2
        .value_kind:     hidden_group_size_y
      - .offset:         3928
        .size:           2
        .value_kind:     hidden_group_size_z
      - .offset:         3930
        .size:           2
        .value_kind:     hidden_remainder_x
      - .offset:         3932
        .size:           2
        .value_kind:     hidden_remainder_y
      - .offset:         3934
        .size:           2
        .value_kind:     hidden_remainder_z
      - .offset:         3952
        .size:           8
        .value_kind:     hidden_global_offset_x
      - .offset:         3960
        .size:           8
        .value_kind:     hidden_global_offset_y
      - .offset:         3968
        .size:           8
        .value_kind:     hidden_global_offset_z
      - .offset:         3976
        .size:           2
        .value_kind:     hidden_grid_dims
    .group_segment_fixed_size: 0
    .kernarg_segment_align: 8
    .kernarg_segment_size: 4168
    .language:       OpenCL C
    .language_version:
      - 2
      - 0
    .max_flat_workgroup_size: 512
    .name:           _ZN2at6native12_GLOBAL__N_125multi_tensor_apply_kernelINS1_28TensorListScalarListMetadataIlLi1EEENS1_25BinaryOpScalarListFunctorIlLi1ELi1ELi0EEEJNS1_13power_functorIlEEEEEvT_T0_DpT1_
    .private_segment_fixed_size: 0
    .sgpr_count:     30
    .sgpr_spill_count: 0
    .symbol:         _ZN2at6native12_GLOBAL__N_125multi_tensor_apply_kernelINS1_28TensorListScalarListMetadataIlLi1EEENS1_25BinaryOpScalarListFunctorIlLi1ELi1ELi0EEEJNS1_13power_functorIlEEEEEvT_T0_DpT1_.kd
    .uniform_work_group_size: 1
    .uses_dynamic_stack: false
    .vgpr_count:     28
    .vgpr_spill_count: 0
    .wavefront_size: 32
    .workgroup_processor_mode: 1
  - .args:
      - .offset:         0
        .size:           3328
        .value_kind:     by_value
      - .offset:         3328
        .size:           1
        .value_kind:     by_value
      - .offset:         3329
        .size:           1
        .value_kind:     by_value
      - .offset:         3336
        .size:           4
        .value_kind:     hidden_block_count_x
      - .offset:         3340
        .size:           4
        .value_kind:     hidden_block_count_y
      - .offset:         3344
        .size:           4
        .value_kind:     hidden_block_count_z
      - .offset:         3348
        .size:           2
        .value_kind:     hidden_group_size_x
      - .offset:         3350
        .size:           2
        .value_kind:     hidden_group_size_y
      - .offset:         3352
        .size:           2
        .value_kind:     hidden_group_size_z
      - .offset:         3354
        .size:           2
        .value_kind:     hidden_remainder_x
      - .offset:         3356
        .size:           2
        .value_kind:     hidden_remainder_y
      - .offset:         3358
        .size:           2
        .value_kind:     hidden_remainder_z
      - .offset:         3376
        .size:           8
        .value_kind:     hidden_global_offset_x
      - .offset:         3384
        .size:           8
        .value_kind:     hidden_global_offset_y
      - .offset:         3392
        .size:           8
        .value_kind:     hidden_global_offset_z
      - .offset:         3400
        .size:           2
        .value_kind:     hidden_grid_dims
    .group_segment_fixed_size: 0
    .kernarg_segment_align: 8
    .kernarg_segment_size: 3592
    .language:       OpenCL C
    .language_version:
      - 2
      - 0
    .max_flat_workgroup_size: 512
    .name:           _ZN2at6native12_GLOBAL__N_125multi_tensor_apply_kernelINS1_28TensorListScalarListMetadataIsLi1EEENS1_25BinaryOpScalarListFunctorIsLi1ELi1ELi0EEEJNS1_13power_functorIsEEEEEvT_T0_DpT1_
    .private_segment_fixed_size: 0
    .sgpr_count:     28
    .sgpr_spill_count: 0
    .symbol:         _ZN2at6native12_GLOBAL__N_125multi_tensor_apply_kernelINS1_28TensorListScalarListMetadataIsLi1EEENS1_25BinaryOpScalarListFunctorIsLi1ELi1ELi0EEEJNS1_13power_functorIsEEEEEvT_T0_DpT1_.kd
    .uniform_work_group_size: 1
    .uses_dynamic_stack: false
    .vgpr_count:     20
    .vgpr_spill_count: 0
    .wavefront_size: 32
    .workgroup_processor_mode: 1
  - .args:
      - .offset:         0
        .size:           3904
        .value_kind:     by_value
      - .offset:         3904
        .size:           1
        .value_kind:     by_value
      - .offset:         3905
        .size:           1
        .value_kind:     by_value
      - .offset:         3912
        .size:           4
        .value_kind:     hidden_block_count_x
      - .offset:         3916
        .size:           4
        .value_kind:     hidden_block_count_y
      - .offset:         3920
        .size:           4
        .value_kind:     hidden_block_count_z
      - .offset:         3924
        .size:           2
        .value_kind:     hidden_group_size_x
      - .offset:         3926
        .size:           2
        .value_kind:     hidden_group_size_y
      - .offset:         3928
        .size:           2
        .value_kind:     hidden_group_size_z
      - .offset:         3930
        .size:           2
        .value_kind:     hidden_remainder_x
      - .offset:         3932
        .size:           2
        .value_kind:     hidden_remainder_y
      - .offset:         3934
        .size:           2
        .value_kind:     hidden_remainder_z
      - .offset:         3952
        .size:           8
        .value_kind:     hidden_global_offset_x
      - .offset:         3960
        .size:           8
        .value_kind:     hidden_global_offset_y
      - .offset:         3968
        .size:           8
        .value_kind:     hidden_global_offset_z
      - .offset:         3976
        .size:           2
        .value_kind:     hidden_grid_dims
    .group_segment_fixed_size: 0
    .kernarg_segment_align: 8
    .kernarg_segment_size: 4168
    .language:       OpenCL C
    .language_version:
      - 2
      - 0
    .max_flat_workgroup_size: 512
    .name:           _ZN2at6native12_GLOBAL__N_125multi_tensor_apply_kernelINS1_28TensorListScalarListMetadataIdLi1EEENS1_25BinaryOpScalarListFunctorIdLi1ELi1ELi0EEEJNS1_13power_functorIdEEEEEvT_T0_DpT1_
    .private_segment_fixed_size: 0
    .sgpr_count:     86
    .sgpr_spill_count: 0
    .symbol:         _ZN2at6native12_GLOBAL__N_125multi_tensor_apply_kernelINS1_28TensorListScalarListMetadataIdLi1EEENS1_25BinaryOpScalarListFunctorIdLi1ELi1ELi0EEEJNS1_13power_functorIdEEEEEvT_T0_DpT1_.kd
    .uniform_work_group_size: 1
    .uses_dynamic_stack: false
    .vgpr_count:     91
    .vgpr_spill_count: 0
    .wavefront_size: 32
    .workgroup_processor_mode: 1
  - .args:
      - .offset:         0
        .size:           3520
        .value_kind:     by_value
      - .offset:         3520
        .size:           1
        .value_kind:     by_value
      - .offset:         3521
        .size:           1
        .value_kind:     by_value
      - .offset:         3528
        .size:           4
        .value_kind:     hidden_block_count_x
      - .offset:         3532
        .size:           4
        .value_kind:     hidden_block_count_y
      - .offset:         3536
        .size:           4
        .value_kind:     hidden_block_count_z
      - .offset:         3540
        .size:           2
        .value_kind:     hidden_group_size_x
      - .offset:         3542
        .size:           2
        .value_kind:     hidden_group_size_y
      - .offset:         3544
        .size:           2
        .value_kind:     hidden_group_size_z
      - .offset:         3546
        .size:           2
        .value_kind:     hidden_remainder_x
      - .offset:         3548
        .size:           2
        .value_kind:     hidden_remainder_y
      - .offset:         3550
        .size:           2
        .value_kind:     hidden_remainder_z
      - .offset:         3568
        .size:           8
        .value_kind:     hidden_global_offset_x
      - .offset:         3576
        .size:           8
        .value_kind:     hidden_global_offset_y
      - .offset:         3584
        .size:           8
        .value_kind:     hidden_global_offset_z
      - .offset:         3592
        .size:           2
        .value_kind:     hidden_grid_dims
    .group_segment_fixed_size: 0
    .kernarg_segment_align: 8
    .kernarg_segment_size: 3784
    .language:       OpenCL C
    .language_version:
      - 2
      - 0
    .max_flat_workgroup_size: 512
    .name:           _ZN2at6native12_GLOBAL__N_125multi_tensor_apply_kernelINS1_28TensorListScalarListMetadataIfLi1EEENS1_25BinaryOpScalarListFunctorIfLi1ELi1ELi0EEEJNS1_13power_functorIfEEEEEvT_T0_DpT1_
    .private_segment_fixed_size: 0
    .sgpr_count:     38
    .sgpr_spill_count: 0
    .symbol:         _ZN2at6native12_GLOBAL__N_125multi_tensor_apply_kernelINS1_28TensorListScalarListMetadataIfLi1EEENS1_25BinaryOpScalarListFunctorIfLi1ELi1ELi0EEEJNS1_13power_functorIfEEEEEvT_T0_DpT1_.kd
    .uniform_work_group_size: 1
    .uses_dynamic_stack: false
    .vgpr_count:     77
    .vgpr_spill_count: 0
    .wavefront_size: 32
    .workgroup_processor_mode: 1
  - .args:
      - .offset:         0
        .size:           3904
        .value_kind:     by_value
      - .offset:         3904
        .size:           1
        .value_kind:     by_value
      - .offset:         3905
        .size:           1
        .value_kind:     by_value
      - .offset:         3912
        .size:           4
        .value_kind:     hidden_block_count_x
      - .offset:         3916
        .size:           4
        .value_kind:     hidden_block_count_y
      - .offset:         3920
        .size:           4
        .value_kind:     hidden_block_count_z
      - .offset:         3924
        .size:           2
        .value_kind:     hidden_group_size_x
      - .offset:         3926
        .size:           2
        .value_kind:     hidden_group_size_y
      - .offset:         3928
        .size:           2
        .value_kind:     hidden_group_size_z
      - .offset:         3930
        .size:           2
        .value_kind:     hidden_remainder_x
      - .offset:         3932
        .size:           2
        .value_kind:     hidden_remainder_y
      - .offset:         3934
        .size:           2
        .value_kind:     hidden_remainder_z
      - .offset:         3952
        .size:           8
        .value_kind:     hidden_global_offset_x
      - .offset:         3960
        .size:           8
        .value_kind:     hidden_global_offset_y
      - .offset:         3968
        .size:           8
        .value_kind:     hidden_global_offset_z
      - .offset:         3976
        .size:           2
        .value_kind:     hidden_grid_dims
    .group_segment_fixed_size: 0
    .kernarg_segment_align: 16
    .kernarg_segment_size: 4168
    .language:       OpenCL C
    .language_version:
      - 2
      - 0
    .max_flat_workgroup_size: 512
    .name:           _ZN2at6native12_GLOBAL__N_125multi_tensor_apply_kernelINS1_28TensorListScalarListMetadataIN3c107complexIdEELi1EEENS1_25BinaryOpScalarListFunctorIS6_Li1ELi1ELi0EEEJNS1_13power_functorIS6_EEEEEvT_T0_DpT1_
    .private_segment_fixed_size: 0
    .sgpr_count:     47
    .sgpr_spill_count: 0
    .symbol:         _ZN2at6native12_GLOBAL__N_125multi_tensor_apply_kernelINS1_28TensorListScalarListMetadataIN3c107complexIdEELi1EEENS1_25BinaryOpScalarListFunctorIS6_Li1ELi1ELi0EEEJNS1_13power_functorIS6_EEEEEvT_T0_DpT1_.kd
    .uniform_work_group_size: 1
    .uses_dynamic_stack: false
    .vgpr_count:     77
    .vgpr_spill_count: 0
    .wavefront_size: 32
    .workgroup_processor_mode: 1
  - .args:
      - .offset:         0
        .size:           3904
        .value_kind:     by_value
      - .offset:         3904
        .size:           1
        .value_kind:     by_value
      - .offset:         3905
        .size:           1
        .value_kind:     by_value
      - .offset:         3912
        .size:           4
        .value_kind:     hidden_block_count_x
      - .offset:         3916
        .size:           4
        .value_kind:     hidden_block_count_y
      - .offset:         3920
        .size:           4
        .value_kind:     hidden_block_count_z
      - .offset:         3924
        .size:           2
        .value_kind:     hidden_group_size_x
      - .offset:         3926
        .size:           2
        .value_kind:     hidden_group_size_y
      - .offset:         3928
        .size:           2
        .value_kind:     hidden_group_size_z
      - .offset:         3930
        .size:           2
        .value_kind:     hidden_remainder_x
      - .offset:         3932
        .size:           2
        .value_kind:     hidden_remainder_y
      - .offset:         3934
        .size:           2
        .value_kind:     hidden_remainder_z
      - .offset:         3952
        .size:           8
        .value_kind:     hidden_global_offset_x
      - .offset:         3960
        .size:           8
        .value_kind:     hidden_global_offset_y
      - .offset:         3968
        .size:           8
        .value_kind:     hidden_global_offset_z
      - .offset:         3976
        .size:           2
        .value_kind:     hidden_grid_dims
    .group_segment_fixed_size: 4096
    .kernarg_segment_align: 8
    .kernarg_segment_size: 4168
    .language:       OpenCL C
    .language_version:
      - 2
      - 0
    .max_flat_workgroup_size: 512
    .name:           _ZN2at6native12_GLOBAL__N_125multi_tensor_apply_kernelINS1_28TensorListScalarListMetadataIN3c107complexIfEELi1EEENS1_25BinaryOpScalarListFunctorIS6_Li1ELi1ELi0EEEJNS1_13power_functorIS6_EEEEEvT_T0_DpT1_
    .private_segment_fixed_size: 0
    .sgpr_count:     46
    .sgpr_spill_count: 0
    .symbol:         _ZN2at6native12_GLOBAL__N_125multi_tensor_apply_kernelINS1_28TensorListScalarListMetadataIN3c107complexIfEELi1EEENS1_25BinaryOpScalarListFunctorIS6_Li1ELi1ELi0EEEJNS1_13power_functorIS6_EEEEEvT_T0_DpT1_.kd
    .uniform_work_group_size: 1
    .uses_dynamic_stack: false
    .vgpr_count:     49
    .vgpr_spill_count: 0
    .wavefront_size: 32
    .workgroup_processor_mode: 1
  - .args:
      - .offset:         0
        .size:           3520
        .value_kind:     by_value
      - .offset:         3520
        .size:           1
        .value_kind:     by_value
      - .offset:         3521
        .size:           1
        .value_kind:     by_value
      - .offset:         3528
        .size:           4
        .value_kind:     hidden_block_count_x
      - .offset:         3532
        .size:           4
        .value_kind:     hidden_block_count_y
      - .offset:         3536
        .size:           4
        .value_kind:     hidden_block_count_z
      - .offset:         3540
        .size:           2
        .value_kind:     hidden_group_size_x
      - .offset:         3542
        .size:           2
        .value_kind:     hidden_group_size_y
      - .offset:         3544
        .size:           2
        .value_kind:     hidden_group_size_z
      - .offset:         3546
        .size:           2
        .value_kind:     hidden_remainder_x
      - .offset:         3548
        .size:           2
        .value_kind:     hidden_remainder_y
      - .offset:         3550
        .size:           2
        .value_kind:     hidden_remainder_z
      - .offset:         3568
        .size:           8
        .value_kind:     hidden_global_offset_x
      - .offset:         3576
        .size:           8
        .value_kind:     hidden_global_offset_y
      - .offset:         3584
        .size:           8
        .value_kind:     hidden_global_offset_z
      - .offset:         3592
        .size:           2
        .value_kind:     hidden_grid_dims
    .group_segment_fixed_size: 0
    .kernarg_segment_align: 8
    .kernarg_segment_size: 3784
    .language:       OpenCL C
    .language_version:
      - 2
      - 0
    .max_flat_workgroup_size: 512
    .name:           _ZN2at6native12_GLOBAL__N_125multi_tensor_apply_kernelINS1_28TensorListScalarListMetadataIfLi1EEENS1_25BinaryOpScalarListFunctorIN3c104HalfELi1ELi1ELi0EEEJNS1_13power_functorIfEEEEEvT_T0_DpT1_
    .private_segment_fixed_size: 0
    .sgpr_count:     33
    .sgpr_spill_count: 0
    .symbol:         _ZN2at6native12_GLOBAL__N_125multi_tensor_apply_kernelINS1_28TensorListScalarListMetadataIfLi1EEENS1_25BinaryOpScalarListFunctorIN3c104HalfELi1ELi1ELi0EEEJNS1_13power_functorIfEEEEEvT_T0_DpT1_.kd
    .uniform_work_group_size: 1
    .uses_dynamic_stack: false
    .vgpr_count:     75
    .vgpr_spill_count: 0
    .wavefront_size: 32
    .workgroup_processor_mode: 1
  - .args:
      - .offset:         0
        .size:           3520
        .value_kind:     by_value
      - .offset:         3520
        .size:           1
        .value_kind:     by_value
      - .offset:         3521
        .size:           1
        .value_kind:     by_value
      - .offset:         3528
        .size:           4
        .value_kind:     hidden_block_count_x
      - .offset:         3532
        .size:           4
        .value_kind:     hidden_block_count_y
      - .offset:         3536
        .size:           4
        .value_kind:     hidden_block_count_z
      - .offset:         3540
        .size:           2
        .value_kind:     hidden_group_size_x
      - .offset:         3542
        .size:           2
        .value_kind:     hidden_group_size_y
      - .offset:         3544
        .size:           2
        .value_kind:     hidden_group_size_z
      - .offset:         3546
        .size:           2
        .value_kind:     hidden_remainder_x
      - .offset:         3548
        .size:           2
        .value_kind:     hidden_remainder_y
      - .offset:         3550
        .size:           2
        .value_kind:     hidden_remainder_z
      - .offset:         3568
        .size:           8
        .value_kind:     hidden_global_offset_x
      - .offset:         3576
        .size:           8
        .value_kind:     hidden_global_offset_y
      - .offset:         3584
        .size:           8
        .value_kind:     hidden_global_offset_z
      - .offset:         3592
        .size:           2
        .value_kind:     hidden_grid_dims
    .group_segment_fixed_size: 0
    .kernarg_segment_align: 8
    .kernarg_segment_size: 3784
    .language:       OpenCL C
    .language_version:
      - 2
      - 0
    .max_flat_workgroup_size: 512
    .name:           _ZN2at6native12_GLOBAL__N_125multi_tensor_apply_kernelINS1_28TensorListScalarListMetadataIfLi1EEENS1_25BinaryOpScalarListFunctorIN3c108BFloat16ELi1ELi1ELi0EEEJNS1_13power_functorIfEEEEEvT_T0_DpT1_
    .private_segment_fixed_size: 0
    .sgpr_count:     33
    .sgpr_spill_count: 0
    .symbol:         _ZN2at6native12_GLOBAL__N_125multi_tensor_apply_kernelINS1_28TensorListScalarListMetadataIfLi1EEENS1_25BinaryOpScalarListFunctorIN3c108BFloat16ELi1ELi1ELi0EEEJNS1_13power_functorIfEEEEEvT_T0_DpT1_.kd
    .uniform_work_group_size: 1
    .uses_dynamic_stack: false
    .vgpr_count:     75
    .vgpr_spill_count: 0
    .wavefront_size: 32
    .workgroup_processor_mode: 1
  - .args:
      - .offset:         0
        .size:           3200
        .value_kind:     by_value
      - .offset:         3200
        .size:           1
        .value_kind:     by_value
      - .offset:         3201
        .size:           1
        .value_kind:     by_value
      - .offset:         3208
        .size:           4
        .value_kind:     hidden_block_count_x
      - .offset:         3212
        .size:           4
        .value_kind:     hidden_block_count_y
      - .offset:         3216
        .size:           4
        .value_kind:     hidden_block_count_z
      - .offset:         3220
        .size:           2
        .value_kind:     hidden_group_size_x
      - .offset:         3222
        .size:           2
        .value_kind:     hidden_group_size_y
      - .offset:         3224
        .size:           2
        .value_kind:     hidden_group_size_z
      - .offset:         3226
        .size:           2
        .value_kind:     hidden_remainder_x
      - .offset:         3228
        .size:           2
        .value_kind:     hidden_remainder_y
      - .offset:         3230
        .size:           2
        .value_kind:     hidden_remainder_z
      - .offset:         3248
        .size:           8
        .value_kind:     hidden_global_offset_x
      - .offset:         3256
        .size:           8
        .value_kind:     hidden_global_offset_y
      - .offset:         3264
        .size:           8
        .value_kind:     hidden_global_offset_z
      - .offset:         3272
        .size:           2
        .value_kind:     hidden_grid_dims
    .group_segment_fixed_size: 0
    .kernarg_segment_align: 8
    .kernarg_segment_size: 3464
    .language:       OpenCL C
    .language_version:
      - 2
      - 0
    .max_flat_workgroup_size: 512
    .name:           _ZN2at6native12_GLOBAL__N_125multi_tensor_apply_kernelINS1_28TensorListScalarListMetadataIhLi2EEENS1_25BinaryOpScalarListFunctorIhLi2ELi1ELi1EEEJNS1_13power_functorIhEEEEEvT_T0_DpT1_
    .private_segment_fixed_size: 0
    .sgpr_count:     25
    .sgpr_spill_count: 0
    .symbol:         _ZN2at6native12_GLOBAL__N_125multi_tensor_apply_kernelINS1_28TensorListScalarListMetadataIhLi2EEENS1_25BinaryOpScalarListFunctorIhLi2ELi1ELi1EEEJNS1_13power_functorIhEEEEEvT_T0_DpT1_.kd
    .uniform_work_group_size: 1
    .uses_dynamic_stack: false
    .vgpr_count:     16
    .vgpr_spill_count: 0
    .wavefront_size: 32
    .workgroup_processor_mode: 1
  - .args:
      - .offset:         0
        .size:           3200
        .value_kind:     by_value
      - .offset:         3200
        .size:           1
        .value_kind:     by_value
      - .offset:         3201
        .size:           1
        .value_kind:     by_value
      - .offset:         3208
        .size:           4
        .value_kind:     hidden_block_count_x
      - .offset:         3212
        .size:           4
        .value_kind:     hidden_block_count_y
      - .offset:         3216
        .size:           4
        .value_kind:     hidden_block_count_z
      - .offset:         3220
        .size:           2
        .value_kind:     hidden_group_size_x
      - .offset:         3222
        .size:           2
        .value_kind:     hidden_group_size_y
      - .offset:         3224
        .size:           2
        .value_kind:     hidden_group_size_z
      - .offset:         3226
        .size:           2
        .value_kind:     hidden_remainder_x
      - .offset:         3228
        .size:           2
        .value_kind:     hidden_remainder_y
      - .offset:         3230
        .size:           2
        .value_kind:     hidden_remainder_z
      - .offset:         3248
        .size:           8
        .value_kind:     hidden_global_offset_x
      - .offset:         3256
        .size:           8
        .value_kind:     hidden_global_offset_y
      - .offset:         3264
        .size:           8
        .value_kind:     hidden_global_offset_z
      - .offset:         3272
        .size:           2
        .value_kind:     hidden_grid_dims
    .group_segment_fixed_size: 0
    .kernarg_segment_align: 8
    .kernarg_segment_size: 3464
    .language:       OpenCL C
    .language_version:
      - 2
      - 0
    .max_flat_workgroup_size: 512
    .name:           _ZN2at6native12_GLOBAL__N_125multi_tensor_apply_kernelINS1_28TensorListScalarListMetadataIaLi2EEENS1_25BinaryOpScalarListFunctorIaLi2ELi1ELi1EEEJNS1_13power_functorIaEEEEEvT_T0_DpT1_
    .private_segment_fixed_size: 0
    .sgpr_count:     28
    .sgpr_spill_count: 0
    .symbol:         _ZN2at6native12_GLOBAL__N_125multi_tensor_apply_kernelINS1_28TensorListScalarListMetadataIaLi2EEENS1_25BinaryOpScalarListFunctorIaLi2ELi1ELi1EEEJNS1_13power_functorIaEEEEEvT_T0_DpT1_.kd
    .uniform_work_group_size: 1
    .uses_dynamic_stack: false
    .vgpr_count:     19
    .vgpr_spill_count: 0
    .wavefront_size: 32
    .workgroup_processor_mode: 1
  - .args:
      - .offset:         0
        .size:           3392
        .value_kind:     by_value
      - .offset:         3392
        .size:           1
        .value_kind:     by_value
      - .offset:         3393
        .size:           1
        .value_kind:     by_value
      - .offset:         3400
        .size:           4
        .value_kind:     hidden_block_count_x
      - .offset:         3404
        .size:           4
        .value_kind:     hidden_block_count_y
      - .offset:         3408
        .size:           4
        .value_kind:     hidden_block_count_z
      - .offset:         3412
        .size:           2
        .value_kind:     hidden_group_size_x
      - .offset:         3414
        .size:           2
        .value_kind:     hidden_group_size_y
      - .offset:         3416
        .size:           2
        .value_kind:     hidden_group_size_z
      - .offset:         3418
        .size:           2
        .value_kind:     hidden_remainder_x
      - .offset:         3420
        .size:           2
        .value_kind:     hidden_remainder_y
      - .offset:         3422
        .size:           2
        .value_kind:     hidden_remainder_z
      - .offset:         3440
        .size:           8
        .value_kind:     hidden_global_offset_x
      - .offset:         3448
        .size:           8
        .value_kind:     hidden_global_offset_y
      - .offset:         3456
        .size:           8
        .value_kind:     hidden_global_offset_z
      - .offset:         3464
        .size:           2
        .value_kind:     hidden_grid_dims
    .group_segment_fixed_size: 0
    .kernarg_segment_align: 8
    .kernarg_segment_size: 3656
    .language:       OpenCL C
    .language_version:
      - 2
      - 0
    .max_flat_workgroup_size: 512
    .name:           _ZN2at6native12_GLOBAL__N_125multi_tensor_apply_kernelINS1_28TensorListScalarListMetadataIiLi2EEENS1_25BinaryOpScalarListFunctorIiLi2ELi1ELi1EEEJNS1_13power_functorIiEEEEEvT_T0_DpT1_
    .private_segment_fixed_size: 0
    .sgpr_count:     30
    .sgpr_spill_count: 0
    .symbol:         _ZN2at6native12_GLOBAL__N_125multi_tensor_apply_kernelINS1_28TensorListScalarListMetadataIiLi2EEENS1_25BinaryOpScalarListFunctorIiLi2ELi1ELi1EEEJNS1_13power_functorIiEEEEEvT_T0_DpT1_.kd
    .uniform_work_group_size: 1
    .uses_dynamic_stack: false
    .vgpr_count:     17
    .vgpr_spill_count: 0
    .wavefront_size: 32
    .workgroup_processor_mode: 1
  - .args:
      - .offset:         0
        .size:           3648
        .value_kind:     by_value
      - .offset:         3648
        .size:           1
        .value_kind:     by_value
      - .offset:         3649
        .size:           1
        .value_kind:     by_value
      - .offset:         3656
        .size:           4
        .value_kind:     hidden_block_count_x
      - .offset:         3660
        .size:           4
        .value_kind:     hidden_block_count_y
      - .offset:         3664
        .size:           4
        .value_kind:     hidden_block_count_z
      - .offset:         3668
        .size:           2
        .value_kind:     hidden_group_size_x
      - .offset:         3670
        .size:           2
        .value_kind:     hidden_group_size_y
      - .offset:         3672
        .size:           2
        .value_kind:     hidden_group_size_z
      - .offset:         3674
        .size:           2
        .value_kind:     hidden_remainder_x
      - .offset:         3676
        .size:           2
        .value_kind:     hidden_remainder_y
      - .offset:         3678
        .size:           2
        .value_kind:     hidden_remainder_z
      - .offset:         3696
        .size:           8
        .value_kind:     hidden_global_offset_x
      - .offset:         3704
        .size:           8
        .value_kind:     hidden_global_offset_y
      - .offset:         3712
        .size:           8
        .value_kind:     hidden_global_offset_z
      - .offset:         3720
        .size:           2
        .value_kind:     hidden_grid_dims
    .group_segment_fixed_size: 0
    .kernarg_segment_align: 8
    .kernarg_segment_size: 3912
    .language:       OpenCL C
    .language_version:
      - 2
      - 0
    .max_flat_workgroup_size: 512
    .name:           _ZN2at6native12_GLOBAL__N_125multi_tensor_apply_kernelINS1_28TensorListScalarListMetadataIlLi2EEENS1_25BinaryOpScalarListFunctorIlLi2ELi1ELi1EEEJNS1_13power_functorIlEEEEEvT_T0_DpT1_
    .private_segment_fixed_size: 0
    .sgpr_count:     32
    .sgpr_spill_count: 0
    .symbol:         _ZN2at6native12_GLOBAL__N_125multi_tensor_apply_kernelINS1_28TensorListScalarListMetadataIlLi2EEENS1_25BinaryOpScalarListFunctorIlLi2ELi1ELi1EEEJNS1_13power_functorIlEEEEEvT_T0_DpT1_.kd
    .uniform_work_group_size: 1
    .uses_dynamic_stack: false
    .vgpr_count:     28
    .vgpr_spill_count: 0
    .wavefront_size: 32
    .workgroup_processor_mode: 1
  - .args:
      - .offset:         0
        .size:           3264
        .value_kind:     by_value
      - .offset:         3264
        .size:           1
        .value_kind:     by_value
      - .offset:         3265
        .size:           1
        .value_kind:     by_value
      - .offset:         3272
        .size:           4
        .value_kind:     hidden_block_count_x
      - .offset:         3276
        .size:           4
        .value_kind:     hidden_block_count_y
      - .offset:         3280
        .size:           4
        .value_kind:     hidden_block_count_z
      - .offset:         3284
        .size:           2
        .value_kind:     hidden_group_size_x
      - .offset:         3286
        .size:           2
        .value_kind:     hidden_group_size_y
      - .offset:         3288
        .size:           2
        .value_kind:     hidden_group_size_z
      - .offset:         3290
        .size:           2
        .value_kind:     hidden_remainder_x
      - .offset:         3292
        .size:           2
        .value_kind:     hidden_remainder_y
      - .offset:         3294
        .size:           2
        .value_kind:     hidden_remainder_z
      - .offset:         3312
        .size:           8
        .value_kind:     hidden_global_offset_x
      - .offset:         3320
        .size:           8
        .value_kind:     hidden_global_offset_y
      - .offset:         3328
        .size:           8
        .value_kind:     hidden_global_offset_z
      - .offset:         3336
        .size:           2
        .value_kind:     hidden_grid_dims
    .group_segment_fixed_size: 0
    .kernarg_segment_align: 8
    .kernarg_segment_size: 3528
    .language:       OpenCL C
    .language_version:
      - 2
      - 0
    .max_flat_workgroup_size: 512
    .name:           _ZN2at6native12_GLOBAL__N_125multi_tensor_apply_kernelINS1_28TensorListScalarListMetadataIsLi2EEENS1_25BinaryOpScalarListFunctorIsLi2ELi1ELi1EEEJNS1_13power_functorIsEEEEEvT_T0_DpT1_
    .private_segment_fixed_size: 0
    .sgpr_count:     30
    .sgpr_spill_count: 0
    .symbol:         _ZN2at6native12_GLOBAL__N_125multi_tensor_apply_kernelINS1_28TensorListScalarListMetadataIsLi2EEENS1_25BinaryOpScalarListFunctorIsLi2ELi1ELi1EEEJNS1_13power_functorIsEEEEEvT_T0_DpT1_.kd
    .uniform_work_group_size: 1
    .uses_dynamic_stack: false
    .vgpr_count:     20
    .vgpr_spill_count: 0
    .wavefront_size: 32
    .workgroup_processor_mode: 1
  - .args:
      - .offset:         0
        .size:           3648
        .value_kind:     by_value
      - .offset:         3648
        .size:           1
        .value_kind:     by_value
      - .offset:         3649
        .size:           1
        .value_kind:     by_value
      - .offset:         3656
        .size:           4
        .value_kind:     hidden_block_count_x
      - .offset:         3660
        .size:           4
        .value_kind:     hidden_block_count_y
      - .offset:         3664
        .size:           4
        .value_kind:     hidden_block_count_z
      - .offset:         3668
        .size:           2
        .value_kind:     hidden_group_size_x
      - .offset:         3670
        .size:           2
        .value_kind:     hidden_group_size_y
      - .offset:         3672
        .size:           2
        .value_kind:     hidden_group_size_z
      - .offset:         3674
        .size:           2
        .value_kind:     hidden_remainder_x
      - .offset:         3676
        .size:           2
        .value_kind:     hidden_remainder_y
      - .offset:         3678
        .size:           2
        .value_kind:     hidden_remainder_z
      - .offset:         3696
        .size:           8
        .value_kind:     hidden_global_offset_x
      - .offset:         3704
        .size:           8
        .value_kind:     hidden_global_offset_y
      - .offset:         3712
        .size:           8
        .value_kind:     hidden_global_offset_z
      - .offset:         3720
        .size:           2
        .value_kind:     hidden_grid_dims
    .group_segment_fixed_size: 0
    .kernarg_segment_align: 8
    .kernarg_segment_size: 3912
    .language:       OpenCL C
    .language_version:
      - 2
      - 0
    .max_flat_workgroup_size: 512
    .name:           _ZN2at6native12_GLOBAL__N_125multi_tensor_apply_kernelINS1_28TensorListScalarListMetadataIdLi2EEENS1_25BinaryOpScalarListFunctorIdLi2ELi1ELi1EEEJNS1_13power_functorIdEEEEEvT_T0_DpT1_
    .private_segment_fixed_size: 0
    .sgpr_count:     97
    .sgpr_spill_count: 0
    .symbol:         _ZN2at6native12_GLOBAL__N_125multi_tensor_apply_kernelINS1_28TensorListScalarListMetadataIdLi2EEENS1_25BinaryOpScalarListFunctorIdLi2ELi1ELi1EEEJNS1_13power_functorIdEEEEEvT_T0_DpT1_.kd
    .uniform_work_group_size: 1
    .uses_dynamic_stack: false
    .vgpr_count:     93
    .vgpr_spill_count: 0
    .wavefront_size: 32
    .workgroup_processor_mode: 1
  - .args:
      - .offset:         0
        .size:           3392
        .value_kind:     by_value
      - .offset:         3392
        .size:           1
        .value_kind:     by_value
      - .offset:         3393
        .size:           1
        .value_kind:     by_value
      - .offset:         3400
        .size:           4
        .value_kind:     hidden_block_count_x
      - .offset:         3404
        .size:           4
        .value_kind:     hidden_block_count_y
      - .offset:         3408
        .size:           4
        .value_kind:     hidden_block_count_z
      - .offset:         3412
        .size:           2
        .value_kind:     hidden_group_size_x
      - .offset:         3414
        .size:           2
        .value_kind:     hidden_group_size_y
      - .offset:         3416
        .size:           2
        .value_kind:     hidden_group_size_z
      - .offset:         3418
        .size:           2
        .value_kind:     hidden_remainder_x
      - .offset:         3420
        .size:           2
        .value_kind:     hidden_remainder_y
      - .offset:         3422
        .size:           2
        .value_kind:     hidden_remainder_z
      - .offset:         3440
        .size:           8
        .value_kind:     hidden_global_offset_x
      - .offset:         3448
        .size:           8
        .value_kind:     hidden_global_offset_y
      - .offset:         3456
        .size:           8
        .value_kind:     hidden_global_offset_z
      - .offset:         3464
        .size:           2
        .value_kind:     hidden_grid_dims
    .group_segment_fixed_size: 0
    .kernarg_segment_align: 8
    .kernarg_segment_size: 3656
    .language:       OpenCL C
    .language_version:
      - 2
      - 0
    .max_flat_workgroup_size: 512
    .name:           _ZN2at6native12_GLOBAL__N_125multi_tensor_apply_kernelINS1_28TensorListScalarListMetadataIfLi2EEENS1_25BinaryOpScalarListFunctorIfLi2ELi1ELi1EEEJNS1_13power_functorIfEEEEEvT_T0_DpT1_
    .private_segment_fixed_size: 0
    .sgpr_count:     43
    .sgpr_spill_count: 0
    .symbol:         _ZN2at6native12_GLOBAL__N_125multi_tensor_apply_kernelINS1_28TensorListScalarListMetadataIfLi2EEENS1_25BinaryOpScalarListFunctorIfLi2ELi1ELi1EEEJNS1_13power_functorIfEEEEEvT_T0_DpT1_.kd
    .uniform_work_group_size: 1
    .uses_dynamic_stack: false
    .vgpr_count:     73
    .vgpr_spill_count: 0
    .wavefront_size: 32
    .workgroup_processor_mode: 1
  - .args:
      - .offset:         0
        .size:           4000
        .value_kind:     by_value
      - .offset:         4000
        .size:           1
        .value_kind:     by_value
      - .offset:         4001
        .size:           1
        .value_kind:     by_value
      - .offset:         4008
        .size:           4
        .value_kind:     hidden_block_count_x
      - .offset:         4012
        .size:           4
        .value_kind:     hidden_block_count_y
      - .offset:         4016
        .size:           4
        .value_kind:     hidden_block_count_z
      - .offset:         4020
        .size:           2
        .value_kind:     hidden_group_size_x
      - .offset:         4022
        .size:           2
        .value_kind:     hidden_group_size_y
      - .offset:         4024
        .size:           2
        .value_kind:     hidden_group_size_z
      - .offset:         4026
        .size:           2
        .value_kind:     hidden_remainder_x
      - .offset:         4028
        .size:           2
        .value_kind:     hidden_remainder_y
      - .offset:         4030
        .size:           2
        .value_kind:     hidden_remainder_z
      - .offset:         4048
        .size:           8
        .value_kind:     hidden_global_offset_x
      - .offset:         4056
        .size:           8
        .value_kind:     hidden_global_offset_y
      - .offset:         4064
        .size:           8
        .value_kind:     hidden_global_offset_z
      - .offset:         4072
        .size:           2
        .value_kind:     hidden_grid_dims
    .group_segment_fixed_size: 0
    .kernarg_segment_align: 16
    .kernarg_segment_size: 4264
    .language:       OpenCL C
    .language_version:
      - 2
      - 0
    .max_flat_workgroup_size: 512
    .name:           _ZN2at6native12_GLOBAL__N_125multi_tensor_apply_kernelINS1_28TensorListScalarListMetadataIN3c107complexIdEELi2EEENS1_25BinaryOpScalarListFunctorIS6_Li2ELi1ELi1EEEJNS1_13power_functorIS6_EEEEEvT_T0_DpT1_
    .private_segment_fixed_size: 0
    .sgpr_count:     50
    .sgpr_spill_count: 0
    .symbol:         _ZN2at6native12_GLOBAL__N_125multi_tensor_apply_kernelINS1_28TensorListScalarListMetadataIN3c107complexIdEELi2EEENS1_25BinaryOpScalarListFunctorIS6_Li2ELi1ELi1EEEJNS1_13power_functorIS6_EEEEEvT_T0_DpT1_.kd
    .uniform_work_group_size: 1
    .uses_dynamic_stack: false
    .vgpr_count:     83
    .vgpr_spill_count: 0
    .wavefront_size: 32
    .workgroup_processor_mode: 1
  - .args:
      - .offset:         0
        .size:           3648
        .value_kind:     by_value
      - .offset:         3648
        .size:           1
        .value_kind:     by_value
      - .offset:         3649
        .size:           1
        .value_kind:     by_value
      - .offset:         3656
        .size:           4
        .value_kind:     hidden_block_count_x
      - .offset:         3660
        .size:           4
        .value_kind:     hidden_block_count_y
      - .offset:         3664
        .size:           4
        .value_kind:     hidden_block_count_z
      - .offset:         3668
        .size:           2
        .value_kind:     hidden_group_size_x
      - .offset:         3670
        .size:           2
        .value_kind:     hidden_group_size_y
      - .offset:         3672
        .size:           2
        .value_kind:     hidden_group_size_z
      - .offset:         3674
        .size:           2
        .value_kind:     hidden_remainder_x
      - .offset:         3676
        .size:           2
        .value_kind:     hidden_remainder_y
      - .offset:         3678
        .size:           2
        .value_kind:     hidden_remainder_z
      - .offset:         3696
        .size:           8
        .value_kind:     hidden_global_offset_x
      - .offset:         3704
        .size:           8
        .value_kind:     hidden_global_offset_y
      - .offset:         3712
        .size:           8
        .value_kind:     hidden_global_offset_z
      - .offset:         3720
        .size:           2
        .value_kind:     hidden_grid_dims
    .group_segment_fixed_size: 4096
    .kernarg_segment_align: 8
    .kernarg_segment_size: 3912
    .language:       OpenCL C
    .language_version:
      - 2
      - 0
    .max_flat_workgroup_size: 512
    .name:           _ZN2at6native12_GLOBAL__N_125multi_tensor_apply_kernelINS1_28TensorListScalarListMetadataIN3c107complexIfEELi2EEENS1_25BinaryOpScalarListFunctorIS6_Li2ELi1ELi1EEEJNS1_13power_functorIS6_EEEEEvT_T0_DpT1_
    .private_segment_fixed_size: 0
    .sgpr_count:     49
    .sgpr_spill_count: 0
    .symbol:         _ZN2at6native12_GLOBAL__N_125multi_tensor_apply_kernelINS1_28TensorListScalarListMetadataIN3c107complexIfEELi2EEENS1_25BinaryOpScalarListFunctorIS6_Li2ELi1ELi1EEEJNS1_13power_functorIS6_EEEEEvT_T0_DpT1_.kd
    .uniform_work_group_size: 1
    .uses_dynamic_stack: false
    .vgpr_count:     53
    .vgpr_spill_count: 0
    .wavefront_size: 32
    .workgroup_processor_mode: 1
  - .args:
      - .offset:         0
        .size:           3392
        .value_kind:     by_value
      - .offset:         3392
        .size:           1
        .value_kind:     by_value
      - .offset:         3393
        .size:           1
        .value_kind:     by_value
      - .offset:         3400
        .size:           4
        .value_kind:     hidden_block_count_x
      - .offset:         3404
        .size:           4
        .value_kind:     hidden_block_count_y
      - .offset:         3408
        .size:           4
        .value_kind:     hidden_block_count_z
      - .offset:         3412
        .size:           2
        .value_kind:     hidden_group_size_x
      - .offset:         3414
        .size:           2
        .value_kind:     hidden_group_size_y
      - .offset:         3416
        .size:           2
        .value_kind:     hidden_group_size_z
      - .offset:         3418
        .size:           2
        .value_kind:     hidden_remainder_x
      - .offset:         3420
        .size:           2
        .value_kind:     hidden_remainder_y
      - .offset:         3422
        .size:           2
        .value_kind:     hidden_remainder_z
      - .offset:         3440
        .size:           8
        .value_kind:     hidden_global_offset_x
      - .offset:         3448
        .size:           8
        .value_kind:     hidden_global_offset_y
      - .offset:         3456
        .size:           8
        .value_kind:     hidden_global_offset_z
      - .offset:         3464
        .size:           2
        .value_kind:     hidden_grid_dims
    .group_segment_fixed_size: 0
    .kernarg_segment_align: 8
    .kernarg_segment_size: 3656
    .language:       OpenCL C
    .language_version:
      - 2
      - 0
    .max_flat_workgroup_size: 512
    .name:           _ZN2at6native12_GLOBAL__N_125multi_tensor_apply_kernelINS1_28TensorListScalarListMetadataIfLi2EEENS1_25BinaryOpScalarListFunctorIN3c104HalfELi2ELi1ELi1EEEJNS1_13power_functorIfEEEEEvT_T0_DpT1_
    .private_segment_fixed_size: 0
    .sgpr_count:     41
    .sgpr_spill_count: 0
    .symbol:         _ZN2at6native12_GLOBAL__N_125multi_tensor_apply_kernelINS1_28TensorListScalarListMetadataIfLi2EEENS1_25BinaryOpScalarListFunctorIN3c104HalfELi2ELi1ELi1EEEJNS1_13power_functorIfEEEEEvT_T0_DpT1_.kd
    .uniform_work_group_size: 1
    .uses_dynamic_stack: false
    .vgpr_count:     73
    .vgpr_spill_count: 0
    .wavefront_size: 32
    .workgroup_processor_mode: 1
  - .args:
      - .offset:         0
        .size:           3392
        .value_kind:     by_value
      - .offset:         3392
        .size:           1
        .value_kind:     by_value
      - .offset:         3393
        .size:           1
        .value_kind:     by_value
      - .offset:         3400
        .size:           4
        .value_kind:     hidden_block_count_x
      - .offset:         3404
        .size:           4
        .value_kind:     hidden_block_count_y
      - .offset:         3408
        .size:           4
        .value_kind:     hidden_block_count_z
      - .offset:         3412
        .size:           2
        .value_kind:     hidden_group_size_x
      - .offset:         3414
        .size:           2
        .value_kind:     hidden_group_size_y
      - .offset:         3416
        .size:           2
        .value_kind:     hidden_group_size_z
      - .offset:         3418
        .size:           2
        .value_kind:     hidden_remainder_x
      - .offset:         3420
        .size:           2
        .value_kind:     hidden_remainder_y
      - .offset:         3422
        .size:           2
        .value_kind:     hidden_remainder_z
      - .offset:         3440
        .size:           8
        .value_kind:     hidden_global_offset_x
      - .offset:         3448
        .size:           8
        .value_kind:     hidden_global_offset_y
      - .offset:         3456
        .size:           8
        .value_kind:     hidden_global_offset_z
      - .offset:         3464
        .size:           2
        .value_kind:     hidden_grid_dims
    .group_segment_fixed_size: 0
    .kernarg_segment_align: 8
    .kernarg_segment_size: 3656
    .language:       OpenCL C
    .language_version:
      - 2
      - 0
    .max_flat_workgroup_size: 512
    .name:           _ZN2at6native12_GLOBAL__N_125multi_tensor_apply_kernelINS1_28TensorListScalarListMetadataIfLi2EEENS1_25BinaryOpScalarListFunctorIN3c108BFloat16ELi2ELi1ELi1EEEJNS1_13power_functorIfEEEEEvT_T0_DpT1_
    .private_segment_fixed_size: 0
    .sgpr_count:     43
    .sgpr_spill_count: 0
    .symbol:         _ZN2at6native12_GLOBAL__N_125multi_tensor_apply_kernelINS1_28TensorListScalarListMetadataIfLi2EEENS1_25BinaryOpScalarListFunctorIN3c108BFloat16ELi2ELi1ELi1EEEJNS1_13power_functorIfEEEEEvT_T0_DpT1_.kd
    .uniform_work_group_size: 1
    .uses_dynamic_stack: false
    .vgpr_count:     74
    .vgpr_spill_count: 0
    .wavefront_size: 32
    .workgroup_processor_mode: 1
  - .args:
      - .offset:         0
        .size:           3232
        .value_kind:     by_value
      - .offset:         3232
        .size:           1
        .value_kind:     by_value
      - .offset:         3233
        .size:           1
        .value_kind:     by_value
      - .offset:         3240
        .size:           4
        .value_kind:     hidden_block_count_x
      - .offset:         3244
        .size:           4
        .value_kind:     hidden_block_count_y
      - .offset:         3248
        .size:           4
        .value_kind:     hidden_block_count_z
      - .offset:         3252
        .size:           2
        .value_kind:     hidden_group_size_x
      - .offset:         3254
        .size:           2
        .value_kind:     hidden_group_size_y
      - .offset:         3256
        .size:           2
        .value_kind:     hidden_group_size_z
      - .offset:         3258
        .size:           2
        .value_kind:     hidden_remainder_x
      - .offset:         3260
        .size:           2
        .value_kind:     hidden_remainder_y
      - .offset:         3262
        .size:           2
        .value_kind:     hidden_remainder_z
      - .offset:         3280
        .size:           8
        .value_kind:     hidden_global_offset_x
      - .offset:         3288
        .size:           8
        .value_kind:     hidden_global_offset_y
      - .offset:         3296
        .size:           8
        .value_kind:     hidden_global_offset_z
      - .offset:         3304
        .size:           2
        .value_kind:     hidden_grid_dims
    .group_segment_fixed_size: 0
    .kernarg_segment_align: 8
    .kernarg_segment_size: 3496
    .language:       OpenCL C
    .language_version:
      - 2
      - 0
    .max_flat_workgroup_size: 512
    .name:           _ZN2at6native12_GLOBAL__N_125multi_tensor_apply_kernelINS1_28TensorListScalarListMetadataIhLi1EEENS1_25BinaryOpScalarListFunctorIhLi1ELi1ELi0EEEJSt5minusIhEEEEvT_T0_DpT1_
    .private_segment_fixed_size: 0
    .sgpr_count:     19
    .sgpr_spill_count: 0
    .symbol:         _ZN2at6native12_GLOBAL__N_125multi_tensor_apply_kernelINS1_28TensorListScalarListMetadataIhLi1EEENS1_25BinaryOpScalarListFunctorIhLi1ELi1ELi0EEEJSt5minusIhEEEEvT_T0_DpT1_.kd
    .uniform_work_group_size: 1
    .uses_dynamic_stack: false
    .vgpr_count:     22
    .vgpr_spill_count: 0
    .wavefront_size: 32
    .workgroup_processor_mode: 1
  - .args:
      - .offset:         0
        .size:           3232
        .value_kind:     by_value
      - .offset:         3232
        .size:           1
        .value_kind:     by_value
      - .offset:         3233
        .size:           1
        .value_kind:     by_value
      - .offset:         3240
        .size:           4
        .value_kind:     hidden_block_count_x
      - .offset:         3244
        .size:           4
        .value_kind:     hidden_block_count_y
      - .offset:         3248
        .size:           4
        .value_kind:     hidden_block_count_z
      - .offset:         3252
        .size:           2
        .value_kind:     hidden_group_size_x
      - .offset:         3254
        .size:           2
        .value_kind:     hidden_group_size_y
      - .offset:         3256
        .size:           2
        .value_kind:     hidden_group_size_z
      - .offset:         3258
        .size:           2
        .value_kind:     hidden_remainder_x
      - .offset:         3260
        .size:           2
        .value_kind:     hidden_remainder_y
      - .offset:         3262
        .size:           2
        .value_kind:     hidden_remainder_z
      - .offset:         3280
        .size:           8
        .value_kind:     hidden_global_offset_x
      - .offset:         3288
        .size:           8
        .value_kind:     hidden_global_offset_y
      - .offset:         3296
        .size:           8
        .value_kind:     hidden_global_offset_z
      - .offset:         3304
        .size:           2
        .value_kind:     hidden_grid_dims
    .group_segment_fixed_size: 0
    .kernarg_segment_align: 8
    .kernarg_segment_size: 3496
    .language:       OpenCL C
    .language_version:
      - 2
      - 0
    .max_flat_workgroup_size: 512
    .name:           _ZN2at6native12_GLOBAL__N_125multi_tensor_apply_kernelINS1_28TensorListScalarListMetadataIaLi1EEENS1_25BinaryOpScalarListFunctorIaLi1ELi1ELi0EEEJSt5minusIaEEEEvT_T0_DpT1_
    .private_segment_fixed_size: 0
    .sgpr_count:     19
    .sgpr_spill_count: 0
    .symbol:         _ZN2at6native12_GLOBAL__N_125multi_tensor_apply_kernelINS1_28TensorListScalarListMetadataIaLi1EEENS1_25BinaryOpScalarListFunctorIaLi1ELi1ELi0EEEJSt5minusIaEEEEvT_T0_DpT1_.kd
    .uniform_work_group_size: 1
    .uses_dynamic_stack: false
    .vgpr_count:     22
    .vgpr_spill_count: 0
    .wavefront_size: 32
    .workgroup_processor_mode: 1
  - .args:
      - .offset:         0
        .size:           3520
        .value_kind:     by_value
      - .offset:         3520
        .size:           1
        .value_kind:     by_value
      - .offset:         3521
        .size:           1
        .value_kind:     by_value
      - .offset:         3528
        .size:           4
        .value_kind:     hidden_block_count_x
      - .offset:         3532
        .size:           4
        .value_kind:     hidden_block_count_y
      - .offset:         3536
        .size:           4
        .value_kind:     hidden_block_count_z
      - .offset:         3540
        .size:           2
        .value_kind:     hidden_group_size_x
      - .offset:         3542
        .size:           2
        .value_kind:     hidden_group_size_y
      - .offset:         3544
        .size:           2
        .value_kind:     hidden_group_size_z
      - .offset:         3546
        .size:           2
        .value_kind:     hidden_remainder_x
      - .offset:         3548
        .size:           2
        .value_kind:     hidden_remainder_y
      - .offset:         3550
        .size:           2
        .value_kind:     hidden_remainder_z
      - .offset:         3568
        .size:           8
        .value_kind:     hidden_global_offset_x
      - .offset:         3576
        .size:           8
        .value_kind:     hidden_global_offset_y
      - .offset:         3584
        .size:           8
        .value_kind:     hidden_global_offset_z
      - .offset:         3592
        .size:           2
        .value_kind:     hidden_grid_dims
    .group_segment_fixed_size: 0
    .kernarg_segment_align: 8
    .kernarg_segment_size: 3784
    .language:       OpenCL C
    .language_version:
      - 2
      - 0
    .max_flat_workgroup_size: 512
    .name:           _ZN2at6native12_GLOBAL__N_125multi_tensor_apply_kernelINS1_28TensorListScalarListMetadataIiLi1EEENS1_25BinaryOpScalarListFunctorIiLi1ELi1ELi0EEEJSt5minusIiEEEEvT_T0_DpT1_
    .private_segment_fixed_size: 0
    .sgpr_count:     24
    .sgpr_spill_count: 0
    .symbol:         _ZN2at6native12_GLOBAL__N_125multi_tensor_apply_kernelINS1_28TensorListScalarListMetadataIiLi1EEENS1_25BinaryOpScalarListFunctorIiLi1ELi1ELi0EEEJSt5minusIiEEEEvT_T0_DpT1_.kd
    .uniform_work_group_size: 1
    .uses_dynamic_stack: false
    .vgpr_count:     17
    .vgpr_spill_count: 0
    .wavefront_size: 32
    .workgroup_processor_mode: 1
  - .args:
      - .offset:         0
        .size:           3904
        .value_kind:     by_value
      - .offset:         3904
        .size:           1
        .value_kind:     by_value
      - .offset:         3905
        .size:           1
        .value_kind:     by_value
      - .offset:         3912
        .size:           4
        .value_kind:     hidden_block_count_x
      - .offset:         3916
        .size:           4
        .value_kind:     hidden_block_count_y
      - .offset:         3920
        .size:           4
        .value_kind:     hidden_block_count_z
      - .offset:         3924
        .size:           2
        .value_kind:     hidden_group_size_x
      - .offset:         3926
        .size:           2
        .value_kind:     hidden_group_size_y
      - .offset:         3928
        .size:           2
        .value_kind:     hidden_group_size_z
      - .offset:         3930
        .size:           2
        .value_kind:     hidden_remainder_x
      - .offset:         3932
        .size:           2
        .value_kind:     hidden_remainder_y
      - .offset:         3934
        .size:           2
        .value_kind:     hidden_remainder_z
      - .offset:         3952
        .size:           8
        .value_kind:     hidden_global_offset_x
      - .offset:         3960
        .size:           8
        .value_kind:     hidden_global_offset_y
      - .offset:         3968
        .size:           8
        .value_kind:     hidden_global_offset_z
      - .offset:         3976
        .size:           2
        .value_kind:     hidden_grid_dims
    .group_segment_fixed_size: 0
    .kernarg_segment_align: 8
    .kernarg_segment_size: 4168
    .language:       OpenCL C
    .language_version:
      - 2
      - 0
    .max_flat_workgroup_size: 512
    .name:           _ZN2at6native12_GLOBAL__N_125multi_tensor_apply_kernelINS1_28TensorListScalarListMetadataIlLi1EEENS1_25BinaryOpScalarListFunctorIlLi1ELi1ELi0EEEJSt5minusIlEEEEvT_T0_DpT1_
    .private_segment_fixed_size: 0
    .sgpr_count:     25
    .sgpr_spill_count: 0
    .symbol:         _ZN2at6native12_GLOBAL__N_125multi_tensor_apply_kernelINS1_28TensorListScalarListMetadataIlLi1EEENS1_25BinaryOpScalarListFunctorIlLi1ELi1ELi0EEEJSt5minusIlEEEEvT_T0_DpT1_.kd
    .uniform_work_group_size: 1
    .uses_dynamic_stack: false
    .vgpr_count:     21
    .vgpr_spill_count: 0
    .wavefront_size: 32
    .workgroup_processor_mode: 1
  - .args:
      - .offset:         0
        .size:           3328
        .value_kind:     by_value
      - .offset:         3328
        .size:           1
        .value_kind:     by_value
      - .offset:         3329
        .size:           1
        .value_kind:     by_value
      - .offset:         3336
        .size:           4
        .value_kind:     hidden_block_count_x
      - .offset:         3340
        .size:           4
        .value_kind:     hidden_block_count_y
      - .offset:         3344
        .size:           4
        .value_kind:     hidden_block_count_z
      - .offset:         3348
        .size:           2
        .value_kind:     hidden_group_size_x
      - .offset:         3350
        .size:           2
        .value_kind:     hidden_group_size_y
      - .offset:         3352
        .size:           2
        .value_kind:     hidden_group_size_z
      - .offset:         3354
        .size:           2
        .value_kind:     hidden_remainder_x
      - .offset:         3356
        .size:           2
        .value_kind:     hidden_remainder_y
      - .offset:         3358
        .size:           2
        .value_kind:     hidden_remainder_z
      - .offset:         3376
        .size:           8
        .value_kind:     hidden_global_offset_x
      - .offset:         3384
        .size:           8
        .value_kind:     hidden_global_offset_y
      - .offset:         3392
        .size:           8
        .value_kind:     hidden_global_offset_z
      - .offset:         3400
        .size:           2
        .value_kind:     hidden_grid_dims
    .group_segment_fixed_size: 0
    .kernarg_segment_align: 8
    .kernarg_segment_size: 3592
    .language:       OpenCL C
    .language_version:
      - 2
      - 0
    .max_flat_workgroup_size: 512
    .name:           _ZN2at6native12_GLOBAL__N_125multi_tensor_apply_kernelINS1_28TensorListScalarListMetadataIsLi1EEENS1_25BinaryOpScalarListFunctorIsLi1ELi1ELi0EEEJSt5minusIsEEEEvT_T0_DpT1_
    .private_segment_fixed_size: 0
    .sgpr_count:     22
    .sgpr_spill_count: 0
    .symbol:         _ZN2at6native12_GLOBAL__N_125multi_tensor_apply_kernelINS1_28TensorListScalarListMetadataIsLi1EEENS1_25BinaryOpScalarListFunctorIsLi1ELi1ELi0EEEJSt5minusIsEEEEvT_T0_DpT1_.kd
    .uniform_work_group_size: 1
    .uses_dynamic_stack: false
    .vgpr_count:     18
    .vgpr_spill_count: 0
    .wavefront_size: 32
    .workgroup_processor_mode: 1
  - .args:
      - .offset:         0
        .size:           3904
        .value_kind:     by_value
      - .offset:         3904
        .size:           1
        .value_kind:     by_value
      - .offset:         3905
        .size:           1
        .value_kind:     by_value
      - .offset:         3912
        .size:           4
        .value_kind:     hidden_block_count_x
      - .offset:         3916
        .size:           4
        .value_kind:     hidden_block_count_y
      - .offset:         3920
        .size:           4
        .value_kind:     hidden_block_count_z
      - .offset:         3924
        .size:           2
        .value_kind:     hidden_group_size_x
      - .offset:         3926
        .size:           2
        .value_kind:     hidden_group_size_y
      - .offset:         3928
        .size:           2
        .value_kind:     hidden_group_size_z
      - .offset:         3930
        .size:           2
        .value_kind:     hidden_remainder_x
      - .offset:         3932
        .size:           2
        .value_kind:     hidden_remainder_y
      - .offset:         3934
        .size:           2
        .value_kind:     hidden_remainder_z
      - .offset:         3952
        .size:           8
        .value_kind:     hidden_global_offset_x
      - .offset:         3960
        .size:           8
        .value_kind:     hidden_global_offset_y
      - .offset:         3968
        .size:           8
        .value_kind:     hidden_global_offset_z
      - .offset:         3976
        .size:           2
        .value_kind:     hidden_grid_dims
    .group_segment_fixed_size: 0
    .kernarg_segment_align: 8
    .kernarg_segment_size: 4168
    .language:       OpenCL C
    .language_version:
      - 2
      - 0
    .max_flat_workgroup_size: 512
    .name:           _ZN2at6native12_GLOBAL__N_125multi_tensor_apply_kernelINS1_28TensorListScalarListMetadataIdLi1EEENS1_25BinaryOpScalarListFunctorIdLi1ELi1ELi0EEEJSt5minusIdEEEEvT_T0_DpT1_
    .private_segment_fixed_size: 0
    .sgpr_count:     25
    .sgpr_spill_count: 0
    .symbol:         _ZN2at6native12_GLOBAL__N_125multi_tensor_apply_kernelINS1_28TensorListScalarListMetadataIdLi1EEENS1_25BinaryOpScalarListFunctorIdLi1ELi1ELi0EEEJSt5minusIdEEEEvT_T0_DpT1_.kd
    .uniform_work_group_size: 1
    .uses_dynamic_stack: false
    .vgpr_count:     21
    .vgpr_spill_count: 0
    .wavefront_size: 32
    .workgroup_processor_mode: 1
  - .args:
      - .offset:         0
        .size:           3520
        .value_kind:     by_value
      - .offset:         3520
        .size:           1
        .value_kind:     by_value
      - .offset:         3521
        .size:           1
        .value_kind:     by_value
      - .offset:         3528
        .size:           4
        .value_kind:     hidden_block_count_x
      - .offset:         3532
        .size:           4
        .value_kind:     hidden_block_count_y
      - .offset:         3536
        .size:           4
        .value_kind:     hidden_block_count_z
      - .offset:         3540
        .size:           2
        .value_kind:     hidden_group_size_x
      - .offset:         3542
        .size:           2
        .value_kind:     hidden_group_size_y
      - .offset:         3544
        .size:           2
        .value_kind:     hidden_group_size_z
      - .offset:         3546
        .size:           2
        .value_kind:     hidden_remainder_x
      - .offset:         3548
        .size:           2
        .value_kind:     hidden_remainder_y
      - .offset:         3550
        .size:           2
        .value_kind:     hidden_remainder_z
      - .offset:         3568
        .size:           8
        .value_kind:     hidden_global_offset_x
      - .offset:         3576
        .size:           8
        .value_kind:     hidden_global_offset_y
      - .offset:         3584
        .size:           8
        .value_kind:     hidden_global_offset_z
      - .offset:         3592
        .size:           2
        .value_kind:     hidden_grid_dims
    .group_segment_fixed_size: 0
    .kernarg_segment_align: 8
    .kernarg_segment_size: 3784
    .language:       OpenCL C
    .language_version:
      - 2
      - 0
    .max_flat_workgroup_size: 512
    .name:           _ZN2at6native12_GLOBAL__N_125multi_tensor_apply_kernelINS1_28TensorListScalarListMetadataIfLi1EEENS1_25BinaryOpScalarListFunctorIfLi1ELi1ELi0EEEJSt5minusIfEEEEvT_T0_DpT1_
    .private_segment_fixed_size: 0
    .sgpr_count:     24
    .sgpr_spill_count: 0
    .symbol:         _ZN2at6native12_GLOBAL__N_125multi_tensor_apply_kernelINS1_28TensorListScalarListMetadataIfLi1EEENS1_25BinaryOpScalarListFunctorIfLi1ELi1ELi0EEEJSt5minusIfEEEEvT_T0_DpT1_.kd
    .uniform_work_group_size: 1
    .uses_dynamic_stack: false
    .vgpr_count:     17
    .vgpr_spill_count: 0
    .wavefront_size: 32
    .workgroup_processor_mode: 1
  - .args:
      - .offset:         0
        .size:           3904
        .value_kind:     by_value
      - .offset:         3904
        .size:           1
        .value_kind:     by_value
      - .offset:         3905
        .size:           1
        .value_kind:     by_value
      - .offset:         3912
        .size:           4
        .value_kind:     hidden_block_count_x
      - .offset:         3916
        .size:           4
        .value_kind:     hidden_block_count_y
      - .offset:         3920
        .size:           4
        .value_kind:     hidden_block_count_z
      - .offset:         3924
        .size:           2
        .value_kind:     hidden_group_size_x
      - .offset:         3926
        .size:           2
        .value_kind:     hidden_group_size_y
      - .offset:         3928
        .size:           2
        .value_kind:     hidden_group_size_z
      - .offset:         3930
        .size:           2
        .value_kind:     hidden_remainder_x
      - .offset:         3932
        .size:           2
        .value_kind:     hidden_remainder_y
      - .offset:         3934
        .size:           2
        .value_kind:     hidden_remainder_z
      - .offset:         3952
        .size:           8
        .value_kind:     hidden_global_offset_x
      - .offset:         3960
        .size:           8
        .value_kind:     hidden_global_offset_y
      - .offset:         3968
        .size:           8
        .value_kind:     hidden_global_offset_z
      - .offset:         3976
        .size:           2
        .value_kind:     hidden_grid_dims
    .group_segment_fixed_size: 0
    .kernarg_segment_align: 16
    .kernarg_segment_size: 4168
    .language:       OpenCL C
    .language_version:
      - 2
      - 0
    .max_flat_workgroup_size: 512
    .name:           _ZN2at6native12_GLOBAL__N_125multi_tensor_apply_kernelINS1_28TensorListScalarListMetadataIN3c107complexIdEELi1EEENS1_25BinaryOpScalarListFunctorIS6_Li1ELi1ELi0EEEJSt5minusIS6_EEEEvT_T0_DpT1_
    .private_segment_fixed_size: 0
    .sgpr_count:     27
    .sgpr_spill_count: 0
    .symbol:         _ZN2at6native12_GLOBAL__N_125multi_tensor_apply_kernelINS1_28TensorListScalarListMetadataIN3c107complexIdEELi1EEENS1_25BinaryOpScalarListFunctorIS6_Li1ELi1ELi0EEEJSt5minusIS6_EEEEvT_T0_DpT1_.kd
    .uniform_work_group_size: 1
    .uses_dynamic_stack: false
    .vgpr_count:     31
    .vgpr_spill_count: 0
    .wavefront_size: 32
    .workgroup_processor_mode: 1
  - .args:
      - .offset:         0
        .size:           3904
        .value_kind:     by_value
      - .offset:         3904
        .size:           1
        .value_kind:     by_value
      - .offset:         3905
        .size:           1
        .value_kind:     by_value
      - .offset:         3912
        .size:           4
        .value_kind:     hidden_block_count_x
      - .offset:         3916
        .size:           4
        .value_kind:     hidden_block_count_y
      - .offset:         3920
        .size:           4
        .value_kind:     hidden_block_count_z
      - .offset:         3924
        .size:           2
        .value_kind:     hidden_group_size_x
      - .offset:         3926
        .size:           2
        .value_kind:     hidden_group_size_y
      - .offset:         3928
        .size:           2
        .value_kind:     hidden_group_size_z
      - .offset:         3930
        .size:           2
        .value_kind:     hidden_remainder_x
      - .offset:         3932
        .size:           2
        .value_kind:     hidden_remainder_y
      - .offset:         3934
        .size:           2
        .value_kind:     hidden_remainder_z
      - .offset:         3952
        .size:           8
        .value_kind:     hidden_global_offset_x
      - .offset:         3960
        .size:           8
        .value_kind:     hidden_global_offset_y
      - .offset:         3968
        .size:           8
        .value_kind:     hidden_global_offset_z
      - .offset:         3976
        .size:           2
        .value_kind:     hidden_grid_dims
    .group_segment_fixed_size: 4096
    .kernarg_segment_align: 8
    .kernarg_segment_size: 4168
    .language:       OpenCL C
    .language_version:
      - 2
      - 0
    .max_flat_workgroup_size: 512
    .name:           _ZN2at6native12_GLOBAL__N_125multi_tensor_apply_kernelINS1_28TensorListScalarListMetadataIN3c107complexIfEELi1EEENS1_25BinaryOpScalarListFunctorIS6_Li1ELi1ELi0EEEJSt5minusIS6_EEEEvT_T0_DpT1_
    .private_segment_fixed_size: 0
    .sgpr_count:     25
    .sgpr_spill_count: 0
    .symbol:         _ZN2at6native12_GLOBAL__N_125multi_tensor_apply_kernelINS1_28TensorListScalarListMetadataIN3c107complexIfEELi1EEENS1_25BinaryOpScalarListFunctorIS6_Li1ELi1ELi0EEEJSt5minusIS6_EEEEvT_T0_DpT1_.kd
    .uniform_work_group_size: 1
    .uses_dynamic_stack: false
    .vgpr_count:     28
    .vgpr_spill_count: 0
    .wavefront_size: 32
    .workgroup_processor_mode: 1
  - .args:
      - .offset:         0
        .size:           3232
        .value_kind:     by_value
      - .offset:         3232
        .size:           1
        .value_kind:     by_value
      - .offset:         3233
        .size:           1
        .value_kind:     by_value
      - .offset:         3240
        .size:           4
        .value_kind:     hidden_block_count_x
      - .offset:         3244
        .size:           4
        .value_kind:     hidden_block_count_y
      - .offset:         3248
        .size:           4
        .value_kind:     hidden_block_count_z
      - .offset:         3252
        .size:           2
        .value_kind:     hidden_group_size_x
      - .offset:         3254
        .size:           2
        .value_kind:     hidden_group_size_y
      - .offset:         3256
        .size:           2
        .value_kind:     hidden_group_size_z
      - .offset:         3258
        .size:           2
        .value_kind:     hidden_remainder_x
      - .offset:         3260
        .size:           2
        .value_kind:     hidden_remainder_y
      - .offset:         3262
        .size:           2
        .value_kind:     hidden_remainder_z
      - .offset:         3280
        .size:           8
        .value_kind:     hidden_global_offset_x
      - .offset:         3288
        .size:           8
        .value_kind:     hidden_global_offset_y
      - .offset:         3296
        .size:           8
        .value_kind:     hidden_global_offset_z
      - .offset:         3304
        .size:           2
        .value_kind:     hidden_grid_dims
    .group_segment_fixed_size: 0
    .kernarg_segment_align: 8
    .kernarg_segment_size: 3496
    .language:       OpenCL C
    .language_version:
      - 2
      - 0
    .max_flat_workgroup_size: 512
    .name:           _ZN2at6native12_GLOBAL__N_125multi_tensor_apply_kernelINS1_28TensorListScalarListMetadataIbLi1EEENS1_25BinaryOpScalarListFunctorIbLi1ELi1ELi0EEEJSt5minusIbEEEEvT_T0_DpT1_
    .private_segment_fixed_size: 0
    .sgpr_count:     19
    .sgpr_spill_count: 0
    .symbol:         _ZN2at6native12_GLOBAL__N_125multi_tensor_apply_kernelINS1_28TensorListScalarListMetadataIbLi1EEENS1_25BinaryOpScalarListFunctorIbLi1ELi1ELi0EEEJSt5minusIbEEEEvT_T0_DpT1_.kd
    .uniform_work_group_size: 1
    .uses_dynamic_stack: false
    .vgpr_count:     23
    .vgpr_spill_count: 0
    .wavefront_size: 32
    .workgroup_processor_mode: 1
  - .args:
      - .offset:         0
        .size:           3520
        .value_kind:     by_value
      - .offset:         3520
        .size:           1
        .value_kind:     by_value
      - .offset:         3521
        .size:           1
        .value_kind:     by_value
      - .offset:         3528
        .size:           4
        .value_kind:     hidden_block_count_x
      - .offset:         3532
        .size:           4
        .value_kind:     hidden_block_count_y
      - .offset:         3536
        .size:           4
        .value_kind:     hidden_block_count_z
      - .offset:         3540
        .size:           2
        .value_kind:     hidden_group_size_x
      - .offset:         3542
        .size:           2
        .value_kind:     hidden_group_size_y
      - .offset:         3544
        .size:           2
        .value_kind:     hidden_group_size_z
      - .offset:         3546
        .size:           2
        .value_kind:     hidden_remainder_x
      - .offset:         3548
        .size:           2
        .value_kind:     hidden_remainder_y
      - .offset:         3550
        .size:           2
        .value_kind:     hidden_remainder_z
      - .offset:         3568
        .size:           8
        .value_kind:     hidden_global_offset_x
      - .offset:         3576
        .size:           8
        .value_kind:     hidden_global_offset_y
      - .offset:         3584
        .size:           8
        .value_kind:     hidden_global_offset_z
      - .offset:         3592
        .size:           2
        .value_kind:     hidden_grid_dims
    .group_segment_fixed_size: 0
    .kernarg_segment_align: 8
    .kernarg_segment_size: 3784
    .language:       OpenCL C
    .language_version:
      - 2
      - 0
    .max_flat_workgroup_size: 512
    .name:           _ZN2at6native12_GLOBAL__N_125multi_tensor_apply_kernelINS1_28TensorListScalarListMetadataIfLi1EEENS1_25BinaryOpScalarListFunctorIN3c104HalfELi1ELi1ELi0EEEJSt5minusIfEEEEvT_T0_DpT1_
    .private_segment_fixed_size: 0
    .sgpr_count:     23
    .sgpr_spill_count: 0
    .symbol:         _ZN2at6native12_GLOBAL__N_125multi_tensor_apply_kernelINS1_28TensorListScalarListMetadataIfLi1EEENS1_25BinaryOpScalarListFunctorIN3c104HalfELi1ELi1ELi0EEEJSt5minusIfEEEEvT_T0_DpT1_.kd
    .uniform_work_group_size: 1
    .uses_dynamic_stack: false
    .vgpr_count:     17
    .vgpr_spill_count: 0
    .wavefront_size: 32
    .workgroup_processor_mode: 1
  - .args:
      - .offset:         0
        .size:           3520
        .value_kind:     by_value
      - .offset:         3520
        .size:           1
        .value_kind:     by_value
      - .offset:         3521
        .size:           1
        .value_kind:     by_value
      - .offset:         3528
        .size:           4
        .value_kind:     hidden_block_count_x
      - .offset:         3532
        .size:           4
        .value_kind:     hidden_block_count_y
      - .offset:         3536
        .size:           4
        .value_kind:     hidden_block_count_z
      - .offset:         3540
        .size:           2
        .value_kind:     hidden_group_size_x
      - .offset:         3542
        .size:           2
        .value_kind:     hidden_group_size_y
      - .offset:         3544
        .size:           2
        .value_kind:     hidden_group_size_z
      - .offset:         3546
        .size:           2
        .value_kind:     hidden_remainder_x
      - .offset:         3548
        .size:           2
        .value_kind:     hidden_remainder_y
      - .offset:         3550
        .size:           2
        .value_kind:     hidden_remainder_z
      - .offset:         3568
        .size:           8
        .value_kind:     hidden_global_offset_x
      - .offset:         3576
        .size:           8
        .value_kind:     hidden_global_offset_y
      - .offset:         3584
        .size:           8
        .value_kind:     hidden_global_offset_z
      - .offset:         3592
        .size:           2
        .value_kind:     hidden_grid_dims
    .group_segment_fixed_size: 0
    .kernarg_segment_align: 8
    .kernarg_segment_size: 3784
    .language:       OpenCL C
    .language_version:
      - 2
      - 0
    .max_flat_workgroup_size: 512
    .name:           _ZN2at6native12_GLOBAL__N_125multi_tensor_apply_kernelINS1_28TensorListScalarListMetadataIfLi1EEENS1_25BinaryOpScalarListFunctorIN3c108BFloat16ELi1ELi1ELi0EEEJSt5minusIfEEEEvT_T0_DpT1_
    .private_segment_fixed_size: 0
    .sgpr_count:     23
    .sgpr_spill_count: 0
    .symbol:         _ZN2at6native12_GLOBAL__N_125multi_tensor_apply_kernelINS1_28TensorListScalarListMetadataIfLi1EEENS1_25BinaryOpScalarListFunctorIN3c108BFloat16ELi1ELi1ELi0EEEJSt5minusIfEEEEvT_T0_DpT1_.kd
    .uniform_work_group_size: 1
    .uses_dynamic_stack: false
    .vgpr_count:     17
    .vgpr_spill_count: 0
    .wavefront_size: 32
    .workgroup_processor_mode: 1
  - .args:
      - .offset:         0
        .size:           3200
        .value_kind:     by_value
      - .offset:         3200
        .size:           1
        .value_kind:     by_value
      - .offset:         3201
        .size:           1
        .value_kind:     by_value
      - .offset:         3208
        .size:           4
        .value_kind:     hidden_block_count_x
      - .offset:         3212
        .size:           4
        .value_kind:     hidden_block_count_y
      - .offset:         3216
        .size:           4
        .value_kind:     hidden_block_count_z
      - .offset:         3220
        .size:           2
        .value_kind:     hidden_group_size_x
      - .offset:         3222
        .size:           2
        .value_kind:     hidden_group_size_y
      - .offset:         3224
        .size:           2
        .value_kind:     hidden_group_size_z
      - .offset:         3226
        .size:           2
        .value_kind:     hidden_remainder_x
      - .offset:         3228
        .size:           2
        .value_kind:     hidden_remainder_y
      - .offset:         3230
        .size:           2
        .value_kind:     hidden_remainder_z
      - .offset:         3248
        .size:           8
        .value_kind:     hidden_global_offset_x
      - .offset:         3256
        .size:           8
        .value_kind:     hidden_global_offset_y
      - .offset:         3264
        .size:           8
        .value_kind:     hidden_global_offset_z
      - .offset:         3272
        .size:           2
        .value_kind:     hidden_grid_dims
    .group_segment_fixed_size: 0
    .kernarg_segment_align: 8
    .kernarg_segment_size: 3464
    .language:       OpenCL C
    .language_version:
      - 2
      - 0
    .max_flat_workgroup_size: 512
    .name:           _ZN2at6native12_GLOBAL__N_125multi_tensor_apply_kernelINS1_28TensorListScalarListMetadataIhLi2EEENS1_25BinaryOpScalarListFunctorIhLi2ELi1ELi1EEEJSt5minusIhEEEEvT_T0_DpT1_
    .private_segment_fixed_size: 0
    .sgpr_count:     24
    .sgpr_spill_count: 0
    .symbol:         _ZN2at6native12_GLOBAL__N_125multi_tensor_apply_kernelINS1_28TensorListScalarListMetadataIhLi2EEENS1_25BinaryOpScalarListFunctorIhLi2ELi1ELi1EEEJSt5minusIhEEEEvT_T0_DpT1_.kd
    .uniform_work_group_size: 1
    .uses_dynamic_stack: false
    .vgpr_count:     30
    .vgpr_spill_count: 0
    .wavefront_size: 32
    .workgroup_processor_mode: 1
  - .args:
      - .offset:         0
        .size:           3200
        .value_kind:     by_value
      - .offset:         3200
        .size:           1
        .value_kind:     by_value
      - .offset:         3201
        .size:           1
        .value_kind:     by_value
      - .offset:         3208
        .size:           4
        .value_kind:     hidden_block_count_x
      - .offset:         3212
        .size:           4
        .value_kind:     hidden_block_count_y
      - .offset:         3216
        .size:           4
        .value_kind:     hidden_block_count_z
      - .offset:         3220
        .size:           2
        .value_kind:     hidden_group_size_x
      - .offset:         3222
        .size:           2
        .value_kind:     hidden_group_size_y
      - .offset:         3224
        .size:           2
        .value_kind:     hidden_group_size_z
      - .offset:         3226
        .size:           2
        .value_kind:     hidden_remainder_x
      - .offset:         3228
        .size:           2
        .value_kind:     hidden_remainder_y
      - .offset:         3230
        .size:           2
        .value_kind:     hidden_remainder_z
      - .offset:         3248
        .size:           8
        .value_kind:     hidden_global_offset_x
      - .offset:         3256
        .size:           8
        .value_kind:     hidden_global_offset_y
      - .offset:         3264
        .size:           8
        .value_kind:     hidden_global_offset_z
      - .offset:         3272
        .size:           2
        .value_kind:     hidden_grid_dims
    .group_segment_fixed_size: 0
    .kernarg_segment_align: 8
    .kernarg_segment_size: 3464
    .language:       OpenCL C
    .language_version:
      - 2
      - 0
    .max_flat_workgroup_size: 512
    .name:           _ZN2at6native12_GLOBAL__N_125multi_tensor_apply_kernelINS1_28TensorListScalarListMetadataIaLi2EEENS1_25BinaryOpScalarListFunctorIaLi2ELi1ELi1EEEJSt5minusIaEEEEvT_T0_DpT1_
    .private_segment_fixed_size: 0
    .sgpr_count:     24
    .sgpr_spill_count: 0
    .symbol:         _ZN2at6native12_GLOBAL__N_125multi_tensor_apply_kernelINS1_28TensorListScalarListMetadataIaLi2EEENS1_25BinaryOpScalarListFunctorIaLi2ELi1ELi1EEEJSt5minusIaEEEEvT_T0_DpT1_.kd
    .uniform_work_group_size: 1
    .uses_dynamic_stack: false
    .vgpr_count:     30
    .vgpr_spill_count: 0
    .wavefront_size: 32
    .workgroup_processor_mode: 1
  - .args:
      - .offset:         0
        .size:           3392
        .value_kind:     by_value
      - .offset:         3392
        .size:           1
        .value_kind:     by_value
      - .offset:         3393
        .size:           1
        .value_kind:     by_value
      - .offset:         3400
        .size:           4
        .value_kind:     hidden_block_count_x
      - .offset:         3404
        .size:           4
        .value_kind:     hidden_block_count_y
      - .offset:         3408
        .size:           4
        .value_kind:     hidden_block_count_z
      - .offset:         3412
        .size:           2
        .value_kind:     hidden_group_size_x
      - .offset:         3414
        .size:           2
        .value_kind:     hidden_group_size_y
      - .offset:         3416
        .size:           2
        .value_kind:     hidden_group_size_z
      - .offset:         3418
        .size:           2
        .value_kind:     hidden_remainder_x
      - .offset:         3420
        .size:           2
        .value_kind:     hidden_remainder_y
      - .offset:         3422
        .size:           2
        .value_kind:     hidden_remainder_z
      - .offset:         3440
        .size:           8
        .value_kind:     hidden_global_offset_x
      - .offset:         3448
        .size:           8
        .value_kind:     hidden_global_offset_y
      - .offset:         3456
        .size:           8
        .value_kind:     hidden_global_offset_z
      - .offset:         3464
        .size:           2
        .value_kind:     hidden_grid_dims
    .group_segment_fixed_size: 0
    .kernarg_segment_align: 8
    .kernarg_segment_size: 3656
    .language:       OpenCL C
    .language_version:
      - 2
      - 0
    .max_flat_workgroup_size: 512
    .name:           _ZN2at6native12_GLOBAL__N_125multi_tensor_apply_kernelINS1_28TensorListScalarListMetadataIiLi2EEENS1_25BinaryOpScalarListFunctorIiLi2ELi1ELi1EEEJSt5minusIiEEEEvT_T0_DpT1_
    .private_segment_fixed_size: 0
    .sgpr_count:     24
    .sgpr_spill_count: 0
    .symbol:         _ZN2at6native12_GLOBAL__N_125multi_tensor_apply_kernelINS1_28TensorListScalarListMetadataIiLi2EEENS1_25BinaryOpScalarListFunctorIiLi2ELi1ELi1EEEJSt5minusIiEEEEvT_T0_DpT1_.kd
    .uniform_work_group_size: 1
    .uses_dynamic_stack: false
    .vgpr_count:     29
    .vgpr_spill_count: 0
    .wavefront_size: 32
    .workgroup_processor_mode: 1
  - .args:
      - .offset:         0
        .size:           3648
        .value_kind:     by_value
      - .offset:         3648
        .size:           1
        .value_kind:     by_value
      - .offset:         3649
        .size:           1
        .value_kind:     by_value
      - .offset:         3656
        .size:           4
        .value_kind:     hidden_block_count_x
      - .offset:         3660
        .size:           4
        .value_kind:     hidden_block_count_y
      - .offset:         3664
        .size:           4
        .value_kind:     hidden_block_count_z
      - .offset:         3668
        .size:           2
        .value_kind:     hidden_group_size_x
      - .offset:         3670
        .size:           2
        .value_kind:     hidden_group_size_y
      - .offset:         3672
        .size:           2
        .value_kind:     hidden_group_size_z
      - .offset:         3674
        .size:           2
        .value_kind:     hidden_remainder_x
      - .offset:         3676
        .size:           2
        .value_kind:     hidden_remainder_y
      - .offset:         3678
        .size:           2
        .value_kind:     hidden_remainder_z
      - .offset:         3696
        .size:           8
        .value_kind:     hidden_global_offset_x
      - .offset:         3704
        .size:           8
        .value_kind:     hidden_global_offset_y
      - .offset:         3712
        .size:           8
        .value_kind:     hidden_global_offset_z
      - .offset:         3720
        .size:           2
        .value_kind:     hidden_grid_dims
    .group_segment_fixed_size: 0
    .kernarg_segment_align: 8
    .kernarg_segment_size: 3912
    .language:       OpenCL C
    .language_version:
      - 2
      - 0
    .max_flat_workgroup_size: 512
    .name:           _ZN2at6native12_GLOBAL__N_125multi_tensor_apply_kernelINS1_28TensorListScalarListMetadataIlLi2EEENS1_25BinaryOpScalarListFunctorIlLi2ELi1ELi1EEEJSt5minusIlEEEEvT_T0_DpT1_
    .private_segment_fixed_size: 0
    .sgpr_count:     26
    .sgpr_spill_count: 0
    .symbol:         _ZN2at6native12_GLOBAL__N_125multi_tensor_apply_kernelINS1_28TensorListScalarListMetadataIlLi2EEENS1_25BinaryOpScalarListFunctorIlLi2ELi1ELi1EEEJSt5minusIlEEEEvT_T0_DpT1_.kd
    .uniform_work_group_size: 1
    .uses_dynamic_stack: false
    .vgpr_count:     33
    .vgpr_spill_count: 0
    .wavefront_size: 32
    .workgroup_processor_mode: 1
  - .args:
      - .offset:         0
        .size:           3264
        .value_kind:     by_value
      - .offset:         3264
        .size:           1
        .value_kind:     by_value
      - .offset:         3265
        .size:           1
        .value_kind:     by_value
      - .offset:         3272
        .size:           4
        .value_kind:     hidden_block_count_x
      - .offset:         3276
        .size:           4
        .value_kind:     hidden_block_count_y
      - .offset:         3280
        .size:           4
        .value_kind:     hidden_block_count_z
      - .offset:         3284
        .size:           2
        .value_kind:     hidden_group_size_x
      - .offset:         3286
        .size:           2
        .value_kind:     hidden_group_size_y
      - .offset:         3288
        .size:           2
        .value_kind:     hidden_group_size_z
      - .offset:         3290
        .size:           2
        .value_kind:     hidden_remainder_x
      - .offset:         3292
        .size:           2
        .value_kind:     hidden_remainder_y
      - .offset:         3294
        .size:           2
        .value_kind:     hidden_remainder_z
      - .offset:         3312
        .size:           8
        .value_kind:     hidden_global_offset_x
      - .offset:         3320
        .size:           8
        .value_kind:     hidden_global_offset_y
      - .offset:         3328
        .size:           8
        .value_kind:     hidden_global_offset_z
      - .offset:         3336
        .size:           2
        .value_kind:     hidden_grid_dims
    .group_segment_fixed_size: 0
    .kernarg_segment_align: 8
    .kernarg_segment_size: 3528
    .language:       OpenCL C
    .language_version:
      - 2
      - 0
    .max_flat_workgroup_size: 512
    .name:           _ZN2at6native12_GLOBAL__N_125multi_tensor_apply_kernelINS1_28TensorListScalarListMetadataIsLi2EEENS1_25BinaryOpScalarListFunctorIsLi2ELi1ELi1EEEJSt5minusIsEEEEvT_T0_DpT1_
    .private_segment_fixed_size: 0
    .sgpr_count:     23
    .sgpr_spill_count: 0
    .symbol:         _ZN2at6native12_GLOBAL__N_125multi_tensor_apply_kernelINS1_28TensorListScalarListMetadataIsLi2EEENS1_25BinaryOpScalarListFunctorIsLi2ELi1ELi1EEEJSt5minusIsEEEEvT_T0_DpT1_.kd
    .uniform_work_group_size: 1
    .uses_dynamic_stack: false
    .vgpr_count:     30
    .vgpr_spill_count: 0
    .wavefront_size: 32
    .workgroup_processor_mode: 1
  - .args:
      - .offset:         0
        .size:           3648
        .value_kind:     by_value
      - .offset:         3648
        .size:           1
        .value_kind:     by_value
      - .offset:         3649
        .size:           1
        .value_kind:     by_value
      - .offset:         3656
        .size:           4
        .value_kind:     hidden_block_count_x
      - .offset:         3660
        .size:           4
        .value_kind:     hidden_block_count_y
      - .offset:         3664
        .size:           4
        .value_kind:     hidden_block_count_z
      - .offset:         3668
        .size:           2
        .value_kind:     hidden_group_size_x
      - .offset:         3670
        .size:           2
        .value_kind:     hidden_group_size_y
      - .offset:         3672
        .size:           2
        .value_kind:     hidden_group_size_z
      - .offset:         3674
        .size:           2
        .value_kind:     hidden_remainder_x
      - .offset:         3676
        .size:           2
        .value_kind:     hidden_remainder_y
      - .offset:         3678
        .size:           2
        .value_kind:     hidden_remainder_z
      - .offset:         3696
        .size:           8
        .value_kind:     hidden_global_offset_x
      - .offset:         3704
        .size:           8
        .value_kind:     hidden_global_offset_y
      - .offset:         3712
        .size:           8
        .value_kind:     hidden_global_offset_z
      - .offset:         3720
        .size:           2
        .value_kind:     hidden_grid_dims
    .group_segment_fixed_size: 0
    .kernarg_segment_align: 8
    .kernarg_segment_size: 3912
    .language:       OpenCL C
    .language_version:
      - 2
      - 0
    .max_flat_workgroup_size: 512
    .name:           _ZN2at6native12_GLOBAL__N_125multi_tensor_apply_kernelINS1_28TensorListScalarListMetadataIdLi2EEENS1_25BinaryOpScalarListFunctorIdLi2ELi1ELi1EEEJSt5minusIdEEEEvT_T0_DpT1_
    .private_segment_fixed_size: 0
    .sgpr_count:     26
    .sgpr_spill_count: 0
    .symbol:         _ZN2at6native12_GLOBAL__N_125multi_tensor_apply_kernelINS1_28TensorListScalarListMetadataIdLi2EEENS1_25BinaryOpScalarListFunctorIdLi2ELi1ELi1EEEJSt5minusIdEEEEvT_T0_DpT1_.kd
    .uniform_work_group_size: 1
    .uses_dynamic_stack: false
    .vgpr_count:     33
    .vgpr_spill_count: 0
    .wavefront_size: 32
    .workgroup_processor_mode: 1
  - .args:
      - .offset:         0
        .size:           3392
        .value_kind:     by_value
      - .offset:         3392
        .size:           1
        .value_kind:     by_value
      - .offset:         3393
        .size:           1
        .value_kind:     by_value
      - .offset:         3400
        .size:           4
        .value_kind:     hidden_block_count_x
      - .offset:         3404
        .size:           4
        .value_kind:     hidden_block_count_y
      - .offset:         3408
        .size:           4
        .value_kind:     hidden_block_count_z
      - .offset:         3412
        .size:           2
        .value_kind:     hidden_group_size_x
      - .offset:         3414
        .size:           2
        .value_kind:     hidden_group_size_y
      - .offset:         3416
        .size:           2
        .value_kind:     hidden_group_size_z
      - .offset:         3418
        .size:           2
        .value_kind:     hidden_remainder_x
      - .offset:         3420
        .size:           2
        .value_kind:     hidden_remainder_y
      - .offset:         3422
        .size:           2
        .value_kind:     hidden_remainder_z
      - .offset:         3440
        .size:           8
        .value_kind:     hidden_global_offset_x
      - .offset:         3448
        .size:           8
        .value_kind:     hidden_global_offset_y
      - .offset:         3456
        .size:           8
        .value_kind:     hidden_global_offset_z
      - .offset:         3464
        .size:           2
        .value_kind:     hidden_grid_dims
    .group_segment_fixed_size: 0
    .kernarg_segment_align: 8
    .kernarg_segment_size: 3656
    .language:       OpenCL C
    .language_version:
      - 2
      - 0
    .max_flat_workgroup_size: 512
    .name:           _ZN2at6native12_GLOBAL__N_125multi_tensor_apply_kernelINS1_28TensorListScalarListMetadataIfLi2EEENS1_25BinaryOpScalarListFunctorIfLi2ELi1ELi1EEEJSt5minusIfEEEEvT_T0_DpT1_
    .private_segment_fixed_size: 0
    .sgpr_count:     24
    .sgpr_spill_count: 0
    .symbol:         _ZN2at6native12_GLOBAL__N_125multi_tensor_apply_kernelINS1_28TensorListScalarListMetadataIfLi2EEENS1_25BinaryOpScalarListFunctorIfLi2ELi1ELi1EEEJSt5minusIfEEEEvT_T0_DpT1_.kd
    .uniform_work_group_size: 1
    .uses_dynamic_stack: false
    .vgpr_count:     29
    .vgpr_spill_count: 0
    .wavefront_size: 32
    .workgroup_processor_mode: 1
  - .args:
      - .offset:         0
        .size:           4000
        .value_kind:     by_value
      - .offset:         4000
        .size:           1
        .value_kind:     by_value
      - .offset:         4001
        .size:           1
        .value_kind:     by_value
      - .offset:         4008
        .size:           4
        .value_kind:     hidden_block_count_x
      - .offset:         4012
        .size:           4
        .value_kind:     hidden_block_count_y
      - .offset:         4016
        .size:           4
        .value_kind:     hidden_block_count_z
      - .offset:         4020
        .size:           2
        .value_kind:     hidden_group_size_x
      - .offset:         4022
        .size:           2
        .value_kind:     hidden_group_size_y
      - .offset:         4024
        .size:           2
        .value_kind:     hidden_group_size_z
      - .offset:         4026
        .size:           2
        .value_kind:     hidden_remainder_x
      - .offset:         4028
        .size:           2
        .value_kind:     hidden_remainder_y
      - .offset:         4030
        .size:           2
        .value_kind:     hidden_remainder_z
      - .offset:         4048
        .size:           8
        .value_kind:     hidden_global_offset_x
      - .offset:         4056
        .size:           8
        .value_kind:     hidden_global_offset_y
      - .offset:         4064
        .size:           8
        .value_kind:     hidden_global_offset_z
      - .offset:         4072
        .size:           2
        .value_kind:     hidden_grid_dims
    .group_segment_fixed_size: 0
    .kernarg_segment_align: 16
    .kernarg_segment_size: 4264
    .language:       OpenCL C
    .language_version:
      - 2
      - 0
    .max_flat_workgroup_size: 512
    .name:           _ZN2at6native12_GLOBAL__N_125multi_tensor_apply_kernelINS1_28TensorListScalarListMetadataIN3c107complexIdEELi2EEENS1_25BinaryOpScalarListFunctorIS6_Li2ELi1ELi1EEEJSt5minusIS6_EEEEvT_T0_DpT1_
    .private_segment_fixed_size: 0
    .sgpr_count:     30
    .sgpr_spill_count: 0
    .symbol:         _ZN2at6native12_GLOBAL__N_125multi_tensor_apply_kernelINS1_28TensorListScalarListMetadataIN3c107complexIdEELi2EEENS1_25BinaryOpScalarListFunctorIS6_Li2ELi1ELi1EEEJSt5minusIS6_EEEEvT_T0_DpT1_.kd
    .uniform_work_group_size: 1
    .uses_dynamic_stack: false
    .vgpr_count:     37
    .vgpr_spill_count: 0
    .wavefront_size: 32
    .workgroup_processor_mode: 1
  - .args:
      - .offset:         0
        .size:           3648
        .value_kind:     by_value
      - .offset:         3648
        .size:           1
        .value_kind:     by_value
      - .offset:         3649
        .size:           1
        .value_kind:     by_value
      - .offset:         3656
        .size:           4
        .value_kind:     hidden_block_count_x
      - .offset:         3660
        .size:           4
        .value_kind:     hidden_block_count_y
      - .offset:         3664
        .size:           4
        .value_kind:     hidden_block_count_z
      - .offset:         3668
        .size:           2
        .value_kind:     hidden_group_size_x
      - .offset:         3670
        .size:           2
        .value_kind:     hidden_group_size_y
      - .offset:         3672
        .size:           2
        .value_kind:     hidden_group_size_z
      - .offset:         3674
        .size:           2
        .value_kind:     hidden_remainder_x
      - .offset:         3676
        .size:           2
        .value_kind:     hidden_remainder_y
      - .offset:         3678
        .size:           2
        .value_kind:     hidden_remainder_z
      - .offset:         3696
        .size:           8
        .value_kind:     hidden_global_offset_x
      - .offset:         3704
        .size:           8
        .value_kind:     hidden_global_offset_y
      - .offset:         3712
        .size:           8
        .value_kind:     hidden_global_offset_z
      - .offset:         3720
        .size:           2
        .value_kind:     hidden_grid_dims
    .group_segment_fixed_size: 4096
    .kernarg_segment_align: 8
    .kernarg_segment_size: 3912
    .language:       OpenCL C
    .language_version:
      - 2
      - 0
    .max_flat_workgroup_size: 512
    .name:           _ZN2at6native12_GLOBAL__N_125multi_tensor_apply_kernelINS1_28TensorListScalarListMetadataIN3c107complexIfEELi2EEENS1_25BinaryOpScalarListFunctorIS6_Li2ELi1ELi1EEEJSt5minusIS6_EEEEvT_T0_DpT1_
    .private_segment_fixed_size: 0
    .sgpr_count:     27
    .sgpr_spill_count: 0
    .symbol:         _ZN2at6native12_GLOBAL__N_125multi_tensor_apply_kernelINS1_28TensorListScalarListMetadataIN3c107complexIfEELi2EEENS1_25BinaryOpScalarListFunctorIS6_Li2ELi1ELi1EEEJSt5minusIS6_EEEEvT_T0_DpT1_.kd
    .uniform_work_group_size: 1
    .uses_dynamic_stack: false
    .vgpr_count:     33
    .vgpr_spill_count: 0
    .wavefront_size: 32
    .workgroup_processor_mode: 1
  - .args:
      - .offset:         0
        .size:           3200
        .value_kind:     by_value
      - .offset:         3200
        .size:           1
        .value_kind:     by_value
      - .offset:         3201
        .size:           1
        .value_kind:     by_value
      - .offset:         3208
        .size:           4
        .value_kind:     hidden_block_count_x
      - .offset:         3212
        .size:           4
        .value_kind:     hidden_block_count_y
      - .offset:         3216
        .size:           4
        .value_kind:     hidden_block_count_z
      - .offset:         3220
        .size:           2
        .value_kind:     hidden_group_size_x
      - .offset:         3222
        .size:           2
        .value_kind:     hidden_group_size_y
      - .offset:         3224
        .size:           2
        .value_kind:     hidden_group_size_z
      - .offset:         3226
        .size:           2
        .value_kind:     hidden_remainder_x
      - .offset:         3228
        .size:           2
        .value_kind:     hidden_remainder_y
      - .offset:         3230
        .size:           2
        .value_kind:     hidden_remainder_z
      - .offset:         3248
        .size:           8
        .value_kind:     hidden_global_offset_x
      - .offset:         3256
        .size:           8
        .value_kind:     hidden_global_offset_y
      - .offset:         3264
        .size:           8
        .value_kind:     hidden_global_offset_z
      - .offset:         3272
        .size:           2
        .value_kind:     hidden_grid_dims
    .group_segment_fixed_size: 0
    .kernarg_segment_align: 8
    .kernarg_segment_size: 3464
    .language:       OpenCL C
    .language_version:
      - 2
      - 0
    .max_flat_workgroup_size: 512
    .name:           _ZN2at6native12_GLOBAL__N_125multi_tensor_apply_kernelINS1_28TensorListScalarListMetadataIbLi2EEENS1_25BinaryOpScalarListFunctorIbLi2ELi1ELi1EEEJSt5minusIbEEEEvT_T0_DpT1_
    .private_segment_fixed_size: 0
    .sgpr_count:     24
    .sgpr_spill_count: 0
    .symbol:         _ZN2at6native12_GLOBAL__N_125multi_tensor_apply_kernelINS1_28TensorListScalarListMetadataIbLi2EEENS1_25BinaryOpScalarListFunctorIbLi2ELi1ELi1EEEJSt5minusIbEEEEvT_T0_DpT1_.kd
    .uniform_work_group_size: 1
    .uses_dynamic_stack: false
    .vgpr_count:     31
    .vgpr_spill_count: 0
    .wavefront_size: 32
    .workgroup_processor_mode: 1
  - .args:
      - .offset:         0
        .size:           3392
        .value_kind:     by_value
      - .offset:         3392
        .size:           1
        .value_kind:     by_value
      - .offset:         3393
        .size:           1
        .value_kind:     by_value
      - .offset:         3400
        .size:           4
        .value_kind:     hidden_block_count_x
      - .offset:         3404
        .size:           4
        .value_kind:     hidden_block_count_y
      - .offset:         3408
        .size:           4
        .value_kind:     hidden_block_count_z
      - .offset:         3412
        .size:           2
        .value_kind:     hidden_group_size_x
      - .offset:         3414
        .size:           2
        .value_kind:     hidden_group_size_y
      - .offset:         3416
        .size:           2
        .value_kind:     hidden_group_size_z
      - .offset:         3418
        .size:           2
        .value_kind:     hidden_remainder_x
      - .offset:         3420
        .size:           2
        .value_kind:     hidden_remainder_y
      - .offset:         3422
        .size:           2
        .value_kind:     hidden_remainder_z
      - .offset:         3440
        .size:           8
        .value_kind:     hidden_global_offset_x
      - .offset:         3448
        .size:           8
        .value_kind:     hidden_global_offset_y
      - .offset:         3456
        .size:           8
        .value_kind:     hidden_global_offset_z
      - .offset:         3464
        .size:           2
        .value_kind:     hidden_grid_dims
    .group_segment_fixed_size: 0
    .kernarg_segment_align: 8
    .kernarg_segment_size: 3656
    .language:       OpenCL C
    .language_version:
      - 2
      - 0
    .max_flat_workgroup_size: 512
    .name:           _ZN2at6native12_GLOBAL__N_125multi_tensor_apply_kernelINS1_28TensorListScalarListMetadataIfLi2EEENS1_25BinaryOpScalarListFunctorIN3c104HalfELi2ELi1ELi1EEEJSt5minusIfEEEEvT_T0_DpT1_
    .private_segment_fixed_size: 0
    .sgpr_count:     24
    .sgpr_spill_count: 0
    .symbol:         _ZN2at6native12_GLOBAL__N_125multi_tensor_apply_kernelINS1_28TensorListScalarListMetadataIfLi2EEENS1_25BinaryOpScalarListFunctorIN3c104HalfELi2ELi1ELi1EEEJSt5minusIfEEEEvT_T0_DpT1_.kd
    .uniform_work_group_size: 1
    .uses_dynamic_stack: false
    .vgpr_count:     29
    .vgpr_spill_count: 0
    .wavefront_size: 32
    .workgroup_processor_mode: 1
  - .args:
      - .offset:         0
        .size:           3392
        .value_kind:     by_value
      - .offset:         3392
        .size:           1
        .value_kind:     by_value
      - .offset:         3393
        .size:           1
        .value_kind:     by_value
      - .offset:         3400
        .size:           4
        .value_kind:     hidden_block_count_x
      - .offset:         3404
        .size:           4
        .value_kind:     hidden_block_count_y
      - .offset:         3408
        .size:           4
        .value_kind:     hidden_block_count_z
      - .offset:         3412
        .size:           2
        .value_kind:     hidden_group_size_x
      - .offset:         3414
        .size:           2
        .value_kind:     hidden_group_size_y
      - .offset:         3416
        .size:           2
        .value_kind:     hidden_group_size_z
      - .offset:         3418
        .size:           2
        .value_kind:     hidden_remainder_x
      - .offset:         3420
        .size:           2
        .value_kind:     hidden_remainder_y
      - .offset:         3422
        .size:           2
        .value_kind:     hidden_remainder_z
      - .offset:         3440
        .size:           8
        .value_kind:     hidden_global_offset_x
      - .offset:         3448
        .size:           8
        .value_kind:     hidden_global_offset_y
      - .offset:         3456
        .size:           8
        .value_kind:     hidden_global_offset_z
      - .offset:         3464
        .size:           2
        .value_kind:     hidden_grid_dims
    .group_segment_fixed_size: 0
    .kernarg_segment_align: 8
    .kernarg_segment_size: 3656
    .language:       OpenCL C
    .language_version:
      - 2
      - 0
    .max_flat_workgroup_size: 512
    .name:           _ZN2at6native12_GLOBAL__N_125multi_tensor_apply_kernelINS1_28TensorListScalarListMetadataIfLi2EEENS1_25BinaryOpScalarListFunctorIN3c108BFloat16ELi2ELi1ELi1EEEJSt5minusIfEEEEvT_T0_DpT1_
    .private_segment_fixed_size: 0
    .sgpr_count:     24
    .sgpr_spill_count: 0
    .symbol:         _ZN2at6native12_GLOBAL__N_125multi_tensor_apply_kernelINS1_28TensorListScalarListMetadataIfLi2EEENS1_25BinaryOpScalarListFunctorIN3c108BFloat16ELi2ELi1ELi1EEEJSt5minusIfEEEEvT_T0_DpT1_.kd
    .uniform_work_group_size: 1
    .uses_dynamic_stack: false
    .vgpr_count:     30
    .vgpr_spill_count: 0
    .wavefront_size: 32
    .workgroup_processor_mode: 1
  - .args:
      - .offset:         0
        .size:           3232
        .value_kind:     by_value
      - .offset:         3232
        .size:           1
        .value_kind:     by_value
      - .offset:         3233
        .size:           1
        .value_kind:     by_value
      - .offset:         3240
        .size:           4
        .value_kind:     hidden_block_count_x
      - .offset:         3244
        .size:           4
        .value_kind:     hidden_block_count_y
      - .offset:         3248
        .size:           4
        .value_kind:     hidden_block_count_z
      - .offset:         3252
        .size:           2
        .value_kind:     hidden_group_size_x
      - .offset:         3254
        .size:           2
        .value_kind:     hidden_group_size_y
      - .offset:         3256
        .size:           2
        .value_kind:     hidden_group_size_z
      - .offset:         3258
        .size:           2
        .value_kind:     hidden_remainder_x
      - .offset:         3260
        .size:           2
        .value_kind:     hidden_remainder_y
      - .offset:         3262
        .size:           2
        .value_kind:     hidden_remainder_z
      - .offset:         3280
        .size:           8
        .value_kind:     hidden_global_offset_x
      - .offset:         3288
        .size:           8
        .value_kind:     hidden_global_offset_y
      - .offset:         3296
        .size:           8
        .value_kind:     hidden_global_offset_z
      - .offset:         3304
        .size:           2
        .value_kind:     hidden_grid_dims
    .group_segment_fixed_size: 0
    .kernarg_segment_align: 8
    .kernarg_segment_size: 3496
    .language:       OpenCL C
    .language_version:
      - 2
      - 0
    .max_flat_workgroup_size: 512
    .name:           _ZN2at6native12_GLOBAL__N_125multi_tensor_apply_kernelINS1_28TensorListScalarListMetadataIhLi1EEENS1_25BinaryOpScalarListFunctorIhLi1ELi1ELi0EEEJNS0_7minimumIhEEEEEvT_T0_DpT1_
    .private_segment_fixed_size: 0
    .sgpr_count:     19
    .sgpr_spill_count: 0
    .symbol:         _ZN2at6native12_GLOBAL__N_125multi_tensor_apply_kernelINS1_28TensorListScalarListMetadataIhLi1EEENS1_25BinaryOpScalarListFunctorIhLi1ELi1ELi0EEEJNS0_7minimumIhEEEEEvT_T0_DpT1_.kd
    .uniform_work_group_size: 1
    .uses_dynamic_stack: false
    .vgpr_count:     23
    .vgpr_spill_count: 0
    .wavefront_size: 32
    .workgroup_processor_mode: 1
  - .args:
      - .offset:         0
        .size:           3232
        .value_kind:     by_value
      - .offset:         3232
        .size:           1
        .value_kind:     by_value
      - .offset:         3233
        .size:           1
        .value_kind:     by_value
      - .offset:         3240
        .size:           4
        .value_kind:     hidden_block_count_x
      - .offset:         3244
        .size:           4
        .value_kind:     hidden_block_count_y
      - .offset:         3248
        .size:           4
        .value_kind:     hidden_block_count_z
      - .offset:         3252
        .size:           2
        .value_kind:     hidden_group_size_x
      - .offset:         3254
        .size:           2
        .value_kind:     hidden_group_size_y
      - .offset:         3256
        .size:           2
        .value_kind:     hidden_group_size_z
      - .offset:         3258
        .size:           2
        .value_kind:     hidden_remainder_x
      - .offset:         3260
        .size:           2
        .value_kind:     hidden_remainder_y
      - .offset:         3262
        .size:           2
        .value_kind:     hidden_remainder_z
      - .offset:         3280
        .size:           8
        .value_kind:     hidden_global_offset_x
      - .offset:         3288
        .size:           8
        .value_kind:     hidden_global_offset_y
      - .offset:         3296
        .size:           8
        .value_kind:     hidden_global_offset_z
      - .offset:         3304
        .size:           2
        .value_kind:     hidden_grid_dims
    .group_segment_fixed_size: 0
    .kernarg_segment_align: 8
    .kernarg_segment_size: 3496
    .language:       OpenCL C
    .language_version:
      - 2
      - 0
    .max_flat_workgroup_size: 512
    .name:           _ZN2at6native12_GLOBAL__N_125multi_tensor_apply_kernelINS1_28TensorListScalarListMetadataIaLi1EEENS1_25BinaryOpScalarListFunctorIaLi1ELi1ELi0EEEJNS0_7minimumIaEEEEEvT_T0_DpT1_
    .private_segment_fixed_size: 0
    .sgpr_count:     20
    .sgpr_spill_count: 0
    .symbol:         _ZN2at6native12_GLOBAL__N_125multi_tensor_apply_kernelINS1_28TensorListScalarListMetadataIaLi1EEENS1_25BinaryOpScalarListFunctorIaLi1ELi1ELi0EEEJNS0_7minimumIaEEEEEvT_T0_DpT1_.kd
    .uniform_work_group_size: 1
    .uses_dynamic_stack: false
    .vgpr_count:     21
    .vgpr_spill_count: 0
    .wavefront_size: 32
    .workgroup_processor_mode: 1
  - .args:
      - .offset:         0
        .size:           3520
        .value_kind:     by_value
      - .offset:         3520
        .size:           1
        .value_kind:     by_value
      - .offset:         3521
        .size:           1
        .value_kind:     by_value
      - .offset:         3528
        .size:           4
        .value_kind:     hidden_block_count_x
      - .offset:         3532
        .size:           4
        .value_kind:     hidden_block_count_y
      - .offset:         3536
        .size:           4
        .value_kind:     hidden_block_count_z
      - .offset:         3540
        .size:           2
        .value_kind:     hidden_group_size_x
      - .offset:         3542
        .size:           2
        .value_kind:     hidden_group_size_y
      - .offset:         3544
        .size:           2
        .value_kind:     hidden_group_size_z
      - .offset:         3546
        .size:           2
        .value_kind:     hidden_remainder_x
      - .offset:         3548
        .size:           2
        .value_kind:     hidden_remainder_y
      - .offset:         3550
        .size:           2
        .value_kind:     hidden_remainder_z
      - .offset:         3568
        .size:           8
        .value_kind:     hidden_global_offset_x
      - .offset:         3576
        .size:           8
        .value_kind:     hidden_global_offset_y
      - .offset:         3584
        .size:           8
        .value_kind:     hidden_global_offset_z
      - .offset:         3592
        .size:           2
        .value_kind:     hidden_grid_dims
    .group_segment_fixed_size: 0
    .kernarg_segment_align: 8
    .kernarg_segment_size: 3784
    .language:       OpenCL C
    .language_version:
      - 2
      - 0
    .max_flat_workgroup_size: 512
    .name:           _ZN2at6native12_GLOBAL__N_125multi_tensor_apply_kernelINS1_28TensorListScalarListMetadataIiLi1EEENS1_25BinaryOpScalarListFunctorIiLi1ELi1ELi0EEEJNS0_7minimumIiEEEEEvT_T0_DpT1_
    .private_segment_fixed_size: 0
    .sgpr_count:     24
    .sgpr_spill_count: 0
    .symbol:         _ZN2at6native12_GLOBAL__N_125multi_tensor_apply_kernelINS1_28TensorListScalarListMetadataIiLi1EEENS1_25BinaryOpScalarListFunctorIiLi1ELi1ELi0EEEJNS0_7minimumIiEEEEEvT_T0_DpT1_.kd
    .uniform_work_group_size: 1
    .uses_dynamic_stack: false
    .vgpr_count:     17
    .vgpr_spill_count: 0
    .wavefront_size: 32
    .workgroup_processor_mode: 1
  - .args:
      - .offset:         0
        .size:           3904
        .value_kind:     by_value
      - .offset:         3904
        .size:           1
        .value_kind:     by_value
      - .offset:         3905
        .size:           1
        .value_kind:     by_value
      - .offset:         3912
        .size:           4
        .value_kind:     hidden_block_count_x
      - .offset:         3916
        .size:           4
        .value_kind:     hidden_block_count_y
      - .offset:         3920
        .size:           4
        .value_kind:     hidden_block_count_z
      - .offset:         3924
        .size:           2
        .value_kind:     hidden_group_size_x
      - .offset:         3926
        .size:           2
        .value_kind:     hidden_group_size_y
      - .offset:         3928
        .size:           2
        .value_kind:     hidden_group_size_z
      - .offset:         3930
        .size:           2
        .value_kind:     hidden_remainder_x
      - .offset:         3932
        .size:           2
        .value_kind:     hidden_remainder_y
      - .offset:         3934
        .size:           2
        .value_kind:     hidden_remainder_z
      - .offset:         3952
        .size:           8
        .value_kind:     hidden_global_offset_x
      - .offset:         3960
        .size:           8
        .value_kind:     hidden_global_offset_y
      - .offset:         3968
        .size:           8
        .value_kind:     hidden_global_offset_z
      - .offset:         3976
        .size:           2
        .value_kind:     hidden_grid_dims
    .group_segment_fixed_size: 0
    .kernarg_segment_align: 8
    .kernarg_segment_size: 4168
    .language:       OpenCL C
    .language_version:
      - 2
      - 0
    .max_flat_workgroup_size: 512
    .name:           _ZN2at6native12_GLOBAL__N_125multi_tensor_apply_kernelINS1_28TensorListScalarListMetadataIlLi1EEENS1_25BinaryOpScalarListFunctorIlLi1ELi1ELi0EEEJNS0_7minimumIlEEEEEvT_T0_DpT1_
    .private_segment_fixed_size: 0
    .sgpr_count:     25
    .sgpr_spill_count: 0
    .symbol:         _ZN2at6native12_GLOBAL__N_125multi_tensor_apply_kernelINS1_28TensorListScalarListMetadataIlLi1EEENS1_25BinaryOpScalarListFunctorIlLi1ELi1ELi0EEEJNS0_7minimumIlEEEEEvT_T0_DpT1_.kd
    .uniform_work_group_size: 1
    .uses_dynamic_stack: false
    .vgpr_count:     21
    .vgpr_spill_count: 0
    .wavefront_size: 32
    .workgroup_processor_mode: 1
  - .args:
      - .offset:         0
        .size:           3328
        .value_kind:     by_value
      - .offset:         3328
        .size:           1
        .value_kind:     by_value
      - .offset:         3329
        .size:           1
        .value_kind:     by_value
      - .offset:         3336
        .size:           4
        .value_kind:     hidden_block_count_x
      - .offset:         3340
        .size:           4
        .value_kind:     hidden_block_count_y
      - .offset:         3344
        .size:           4
        .value_kind:     hidden_block_count_z
      - .offset:         3348
        .size:           2
        .value_kind:     hidden_group_size_x
      - .offset:         3350
        .size:           2
        .value_kind:     hidden_group_size_y
      - .offset:         3352
        .size:           2
        .value_kind:     hidden_group_size_z
      - .offset:         3354
        .size:           2
        .value_kind:     hidden_remainder_x
      - .offset:         3356
        .size:           2
        .value_kind:     hidden_remainder_y
      - .offset:         3358
        .size:           2
        .value_kind:     hidden_remainder_z
      - .offset:         3376
        .size:           8
        .value_kind:     hidden_global_offset_x
      - .offset:         3384
        .size:           8
        .value_kind:     hidden_global_offset_y
      - .offset:         3392
        .size:           8
        .value_kind:     hidden_global_offset_z
      - .offset:         3400
        .size:           2
        .value_kind:     hidden_grid_dims
    .group_segment_fixed_size: 0
    .kernarg_segment_align: 8
    .kernarg_segment_size: 3592
    .language:       OpenCL C
    .language_version:
      - 2
      - 0
    .max_flat_workgroup_size: 512
    .name:           _ZN2at6native12_GLOBAL__N_125multi_tensor_apply_kernelINS1_28TensorListScalarListMetadataIsLi1EEENS1_25BinaryOpScalarListFunctorIsLi1ELi1ELi0EEEJNS0_7minimumIsEEEEEvT_T0_DpT1_
    .private_segment_fixed_size: 0
    .sgpr_count:     22
    .sgpr_spill_count: 0
    .symbol:         _ZN2at6native12_GLOBAL__N_125multi_tensor_apply_kernelINS1_28TensorListScalarListMetadataIsLi1EEENS1_25BinaryOpScalarListFunctorIsLi1ELi1ELi0EEEJNS0_7minimumIsEEEEEvT_T0_DpT1_.kd
    .uniform_work_group_size: 1
    .uses_dynamic_stack: false
    .vgpr_count:     18
    .vgpr_spill_count: 0
    .wavefront_size: 32
    .workgroup_processor_mode: 1
  - .args:
      - .offset:         0
        .size:           3904
        .value_kind:     by_value
      - .offset:         3904
        .size:           1
        .value_kind:     by_value
      - .offset:         3905
        .size:           1
        .value_kind:     by_value
      - .offset:         3912
        .size:           4
        .value_kind:     hidden_block_count_x
      - .offset:         3916
        .size:           4
        .value_kind:     hidden_block_count_y
      - .offset:         3920
        .size:           4
        .value_kind:     hidden_block_count_z
      - .offset:         3924
        .size:           2
        .value_kind:     hidden_group_size_x
      - .offset:         3926
        .size:           2
        .value_kind:     hidden_group_size_y
      - .offset:         3928
        .size:           2
        .value_kind:     hidden_group_size_z
      - .offset:         3930
        .size:           2
        .value_kind:     hidden_remainder_x
      - .offset:         3932
        .size:           2
        .value_kind:     hidden_remainder_y
      - .offset:         3934
        .size:           2
        .value_kind:     hidden_remainder_z
      - .offset:         3952
        .size:           8
        .value_kind:     hidden_global_offset_x
      - .offset:         3960
        .size:           8
        .value_kind:     hidden_global_offset_y
      - .offset:         3968
        .size:           8
        .value_kind:     hidden_global_offset_z
      - .offset:         3976
        .size:           2
        .value_kind:     hidden_grid_dims
    .group_segment_fixed_size: 0
    .kernarg_segment_align: 8
    .kernarg_segment_size: 4168
    .language:       OpenCL C
    .language_version:
      - 2
      - 0
    .max_flat_workgroup_size: 512
    .name:           _ZN2at6native12_GLOBAL__N_125multi_tensor_apply_kernelINS1_28TensorListScalarListMetadataIdLi1EEENS1_25BinaryOpScalarListFunctorIdLi1ELi1ELi0EEEJNS0_7minimumIdEEEEEvT_T0_DpT1_
    .private_segment_fixed_size: 0
    .sgpr_count:     25
    .sgpr_spill_count: 0
    .symbol:         _ZN2at6native12_GLOBAL__N_125multi_tensor_apply_kernelINS1_28TensorListScalarListMetadataIdLi1EEENS1_25BinaryOpScalarListFunctorIdLi1ELi1ELi0EEEJNS0_7minimumIdEEEEEvT_T0_DpT1_.kd
    .uniform_work_group_size: 1
    .uses_dynamic_stack: false
    .vgpr_count:     21
    .vgpr_spill_count: 0
    .wavefront_size: 32
    .workgroup_processor_mode: 1
  - .args:
      - .offset:         0
        .size:           3520
        .value_kind:     by_value
      - .offset:         3520
        .size:           1
        .value_kind:     by_value
      - .offset:         3521
        .size:           1
        .value_kind:     by_value
      - .offset:         3528
        .size:           4
        .value_kind:     hidden_block_count_x
      - .offset:         3532
        .size:           4
        .value_kind:     hidden_block_count_y
      - .offset:         3536
        .size:           4
        .value_kind:     hidden_block_count_z
      - .offset:         3540
        .size:           2
        .value_kind:     hidden_group_size_x
      - .offset:         3542
        .size:           2
        .value_kind:     hidden_group_size_y
      - .offset:         3544
        .size:           2
        .value_kind:     hidden_group_size_z
      - .offset:         3546
        .size:           2
        .value_kind:     hidden_remainder_x
      - .offset:         3548
        .size:           2
        .value_kind:     hidden_remainder_y
      - .offset:         3550
        .size:           2
        .value_kind:     hidden_remainder_z
      - .offset:         3568
        .size:           8
        .value_kind:     hidden_global_offset_x
      - .offset:         3576
        .size:           8
        .value_kind:     hidden_global_offset_y
      - .offset:         3584
        .size:           8
        .value_kind:     hidden_global_offset_z
      - .offset:         3592
        .size:           2
        .value_kind:     hidden_grid_dims
    .group_segment_fixed_size: 0
    .kernarg_segment_align: 8
    .kernarg_segment_size: 3784
    .language:       OpenCL C
    .language_version:
      - 2
      - 0
    .max_flat_workgroup_size: 512
    .name:           _ZN2at6native12_GLOBAL__N_125multi_tensor_apply_kernelINS1_28TensorListScalarListMetadataIfLi1EEENS1_25BinaryOpScalarListFunctorIfLi1ELi1ELi0EEEJNS0_7minimumIfEEEEEvT_T0_DpT1_
    .private_segment_fixed_size: 0
    .sgpr_count:     24
    .sgpr_spill_count: 0
    .symbol:         _ZN2at6native12_GLOBAL__N_125multi_tensor_apply_kernelINS1_28TensorListScalarListMetadataIfLi1EEENS1_25BinaryOpScalarListFunctorIfLi1ELi1ELi0EEEJNS0_7minimumIfEEEEEvT_T0_DpT1_.kd
    .uniform_work_group_size: 1
    .uses_dynamic_stack: false
    .vgpr_count:     17
    .vgpr_spill_count: 0
    .wavefront_size: 32
    .workgroup_processor_mode: 1
  - .args:
      - .offset:         0
        .size:           3520
        .value_kind:     by_value
      - .offset:         3520
        .size:           1
        .value_kind:     by_value
      - .offset:         3521
        .size:           1
        .value_kind:     by_value
      - .offset:         3528
        .size:           4
        .value_kind:     hidden_block_count_x
      - .offset:         3532
        .size:           4
        .value_kind:     hidden_block_count_y
      - .offset:         3536
        .size:           4
        .value_kind:     hidden_block_count_z
      - .offset:         3540
        .size:           2
        .value_kind:     hidden_group_size_x
      - .offset:         3542
        .size:           2
        .value_kind:     hidden_group_size_y
      - .offset:         3544
        .size:           2
        .value_kind:     hidden_group_size_z
      - .offset:         3546
        .size:           2
        .value_kind:     hidden_remainder_x
      - .offset:         3548
        .size:           2
        .value_kind:     hidden_remainder_y
      - .offset:         3550
        .size:           2
        .value_kind:     hidden_remainder_z
      - .offset:         3568
        .size:           8
        .value_kind:     hidden_global_offset_x
      - .offset:         3576
        .size:           8
        .value_kind:     hidden_global_offset_y
      - .offset:         3584
        .size:           8
        .value_kind:     hidden_global_offset_z
      - .offset:         3592
        .size:           2
        .value_kind:     hidden_grid_dims
    .group_segment_fixed_size: 0
    .kernarg_segment_align: 8
    .kernarg_segment_size: 3784
    .language:       OpenCL C
    .language_version:
      - 2
      - 0
    .max_flat_workgroup_size: 512
    .name:           _ZN2at6native12_GLOBAL__N_125multi_tensor_apply_kernelINS1_28TensorListScalarListMetadataIfLi1EEENS1_25BinaryOpScalarListFunctorIN3c104HalfELi1ELi1ELi0EEEJNS0_7minimumIfEEEEEvT_T0_DpT1_
    .private_segment_fixed_size: 0
    .sgpr_count:     23
    .sgpr_spill_count: 0
    .symbol:         _ZN2at6native12_GLOBAL__N_125multi_tensor_apply_kernelINS1_28TensorListScalarListMetadataIfLi1EEENS1_25BinaryOpScalarListFunctorIN3c104HalfELi1ELi1ELi0EEEJNS0_7minimumIfEEEEEvT_T0_DpT1_.kd
    .uniform_work_group_size: 1
    .uses_dynamic_stack: false
    .vgpr_count:     18
    .vgpr_spill_count: 0
    .wavefront_size: 32
    .workgroup_processor_mode: 1
  - .args:
      - .offset:         0
        .size:           3520
        .value_kind:     by_value
      - .offset:         3520
        .size:           1
        .value_kind:     by_value
      - .offset:         3521
        .size:           1
        .value_kind:     by_value
      - .offset:         3528
        .size:           4
        .value_kind:     hidden_block_count_x
      - .offset:         3532
        .size:           4
        .value_kind:     hidden_block_count_y
      - .offset:         3536
        .size:           4
        .value_kind:     hidden_block_count_z
      - .offset:         3540
        .size:           2
        .value_kind:     hidden_group_size_x
      - .offset:         3542
        .size:           2
        .value_kind:     hidden_group_size_y
      - .offset:         3544
        .size:           2
        .value_kind:     hidden_group_size_z
      - .offset:         3546
        .size:           2
        .value_kind:     hidden_remainder_x
      - .offset:         3548
        .size:           2
        .value_kind:     hidden_remainder_y
      - .offset:         3550
        .size:           2
        .value_kind:     hidden_remainder_z
      - .offset:         3568
        .size:           8
        .value_kind:     hidden_global_offset_x
      - .offset:         3576
        .size:           8
        .value_kind:     hidden_global_offset_y
      - .offset:         3584
        .size:           8
        .value_kind:     hidden_global_offset_z
      - .offset:         3592
        .size:           2
        .value_kind:     hidden_grid_dims
    .group_segment_fixed_size: 0
    .kernarg_segment_align: 8
    .kernarg_segment_size: 3784
    .language:       OpenCL C
    .language_version:
      - 2
      - 0
    .max_flat_workgroup_size: 512
    .name:           _ZN2at6native12_GLOBAL__N_125multi_tensor_apply_kernelINS1_28TensorListScalarListMetadataIfLi1EEENS1_25BinaryOpScalarListFunctorIN3c108BFloat16ELi1ELi1ELi0EEEJNS0_7minimumIfEEEEEvT_T0_DpT1_
    .private_segment_fixed_size: 0
    .sgpr_count:     23
    .sgpr_spill_count: 0
    .symbol:         _ZN2at6native12_GLOBAL__N_125multi_tensor_apply_kernelINS1_28TensorListScalarListMetadataIfLi1EEENS1_25BinaryOpScalarListFunctorIN3c108BFloat16ELi1ELi1ELi0EEEJNS0_7minimumIfEEEEEvT_T0_DpT1_.kd
    .uniform_work_group_size: 1
    .uses_dynamic_stack: false
    .vgpr_count:     17
    .vgpr_spill_count: 0
    .wavefront_size: 32
    .workgroup_processor_mode: 1
  - .args:
      - .offset:         0
        .size:           3200
        .value_kind:     by_value
      - .offset:         3200
        .size:           1
        .value_kind:     by_value
      - .offset:         3201
        .size:           1
        .value_kind:     by_value
      - .offset:         3208
        .size:           4
        .value_kind:     hidden_block_count_x
      - .offset:         3212
        .size:           4
        .value_kind:     hidden_block_count_y
      - .offset:         3216
        .size:           4
        .value_kind:     hidden_block_count_z
      - .offset:         3220
        .size:           2
        .value_kind:     hidden_group_size_x
      - .offset:         3222
        .size:           2
        .value_kind:     hidden_group_size_y
      - .offset:         3224
        .size:           2
        .value_kind:     hidden_group_size_z
      - .offset:         3226
        .size:           2
        .value_kind:     hidden_remainder_x
      - .offset:         3228
        .size:           2
        .value_kind:     hidden_remainder_y
      - .offset:         3230
        .size:           2
        .value_kind:     hidden_remainder_z
      - .offset:         3248
        .size:           8
        .value_kind:     hidden_global_offset_x
      - .offset:         3256
        .size:           8
        .value_kind:     hidden_global_offset_y
      - .offset:         3264
        .size:           8
        .value_kind:     hidden_global_offset_z
      - .offset:         3272
        .size:           2
        .value_kind:     hidden_grid_dims
    .group_segment_fixed_size: 0
    .kernarg_segment_align: 8
    .kernarg_segment_size: 3464
    .language:       OpenCL C
    .language_version:
      - 2
      - 0
    .max_flat_workgroup_size: 512
    .name:           _ZN2at6native12_GLOBAL__N_125multi_tensor_apply_kernelINS1_28TensorListScalarListMetadataIhLi2EEENS1_25BinaryOpScalarListFunctorIhLi2ELi1ELi1EEEJNS0_7minimumIhEEEEEvT_T0_DpT1_
    .private_segment_fixed_size: 0
    .sgpr_count:     24
    .sgpr_spill_count: 0
    .symbol:         _ZN2at6native12_GLOBAL__N_125multi_tensor_apply_kernelINS1_28TensorListScalarListMetadataIhLi2EEENS1_25BinaryOpScalarListFunctorIhLi2ELi1ELi1EEEJNS0_7minimumIhEEEEEvT_T0_DpT1_.kd
    .uniform_work_group_size: 1
    .uses_dynamic_stack: false
    .vgpr_count:     31
    .vgpr_spill_count: 0
    .wavefront_size: 32
    .workgroup_processor_mode: 1
  - .args:
      - .offset:         0
        .size:           3200
        .value_kind:     by_value
      - .offset:         3200
        .size:           1
        .value_kind:     by_value
      - .offset:         3201
        .size:           1
        .value_kind:     by_value
      - .offset:         3208
        .size:           4
        .value_kind:     hidden_block_count_x
      - .offset:         3212
        .size:           4
        .value_kind:     hidden_block_count_y
      - .offset:         3216
        .size:           4
        .value_kind:     hidden_block_count_z
      - .offset:         3220
        .size:           2
        .value_kind:     hidden_group_size_x
      - .offset:         3222
        .size:           2
        .value_kind:     hidden_group_size_y
      - .offset:         3224
        .size:           2
        .value_kind:     hidden_group_size_z
      - .offset:         3226
        .size:           2
        .value_kind:     hidden_remainder_x
      - .offset:         3228
        .size:           2
        .value_kind:     hidden_remainder_y
      - .offset:         3230
        .size:           2
        .value_kind:     hidden_remainder_z
      - .offset:         3248
        .size:           8
        .value_kind:     hidden_global_offset_x
      - .offset:         3256
        .size:           8
        .value_kind:     hidden_global_offset_y
      - .offset:         3264
        .size:           8
        .value_kind:     hidden_global_offset_z
      - .offset:         3272
        .size:           2
        .value_kind:     hidden_grid_dims
    .group_segment_fixed_size: 0
    .kernarg_segment_align: 8
    .kernarg_segment_size: 3464
    .language:       OpenCL C
    .language_version:
      - 2
      - 0
    .max_flat_workgroup_size: 512
    .name:           _ZN2at6native12_GLOBAL__N_125multi_tensor_apply_kernelINS1_28TensorListScalarListMetadataIaLi2EEENS1_25BinaryOpScalarListFunctorIaLi2ELi1ELi1EEEJNS0_7minimumIaEEEEEvT_T0_DpT1_
    .private_segment_fixed_size: 0
    .sgpr_count:     25
    .sgpr_spill_count: 0
    .symbol:         _ZN2at6native12_GLOBAL__N_125multi_tensor_apply_kernelINS1_28TensorListScalarListMetadataIaLi2EEENS1_25BinaryOpScalarListFunctorIaLi2ELi1ELi1EEEJNS0_7minimumIaEEEEEvT_T0_DpT1_.kd
    .uniform_work_group_size: 1
    .uses_dynamic_stack: false
    .vgpr_count:     29
    .vgpr_spill_count: 0
    .wavefront_size: 32
    .workgroup_processor_mode: 1
  - .args:
      - .offset:         0
        .size:           3392
        .value_kind:     by_value
      - .offset:         3392
        .size:           1
        .value_kind:     by_value
      - .offset:         3393
        .size:           1
        .value_kind:     by_value
      - .offset:         3400
        .size:           4
        .value_kind:     hidden_block_count_x
      - .offset:         3404
        .size:           4
        .value_kind:     hidden_block_count_y
      - .offset:         3408
        .size:           4
        .value_kind:     hidden_block_count_z
      - .offset:         3412
        .size:           2
        .value_kind:     hidden_group_size_x
      - .offset:         3414
        .size:           2
        .value_kind:     hidden_group_size_y
      - .offset:         3416
        .size:           2
        .value_kind:     hidden_group_size_z
      - .offset:         3418
        .size:           2
        .value_kind:     hidden_remainder_x
      - .offset:         3420
        .size:           2
        .value_kind:     hidden_remainder_y
      - .offset:         3422
        .size:           2
        .value_kind:     hidden_remainder_z
      - .offset:         3440
        .size:           8
        .value_kind:     hidden_global_offset_x
      - .offset:         3448
        .size:           8
        .value_kind:     hidden_global_offset_y
      - .offset:         3456
        .size:           8
        .value_kind:     hidden_global_offset_z
      - .offset:         3464
        .size:           2
        .value_kind:     hidden_grid_dims
    .group_segment_fixed_size: 0
    .kernarg_segment_align: 8
    .kernarg_segment_size: 3656
    .language:       OpenCL C
    .language_version:
      - 2
      - 0
    .max_flat_workgroup_size: 512
    .name:           _ZN2at6native12_GLOBAL__N_125multi_tensor_apply_kernelINS1_28TensorListScalarListMetadataIiLi2EEENS1_25BinaryOpScalarListFunctorIiLi2ELi1ELi1EEEJNS0_7minimumIiEEEEEvT_T0_DpT1_
    .private_segment_fixed_size: 0
    .sgpr_count:     24
    .sgpr_spill_count: 0
    .symbol:         _ZN2at6native12_GLOBAL__N_125multi_tensor_apply_kernelINS1_28TensorListScalarListMetadataIiLi2EEENS1_25BinaryOpScalarListFunctorIiLi2ELi1ELi1EEEJNS0_7minimumIiEEEEEvT_T0_DpT1_.kd
    .uniform_work_group_size: 1
    .uses_dynamic_stack: false
    .vgpr_count:     29
    .vgpr_spill_count: 0
    .wavefront_size: 32
    .workgroup_processor_mode: 1
  - .args:
      - .offset:         0
        .size:           3648
        .value_kind:     by_value
      - .offset:         3648
        .size:           1
        .value_kind:     by_value
      - .offset:         3649
        .size:           1
        .value_kind:     by_value
      - .offset:         3656
        .size:           4
        .value_kind:     hidden_block_count_x
      - .offset:         3660
        .size:           4
        .value_kind:     hidden_block_count_y
      - .offset:         3664
        .size:           4
        .value_kind:     hidden_block_count_z
      - .offset:         3668
        .size:           2
        .value_kind:     hidden_group_size_x
      - .offset:         3670
        .size:           2
        .value_kind:     hidden_group_size_y
      - .offset:         3672
        .size:           2
        .value_kind:     hidden_group_size_z
      - .offset:         3674
        .size:           2
        .value_kind:     hidden_remainder_x
      - .offset:         3676
        .size:           2
        .value_kind:     hidden_remainder_y
      - .offset:         3678
        .size:           2
        .value_kind:     hidden_remainder_z
      - .offset:         3696
        .size:           8
        .value_kind:     hidden_global_offset_x
      - .offset:         3704
        .size:           8
        .value_kind:     hidden_global_offset_y
      - .offset:         3712
        .size:           8
        .value_kind:     hidden_global_offset_z
      - .offset:         3720
        .size:           2
        .value_kind:     hidden_grid_dims
    .group_segment_fixed_size: 0
    .kernarg_segment_align: 8
    .kernarg_segment_size: 3912
    .language:       OpenCL C
    .language_version:
      - 2
      - 0
    .max_flat_workgroup_size: 512
    .name:           _ZN2at6native12_GLOBAL__N_125multi_tensor_apply_kernelINS1_28TensorListScalarListMetadataIlLi2EEENS1_25BinaryOpScalarListFunctorIlLi2ELi1ELi1EEEJNS0_7minimumIlEEEEEvT_T0_DpT1_
    .private_segment_fixed_size: 0
    .sgpr_count:     26
    .sgpr_spill_count: 0
    .symbol:         _ZN2at6native12_GLOBAL__N_125multi_tensor_apply_kernelINS1_28TensorListScalarListMetadataIlLi2EEENS1_25BinaryOpScalarListFunctorIlLi2ELi1ELi1EEEJNS0_7minimumIlEEEEEvT_T0_DpT1_.kd
    .uniform_work_group_size: 1
    .uses_dynamic_stack: false
    .vgpr_count:     33
    .vgpr_spill_count: 0
    .wavefront_size: 32
    .workgroup_processor_mode: 1
  - .args:
      - .offset:         0
        .size:           3264
        .value_kind:     by_value
      - .offset:         3264
        .size:           1
        .value_kind:     by_value
      - .offset:         3265
        .size:           1
        .value_kind:     by_value
      - .offset:         3272
        .size:           4
        .value_kind:     hidden_block_count_x
      - .offset:         3276
        .size:           4
        .value_kind:     hidden_block_count_y
      - .offset:         3280
        .size:           4
        .value_kind:     hidden_block_count_z
      - .offset:         3284
        .size:           2
        .value_kind:     hidden_group_size_x
      - .offset:         3286
        .size:           2
        .value_kind:     hidden_group_size_y
      - .offset:         3288
        .size:           2
        .value_kind:     hidden_group_size_z
      - .offset:         3290
        .size:           2
        .value_kind:     hidden_remainder_x
      - .offset:         3292
        .size:           2
        .value_kind:     hidden_remainder_y
      - .offset:         3294
        .size:           2
        .value_kind:     hidden_remainder_z
      - .offset:         3312
        .size:           8
        .value_kind:     hidden_global_offset_x
      - .offset:         3320
        .size:           8
        .value_kind:     hidden_global_offset_y
      - .offset:         3328
        .size:           8
        .value_kind:     hidden_global_offset_z
      - .offset:         3336
        .size:           2
        .value_kind:     hidden_grid_dims
    .group_segment_fixed_size: 0
    .kernarg_segment_align: 8
    .kernarg_segment_size: 3528
    .language:       OpenCL C
    .language_version:
      - 2
      - 0
    .max_flat_workgroup_size: 512
    .name:           _ZN2at6native12_GLOBAL__N_125multi_tensor_apply_kernelINS1_28TensorListScalarListMetadataIsLi2EEENS1_25BinaryOpScalarListFunctorIsLi2ELi1ELi1EEEJNS0_7minimumIsEEEEEvT_T0_DpT1_
    .private_segment_fixed_size: 0
    .sgpr_count:     23
    .sgpr_spill_count: 0
    .symbol:         _ZN2at6native12_GLOBAL__N_125multi_tensor_apply_kernelINS1_28TensorListScalarListMetadataIsLi2EEENS1_25BinaryOpScalarListFunctorIsLi2ELi1ELi1EEEJNS0_7minimumIsEEEEEvT_T0_DpT1_.kd
    .uniform_work_group_size: 1
    .uses_dynamic_stack: false
    .vgpr_count:     30
    .vgpr_spill_count: 0
    .wavefront_size: 32
    .workgroup_processor_mode: 1
  - .args:
      - .offset:         0
        .size:           3648
        .value_kind:     by_value
      - .offset:         3648
        .size:           1
        .value_kind:     by_value
      - .offset:         3649
        .size:           1
        .value_kind:     by_value
      - .offset:         3656
        .size:           4
        .value_kind:     hidden_block_count_x
      - .offset:         3660
        .size:           4
        .value_kind:     hidden_block_count_y
      - .offset:         3664
        .size:           4
        .value_kind:     hidden_block_count_z
      - .offset:         3668
        .size:           2
        .value_kind:     hidden_group_size_x
      - .offset:         3670
        .size:           2
        .value_kind:     hidden_group_size_y
      - .offset:         3672
        .size:           2
        .value_kind:     hidden_group_size_z
      - .offset:         3674
        .size:           2
        .value_kind:     hidden_remainder_x
      - .offset:         3676
        .size:           2
        .value_kind:     hidden_remainder_y
      - .offset:         3678
        .size:           2
        .value_kind:     hidden_remainder_z
      - .offset:         3696
        .size:           8
        .value_kind:     hidden_global_offset_x
      - .offset:         3704
        .size:           8
        .value_kind:     hidden_global_offset_y
      - .offset:         3712
        .size:           8
        .value_kind:     hidden_global_offset_z
      - .offset:         3720
        .size:           2
        .value_kind:     hidden_grid_dims
    .group_segment_fixed_size: 0
    .kernarg_segment_align: 8
    .kernarg_segment_size: 3912
    .language:       OpenCL C
    .language_version:
      - 2
      - 0
    .max_flat_workgroup_size: 512
    .name:           _ZN2at6native12_GLOBAL__N_125multi_tensor_apply_kernelINS1_28TensorListScalarListMetadataIdLi2EEENS1_25BinaryOpScalarListFunctorIdLi2ELi1ELi1EEEJNS0_7minimumIdEEEEEvT_T0_DpT1_
    .private_segment_fixed_size: 0
    .sgpr_count:     26
    .sgpr_spill_count: 0
    .symbol:         _ZN2at6native12_GLOBAL__N_125multi_tensor_apply_kernelINS1_28TensorListScalarListMetadataIdLi2EEENS1_25BinaryOpScalarListFunctorIdLi2ELi1ELi1EEEJNS0_7minimumIdEEEEEvT_T0_DpT1_.kd
    .uniform_work_group_size: 1
    .uses_dynamic_stack: false
    .vgpr_count:     33
    .vgpr_spill_count: 0
    .wavefront_size: 32
    .workgroup_processor_mode: 1
  - .args:
      - .offset:         0
        .size:           3392
        .value_kind:     by_value
      - .offset:         3392
        .size:           1
        .value_kind:     by_value
      - .offset:         3393
        .size:           1
        .value_kind:     by_value
      - .offset:         3400
        .size:           4
        .value_kind:     hidden_block_count_x
      - .offset:         3404
        .size:           4
        .value_kind:     hidden_block_count_y
      - .offset:         3408
        .size:           4
        .value_kind:     hidden_block_count_z
      - .offset:         3412
        .size:           2
        .value_kind:     hidden_group_size_x
      - .offset:         3414
        .size:           2
        .value_kind:     hidden_group_size_y
      - .offset:         3416
        .size:           2
        .value_kind:     hidden_group_size_z
      - .offset:         3418
        .size:           2
        .value_kind:     hidden_remainder_x
      - .offset:         3420
        .size:           2
        .value_kind:     hidden_remainder_y
      - .offset:         3422
        .size:           2
        .value_kind:     hidden_remainder_z
      - .offset:         3440
        .size:           8
        .value_kind:     hidden_global_offset_x
      - .offset:         3448
        .size:           8
        .value_kind:     hidden_global_offset_y
      - .offset:         3456
        .size:           8
        .value_kind:     hidden_global_offset_z
      - .offset:         3464
        .size:           2
        .value_kind:     hidden_grid_dims
    .group_segment_fixed_size: 0
    .kernarg_segment_align: 8
    .kernarg_segment_size: 3656
    .language:       OpenCL C
    .language_version:
      - 2
      - 0
    .max_flat_workgroup_size: 512
    .name:           _ZN2at6native12_GLOBAL__N_125multi_tensor_apply_kernelINS1_28TensorListScalarListMetadataIfLi2EEENS1_25BinaryOpScalarListFunctorIfLi2ELi1ELi1EEEJNS0_7minimumIfEEEEEvT_T0_DpT1_
    .private_segment_fixed_size: 0
    .sgpr_count:     24
    .sgpr_spill_count: 0
    .symbol:         _ZN2at6native12_GLOBAL__N_125multi_tensor_apply_kernelINS1_28TensorListScalarListMetadataIfLi2EEENS1_25BinaryOpScalarListFunctorIfLi2ELi1ELi1EEEJNS0_7minimumIfEEEEEvT_T0_DpT1_.kd
    .uniform_work_group_size: 1
    .uses_dynamic_stack: false
    .vgpr_count:     29
    .vgpr_spill_count: 0
    .wavefront_size: 32
    .workgroup_processor_mode: 1
  - .args:
      - .offset:         0
        .size:           3392
        .value_kind:     by_value
      - .offset:         3392
        .size:           1
        .value_kind:     by_value
      - .offset:         3393
        .size:           1
        .value_kind:     by_value
      - .offset:         3400
        .size:           4
        .value_kind:     hidden_block_count_x
      - .offset:         3404
        .size:           4
        .value_kind:     hidden_block_count_y
      - .offset:         3408
        .size:           4
        .value_kind:     hidden_block_count_z
      - .offset:         3412
        .size:           2
        .value_kind:     hidden_group_size_x
      - .offset:         3414
        .size:           2
        .value_kind:     hidden_group_size_y
      - .offset:         3416
        .size:           2
        .value_kind:     hidden_group_size_z
      - .offset:         3418
        .size:           2
        .value_kind:     hidden_remainder_x
      - .offset:         3420
        .size:           2
        .value_kind:     hidden_remainder_y
      - .offset:         3422
        .size:           2
        .value_kind:     hidden_remainder_z
      - .offset:         3440
        .size:           8
        .value_kind:     hidden_global_offset_x
      - .offset:         3448
        .size:           8
        .value_kind:     hidden_global_offset_y
      - .offset:         3456
        .size:           8
        .value_kind:     hidden_global_offset_z
      - .offset:         3464
        .size:           2
        .value_kind:     hidden_grid_dims
    .group_segment_fixed_size: 0
    .kernarg_segment_align: 8
    .kernarg_segment_size: 3656
    .language:       OpenCL C
    .language_version:
      - 2
      - 0
    .max_flat_workgroup_size: 512
    .name:           _ZN2at6native12_GLOBAL__N_125multi_tensor_apply_kernelINS1_28TensorListScalarListMetadataIfLi2EEENS1_25BinaryOpScalarListFunctorIN3c104HalfELi2ELi1ELi1EEEJNS0_7minimumIfEEEEEvT_T0_DpT1_
    .private_segment_fixed_size: 0
    .sgpr_count:     24
    .sgpr_spill_count: 0
    .symbol:         _ZN2at6native12_GLOBAL__N_125multi_tensor_apply_kernelINS1_28TensorListScalarListMetadataIfLi2EEENS1_25BinaryOpScalarListFunctorIN3c104HalfELi2ELi1ELi1EEEJNS0_7minimumIfEEEEEvT_T0_DpT1_.kd
    .uniform_work_group_size: 1
    .uses_dynamic_stack: false
    .vgpr_count:     30
    .vgpr_spill_count: 0
    .wavefront_size: 32
    .workgroup_processor_mode: 1
  - .args:
      - .offset:         0
        .size:           3392
        .value_kind:     by_value
      - .offset:         3392
        .size:           1
        .value_kind:     by_value
      - .offset:         3393
        .size:           1
        .value_kind:     by_value
      - .offset:         3400
        .size:           4
        .value_kind:     hidden_block_count_x
      - .offset:         3404
        .size:           4
        .value_kind:     hidden_block_count_y
      - .offset:         3408
        .size:           4
        .value_kind:     hidden_block_count_z
      - .offset:         3412
        .size:           2
        .value_kind:     hidden_group_size_x
      - .offset:         3414
        .size:           2
        .value_kind:     hidden_group_size_y
      - .offset:         3416
        .size:           2
        .value_kind:     hidden_group_size_z
      - .offset:         3418
        .size:           2
        .value_kind:     hidden_remainder_x
      - .offset:         3420
        .size:           2
        .value_kind:     hidden_remainder_y
      - .offset:         3422
        .size:           2
        .value_kind:     hidden_remainder_z
      - .offset:         3440
        .size:           8
        .value_kind:     hidden_global_offset_x
      - .offset:         3448
        .size:           8
        .value_kind:     hidden_global_offset_y
      - .offset:         3456
        .size:           8
        .value_kind:     hidden_global_offset_z
      - .offset:         3464
        .size:           2
        .value_kind:     hidden_grid_dims
    .group_segment_fixed_size: 0
    .kernarg_segment_align: 8
    .kernarg_segment_size: 3656
    .language:       OpenCL C
    .language_version:
      - 2
      - 0
    .max_flat_workgroup_size: 512
    .name:           _ZN2at6native12_GLOBAL__N_125multi_tensor_apply_kernelINS1_28TensorListScalarListMetadataIfLi2EEENS1_25BinaryOpScalarListFunctorIN3c108BFloat16ELi2ELi1ELi1EEEJNS0_7minimumIfEEEEEvT_T0_DpT1_
    .private_segment_fixed_size: 0
    .sgpr_count:     24
    .sgpr_spill_count: 0
    .symbol:         _ZN2at6native12_GLOBAL__N_125multi_tensor_apply_kernelINS1_28TensorListScalarListMetadataIfLi2EEENS1_25BinaryOpScalarListFunctorIN3c108BFloat16ELi2ELi1ELi1EEEJNS0_7minimumIfEEEEEvT_T0_DpT1_.kd
    .uniform_work_group_size: 1
    .uses_dynamic_stack: false
    .vgpr_count:     30
    .vgpr_spill_count: 0
    .wavefront_size: 32
    .workgroup_processor_mode: 1
  - .args:
      - .offset:         0
        .size:           3232
        .value_kind:     by_value
      - .offset:         3232
        .size:           1
        .value_kind:     by_value
      - .offset:         3233
        .size:           1
        .value_kind:     by_value
      - .offset:         3240
        .size:           4
        .value_kind:     hidden_block_count_x
      - .offset:         3244
        .size:           4
        .value_kind:     hidden_block_count_y
      - .offset:         3248
        .size:           4
        .value_kind:     hidden_block_count_z
      - .offset:         3252
        .size:           2
        .value_kind:     hidden_group_size_x
      - .offset:         3254
        .size:           2
        .value_kind:     hidden_group_size_y
      - .offset:         3256
        .size:           2
        .value_kind:     hidden_group_size_z
      - .offset:         3258
        .size:           2
        .value_kind:     hidden_remainder_x
      - .offset:         3260
        .size:           2
        .value_kind:     hidden_remainder_y
      - .offset:         3262
        .size:           2
        .value_kind:     hidden_remainder_z
      - .offset:         3280
        .size:           8
        .value_kind:     hidden_global_offset_x
      - .offset:         3288
        .size:           8
        .value_kind:     hidden_global_offset_y
      - .offset:         3296
        .size:           8
        .value_kind:     hidden_global_offset_z
      - .offset:         3304
        .size:           2
        .value_kind:     hidden_grid_dims
    .group_segment_fixed_size: 0
    .kernarg_segment_align: 8
    .kernarg_segment_size: 3496
    .language:       OpenCL C
    .language_version:
      - 2
      - 0
    .max_flat_workgroup_size: 512
    .name:           _ZN2at6native12_GLOBAL__N_125multi_tensor_apply_kernelINS1_28TensorListScalarListMetadataIhLi1EEENS1_25BinaryOpScalarListFunctorIhLi1ELi1ELi0EEEJNS0_7maximumIhEEEEEvT_T0_DpT1_
    .private_segment_fixed_size: 0
    .sgpr_count:     19
    .sgpr_spill_count: 0
    .symbol:         _ZN2at6native12_GLOBAL__N_125multi_tensor_apply_kernelINS1_28TensorListScalarListMetadataIhLi1EEENS1_25BinaryOpScalarListFunctorIhLi1ELi1ELi0EEEJNS0_7maximumIhEEEEEvT_T0_DpT1_.kd
    .uniform_work_group_size: 1
    .uses_dynamic_stack: false
    .vgpr_count:     23
    .vgpr_spill_count: 0
    .wavefront_size: 32
    .workgroup_processor_mode: 1
  - .args:
      - .offset:         0
        .size:           3232
        .value_kind:     by_value
      - .offset:         3232
        .size:           1
        .value_kind:     by_value
      - .offset:         3233
        .size:           1
        .value_kind:     by_value
      - .offset:         3240
        .size:           4
        .value_kind:     hidden_block_count_x
      - .offset:         3244
        .size:           4
        .value_kind:     hidden_block_count_y
      - .offset:         3248
        .size:           4
        .value_kind:     hidden_block_count_z
      - .offset:         3252
        .size:           2
        .value_kind:     hidden_group_size_x
      - .offset:         3254
        .size:           2
        .value_kind:     hidden_group_size_y
      - .offset:         3256
        .size:           2
        .value_kind:     hidden_group_size_z
      - .offset:         3258
        .size:           2
        .value_kind:     hidden_remainder_x
      - .offset:         3260
        .size:           2
        .value_kind:     hidden_remainder_y
      - .offset:         3262
        .size:           2
        .value_kind:     hidden_remainder_z
      - .offset:         3280
        .size:           8
        .value_kind:     hidden_global_offset_x
      - .offset:         3288
        .size:           8
        .value_kind:     hidden_global_offset_y
      - .offset:         3296
        .size:           8
        .value_kind:     hidden_global_offset_z
      - .offset:         3304
        .size:           2
        .value_kind:     hidden_grid_dims
    .group_segment_fixed_size: 0
    .kernarg_segment_align: 8
    .kernarg_segment_size: 3496
    .language:       OpenCL C
    .language_version:
      - 2
      - 0
    .max_flat_workgroup_size: 512
    .name:           _ZN2at6native12_GLOBAL__N_125multi_tensor_apply_kernelINS1_28TensorListScalarListMetadataIaLi1EEENS1_25BinaryOpScalarListFunctorIaLi1ELi1ELi0EEEJNS0_7maximumIaEEEEEvT_T0_DpT1_
    .private_segment_fixed_size: 0
    .sgpr_count:     20
    .sgpr_spill_count: 0
    .symbol:         _ZN2at6native12_GLOBAL__N_125multi_tensor_apply_kernelINS1_28TensorListScalarListMetadataIaLi1EEENS1_25BinaryOpScalarListFunctorIaLi1ELi1ELi0EEEJNS0_7maximumIaEEEEEvT_T0_DpT1_.kd
    .uniform_work_group_size: 1
    .uses_dynamic_stack: false
    .vgpr_count:     21
    .vgpr_spill_count: 0
    .wavefront_size: 32
    .workgroup_processor_mode: 1
  - .args:
      - .offset:         0
        .size:           3520
        .value_kind:     by_value
      - .offset:         3520
        .size:           1
        .value_kind:     by_value
      - .offset:         3521
        .size:           1
        .value_kind:     by_value
      - .offset:         3528
        .size:           4
        .value_kind:     hidden_block_count_x
      - .offset:         3532
        .size:           4
        .value_kind:     hidden_block_count_y
      - .offset:         3536
        .size:           4
        .value_kind:     hidden_block_count_z
      - .offset:         3540
        .size:           2
        .value_kind:     hidden_group_size_x
      - .offset:         3542
        .size:           2
        .value_kind:     hidden_group_size_y
      - .offset:         3544
        .size:           2
        .value_kind:     hidden_group_size_z
      - .offset:         3546
        .size:           2
        .value_kind:     hidden_remainder_x
      - .offset:         3548
        .size:           2
        .value_kind:     hidden_remainder_y
      - .offset:         3550
        .size:           2
        .value_kind:     hidden_remainder_z
      - .offset:         3568
        .size:           8
        .value_kind:     hidden_global_offset_x
      - .offset:         3576
        .size:           8
        .value_kind:     hidden_global_offset_y
      - .offset:         3584
        .size:           8
        .value_kind:     hidden_global_offset_z
      - .offset:         3592
        .size:           2
        .value_kind:     hidden_grid_dims
    .group_segment_fixed_size: 0
    .kernarg_segment_align: 8
    .kernarg_segment_size: 3784
    .language:       OpenCL C
    .language_version:
      - 2
      - 0
    .max_flat_workgroup_size: 512
    .name:           _ZN2at6native12_GLOBAL__N_125multi_tensor_apply_kernelINS1_28TensorListScalarListMetadataIiLi1EEENS1_25BinaryOpScalarListFunctorIiLi1ELi1ELi0EEEJNS0_7maximumIiEEEEEvT_T0_DpT1_
    .private_segment_fixed_size: 0
    .sgpr_count:     24
    .sgpr_spill_count: 0
    .symbol:         _ZN2at6native12_GLOBAL__N_125multi_tensor_apply_kernelINS1_28TensorListScalarListMetadataIiLi1EEENS1_25BinaryOpScalarListFunctorIiLi1ELi1ELi0EEEJNS0_7maximumIiEEEEEvT_T0_DpT1_.kd
    .uniform_work_group_size: 1
    .uses_dynamic_stack: false
    .vgpr_count:     17
    .vgpr_spill_count: 0
    .wavefront_size: 32
    .workgroup_processor_mode: 1
  - .args:
      - .offset:         0
        .size:           3904
        .value_kind:     by_value
      - .offset:         3904
        .size:           1
        .value_kind:     by_value
      - .offset:         3905
        .size:           1
        .value_kind:     by_value
      - .offset:         3912
        .size:           4
        .value_kind:     hidden_block_count_x
      - .offset:         3916
        .size:           4
        .value_kind:     hidden_block_count_y
      - .offset:         3920
        .size:           4
        .value_kind:     hidden_block_count_z
      - .offset:         3924
        .size:           2
        .value_kind:     hidden_group_size_x
      - .offset:         3926
        .size:           2
        .value_kind:     hidden_group_size_y
      - .offset:         3928
        .size:           2
        .value_kind:     hidden_group_size_z
      - .offset:         3930
        .size:           2
        .value_kind:     hidden_remainder_x
      - .offset:         3932
        .size:           2
        .value_kind:     hidden_remainder_y
      - .offset:         3934
        .size:           2
        .value_kind:     hidden_remainder_z
      - .offset:         3952
        .size:           8
        .value_kind:     hidden_global_offset_x
      - .offset:         3960
        .size:           8
        .value_kind:     hidden_global_offset_y
      - .offset:         3968
        .size:           8
        .value_kind:     hidden_global_offset_z
      - .offset:         3976
        .size:           2
        .value_kind:     hidden_grid_dims
    .group_segment_fixed_size: 0
    .kernarg_segment_align: 8
    .kernarg_segment_size: 4168
    .language:       OpenCL C
    .language_version:
      - 2
      - 0
    .max_flat_workgroup_size: 512
    .name:           _ZN2at6native12_GLOBAL__N_125multi_tensor_apply_kernelINS1_28TensorListScalarListMetadataIlLi1EEENS1_25BinaryOpScalarListFunctorIlLi1ELi1ELi0EEEJNS0_7maximumIlEEEEEvT_T0_DpT1_
    .private_segment_fixed_size: 0
    .sgpr_count:     25
    .sgpr_spill_count: 0
    .symbol:         _ZN2at6native12_GLOBAL__N_125multi_tensor_apply_kernelINS1_28TensorListScalarListMetadataIlLi1EEENS1_25BinaryOpScalarListFunctorIlLi1ELi1ELi0EEEJNS0_7maximumIlEEEEEvT_T0_DpT1_.kd
    .uniform_work_group_size: 1
    .uses_dynamic_stack: false
    .vgpr_count:     21
    .vgpr_spill_count: 0
    .wavefront_size: 32
    .workgroup_processor_mode: 1
  - .args:
      - .offset:         0
        .size:           3328
        .value_kind:     by_value
      - .offset:         3328
        .size:           1
        .value_kind:     by_value
      - .offset:         3329
        .size:           1
        .value_kind:     by_value
      - .offset:         3336
        .size:           4
        .value_kind:     hidden_block_count_x
      - .offset:         3340
        .size:           4
        .value_kind:     hidden_block_count_y
      - .offset:         3344
        .size:           4
        .value_kind:     hidden_block_count_z
      - .offset:         3348
        .size:           2
        .value_kind:     hidden_group_size_x
      - .offset:         3350
        .size:           2
        .value_kind:     hidden_group_size_y
      - .offset:         3352
        .size:           2
        .value_kind:     hidden_group_size_z
      - .offset:         3354
        .size:           2
        .value_kind:     hidden_remainder_x
      - .offset:         3356
        .size:           2
        .value_kind:     hidden_remainder_y
      - .offset:         3358
        .size:           2
        .value_kind:     hidden_remainder_z
      - .offset:         3376
        .size:           8
        .value_kind:     hidden_global_offset_x
      - .offset:         3384
        .size:           8
        .value_kind:     hidden_global_offset_y
      - .offset:         3392
        .size:           8
        .value_kind:     hidden_global_offset_z
      - .offset:         3400
        .size:           2
        .value_kind:     hidden_grid_dims
    .group_segment_fixed_size: 0
    .kernarg_segment_align: 8
    .kernarg_segment_size: 3592
    .language:       OpenCL C
    .language_version:
      - 2
      - 0
    .max_flat_workgroup_size: 512
    .name:           _ZN2at6native12_GLOBAL__N_125multi_tensor_apply_kernelINS1_28TensorListScalarListMetadataIsLi1EEENS1_25BinaryOpScalarListFunctorIsLi1ELi1ELi0EEEJNS0_7maximumIsEEEEEvT_T0_DpT1_
    .private_segment_fixed_size: 0
    .sgpr_count:     22
    .sgpr_spill_count: 0
    .symbol:         _ZN2at6native12_GLOBAL__N_125multi_tensor_apply_kernelINS1_28TensorListScalarListMetadataIsLi1EEENS1_25BinaryOpScalarListFunctorIsLi1ELi1ELi0EEEJNS0_7maximumIsEEEEEvT_T0_DpT1_.kd
    .uniform_work_group_size: 1
    .uses_dynamic_stack: false
    .vgpr_count:     18
    .vgpr_spill_count: 0
    .wavefront_size: 32
    .workgroup_processor_mode: 1
  - .args:
      - .offset:         0
        .size:           3904
        .value_kind:     by_value
      - .offset:         3904
        .size:           1
        .value_kind:     by_value
      - .offset:         3905
        .size:           1
        .value_kind:     by_value
      - .offset:         3912
        .size:           4
        .value_kind:     hidden_block_count_x
      - .offset:         3916
        .size:           4
        .value_kind:     hidden_block_count_y
      - .offset:         3920
        .size:           4
        .value_kind:     hidden_block_count_z
      - .offset:         3924
        .size:           2
        .value_kind:     hidden_group_size_x
      - .offset:         3926
        .size:           2
        .value_kind:     hidden_group_size_y
      - .offset:         3928
        .size:           2
        .value_kind:     hidden_group_size_z
      - .offset:         3930
        .size:           2
        .value_kind:     hidden_remainder_x
      - .offset:         3932
        .size:           2
        .value_kind:     hidden_remainder_y
      - .offset:         3934
        .size:           2
        .value_kind:     hidden_remainder_z
      - .offset:         3952
        .size:           8
        .value_kind:     hidden_global_offset_x
      - .offset:         3960
        .size:           8
        .value_kind:     hidden_global_offset_y
      - .offset:         3968
        .size:           8
        .value_kind:     hidden_global_offset_z
      - .offset:         3976
        .size:           2
        .value_kind:     hidden_grid_dims
    .group_segment_fixed_size: 0
    .kernarg_segment_align: 8
    .kernarg_segment_size: 4168
    .language:       OpenCL C
    .language_version:
      - 2
      - 0
    .max_flat_workgroup_size: 512
    .name:           _ZN2at6native12_GLOBAL__N_125multi_tensor_apply_kernelINS1_28TensorListScalarListMetadataIdLi1EEENS1_25BinaryOpScalarListFunctorIdLi1ELi1ELi0EEEJNS0_7maximumIdEEEEEvT_T0_DpT1_
    .private_segment_fixed_size: 0
    .sgpr_count:     25
    .sgpr_spill_count: 0
    .symbol:         _ZN2at6native12_GLOBAL__N_125multi_tensor_apply_kernelINS1_28TensorListScalarListMetadataIdLi1EEENS1_25BinaryOpScalarListFunctorIdLi1ELi1ELi0EEEJNS0_7maximumIdEEEEEvT_T0_DpT1_.kd
    .uniform_work_group_size: 1
    .uses_dynamic_stack: false
    .vgpr_count:     21
    .vgpr_spill_count: 0
    .wavefront_size: 32
    .workgroup_processor_mode: 1
  - .args:
      - .offset:         0
        .size:           3520
        .value_kind:     by_value
      - .offset:         3520
        .size:           1
        .value_kind:     by_value
      - .offset:         3521
        .size:           1
        .value_kind:     by_value
      - .offset:         3528
        .size:           4
        .value_kind:     hidden_block_count_x
      - .offset:         3532
        .size:           4
        .value_kind:     hidden_block_count_y
      - .offset:         3536
        .size:           4
        .value_kind:     hidden_block_count_z
      - .offset:         3540
        .size:           2
        .value_kind:     hidden_group_size_x
      - .offset:         3542
        .size:           2
        .value_kind:     hidden_group_size_y
      - .offset:         3544
        .size:           2
        .value_kind:     hidden_group_size_z
      - .offset:         3546
        .size:           2
        .value_kind:     hidden_remainder_x
      - .offset:         3548
        .size:           2
        .value_kind:     hidden_remainder_y
      - .offset:         3550
        .size:           2
        .value_kind:     hidden_remainder_z
      - .offset:         3568
        .size:           8
        .value_kind:     hidden_global_offset_x
      - .offset:         3576
        .size:           8
        .value_kind:     hidden_global_offset_y
      - .offset:         3584
        .size:           8
        .value_kind:     hidden_global_offset_z
      - .offset:         3592
        .size:           2
        .value_kind:     hidden_grid_dims
    .group_segment_fixed_size: 0
    .kernarg_segment_align: 8
    .kernarg_segment_size: 3784
    .language:       OpenCL C
    .language_version:
      - 2
      - 0
    .max_flat_workgroup_size: 512
    .name:           _ZN2at6native12_GLOBAL__N_125multi_tensor_apply_kernelINS1_28TensorListScalarListMetadataIfLi1EEENS1_25BinaryOpScalarListFunctorIfLi1ELi1ELi0EEEJNS0_7maximumIfEEEEEvT_T0_DpT1_
    .private_segment_fixed_size: 0
    .sgpr_count:     24
    .sgpr_spill_count: 0
    .symbol:         _ZN2at6native12_GLOBAL__N_125multi_tensor_apply_kernelINS1_28TensorListScalarListMetadataIfLi1EEENS1_25BinaryOpScalarListFunctorIfLi1ELi1ELi0EEEJNS0_7maximumIfEEEEEvT_T0_DpT1_.kd
    .uniform_work_group_size: 1
    .uses_dynamic_stack: false
    .vgpr_count:     17
    .vgpr_spill_count: 0
    .wavefront_size: 32
    .workgroup_processor_mode: 1
  - .args:
      - .offset:         0
        .size:           3520
        .value_kind:     by_value
      - .offset:         3520
        .size:           1
        .value_kind:     by_value
      - .offset:         3521
        .size:           1
        .value_kind:     by_value
      - .offset:         3528
        .size:           4
        .value_kind:     hidden_block_count_x
      - .offset:         3532
        .size:           4
        .value_kind:     hidden_block_count_y
      - .offset:         3536
        .size:           4
        .value_kind:     hidden_block_count_z
      - .offset:         3540
        .size:           2
        .value_kind:     hidden_group_size_x
      - .offset:         3542
        .size:           2
        .value_kind:     hidden_group_size_y
      - .offset:         3544
        .size:           2
        .value_kind:     hidden_group_size_z
      - .offset:         3546
        .size:           2
        .value_kind:     hidden_remainder_x
      - .offset:         3548
        .size:           2
        .value_kind:     hidden_remainder_y
      - .offset:         3550
        .size:           2
        .value_kind:     hidden_remainder_z
      - .offset:         3568
        .size:           8
        .value_kind:     hidden_global_offset_x
      - .offset:         3576
        .size:           8
        .value_kind:     hidden_global_offset_y
      - .offset:         3584
        .size:           8
        .value_kind:     hidden_global_offset_z
      - .offset:         3592
        .size:           2
        .value_kind:     hidden_grid_dims
    .group_segment_fixed_size: 0
    .kernarg_segment_align: 8
    .kernarg_segment_size: 3784
    .language:       OpenCL C
    .language_version:
      - 2
      - 0
    .max_flat_workgroup_size: 512
    .name:           _ZN2at6native12_GLOBAL__N_125multi_tensor_apply_kernelINS1_28TensorListScalarListMetadataIfLi1EEENS1_25BinaryOpScalarListFunctorIN3c104HalfELi1ELi1ELi0EEEJNS0_7maximumIfEEEEEvT_T0_DpT1_
    .private_segment_fixed_size: 0
    .sgpr_count:     23
    .sgpr_spill_count: 0
    .symbol:         _ZN2at6native12_GLOBAL__N_125multi_tensor_apply_kernelINS1_28TensorListScalarListMetadataIfLi1EEENS1_25BinaryOpScalarListFunctorIN3c104HalfELi1ELi1ELi0EEEJNS0_7maximumIfEEEEEvT_T0_DpT1_.kd
    .uniform_work_group_size: 1
    .uses_dynamic_stack: false
    .vgpr_count:     18
    .vgpr_spill_count: 0
    .wavefront_size: 32
    .workgroup_processor_mode: 1
  - .args:
      - .offset:         0
        .size:           3520
        .value_kind:     by_value
      - .offset:         3520
        .size:           1
        .value_kind:     by_value
      - .offset:         3521
        .size:           1
        .value_kind:     by_value
      - .offset:         3528
        .size:           4
        .value_kind:     hidden_block_count_x
      - .offset:         3532
        .size:           4
        .value_kind:     hidden_block_count_y
      - .offset:         3536
        .size:           4
        .value_kind:     hidden_block_count_z
      - .offset:         3540
        .size:           2
        .value_kind:     hidden_group_size_x
      - .offset:         3542
        .size:           2
        .value_kind:     hidden_group_size_y
      - .offset:         3544
        .size:           2
        .value_kind:     hidden_group_size_z
      - .offset:         3546
        .size:           2
        .value_kind:     hidden_remainder_x
      - .offset:         3548
        .size:           2
        .value_kind:     hidden_remainder_y
      - .offset:         3550
        .size:           2
        .value_kind:     hidden_remainder_z
      - .offset:         3568
        .size:           8
        .value_kind:     hidden_global_offset_x
      - .offset:         3576
        .size:           8
        .value_kind:     hidden_global_offset_y
      - .offset:         3584
        .size:           8
        .value_kind:     hidden_global_offset_z
      - .offset:         3592
        .size:           2
        .value_kind:     hidden_grid_dims
    .group_segment_fixed_size: 0
    .kernarg_segment_align: 8
    .kernarg_segment_size: 3784
    .language:       OpenCL C
    .language_version:
      - 2
      - 0
    .max_flat_workgroup_size: 512
    .name:           _ZN2at6native12_GLOBAL__N_125multi_tensor_apply_kernelINS1_28TensorListScalarListMetadataIfLi1EEENS1_25BinaryOpScalarListFunctorIN3c108BFloat16ELi1ELi1ELi0EEEJNS0_7maximumIfEEEEEvT_T0_DpT1_
    .private_segment_fixed_size: 0
    .sgpr_count:     23
    .sgpr_spill_count: 0
    .symbol:         _ZN2at6native12_GLOBAL__N_125multi_tensor_apply_kernelINS1_28TensorListScalarListMetadataIfLi1EEENS1_25BinaryOpScalarListFunctorIN3c108BFloat16ELi1ELi1ELi0EEEJNS0_7maximumIfEEEEEvT_T0_DpT1_.kd
    .uniform_work_group_size: 1
    .uses_dynamic_stack: false
    .vgpr_count:     17
    .vgpr_spill_count: 0
    .wavefront_size: 32
    .workgroup_processor_mode: 1
  - .args:
      - .offset:         0
        .size:           3200
        .value_kind:     by_value
      - .offset:         3200
        .size:           1
        .value_kind:     by_value
      - .offset:         3201
        .size:           1
        .value_kind:     by_value
      - .offset:         3208
        .size:           4
        .value_kind:     hidden_block_count_x
      - .offset:         3212
        .size:           4
        .value_kind:     hidden_block_count_y
      - .offset:         3216
        .size:           4
        .value_kind:     hidden_block_count_z
      - .offset:         3220
        .size:           2
        .value_kind:     hidden_group_size_x
      - .offset:         3222
        .size:           2
        .value_kind:     hidden_group_size_y
      - .offset:         3224
        .size:           2
        .value_kind:     hidden_group_size_z
      - .offset:         3226
        .size:           2
        .value_kind:     hidden_remainder_x
      - .offset:         3228
        .size:           2
        .value_kind:     hidden_remainder_y
      - .offset:         3230
        .size:           2
        .value_kind:     hidden_remainder_z
      - .offset:         3248
        .size:           8
        .value_kind:     hidden_global_offset_x
      - .offset:         3256
        .size:           8
        .value_kind:     hidden_global_offset_y
      - .offset:         3264
        .size:           8
        .value_kind:     hidden_global_offset_z
      - .offset:         3272
        .size:           2
        .value_kind:     hidden_grid_dims
    .group_segment_fixed_size: 0
    .kernarg_segment_align: 8
    .kernarg_segment_size: 3464
    .language:       OpenCL C
    .language_version:
      - 2
      - 0
    .max_flat_workgroup_size: 512
    .name:           _ZN2at6native12_GLOBAL__N_125multi_tensor_apply_kernelINS1_28TensorListScalarListMetadataIhLi2EEENS1_25BinaryOpScalarListFunctorIhLi2ELi1ELi1EEEJNS0_7maximumIhEEEEEvT_T0_DpT1_
    .private_segment_fixed_size: 0
    .sgpr_count:     24
    .sgpr_spill_count: 0
    .symbol:         _ZN2at6native12_GLOBAL__N_125multi_tensor_apply_kernelINS1_28TensorListScalarListMetadataIhLi2EEENS1_25BinaryOpScalarListFunctorIhLi2ELi1ELi1EEEJNS0_7maximumIhEEEEEvT_T0_DpT1_.kd
    .uniform_work_group_size: 1
    .uses_dynamic_stack: false
    .vgpr_count:     31
    .vgpr_spill_count: 0
    .wavefront_size: 32
    .workgroup_processor_mode: 1
  - .args:
      - .offset:         0
        .size:           3200
        .value_kind:     by_value
      - .offset:         3200
        .size:           1
        .value_kind:     by_value
      - .offset:         3201
        .size:           1
        .value_kind:     by_value
      - .offset:         3208
        .size:           4
        .value_kind:     hidden_block_count_x
      - .offset:         3212
        .size:           4
        .value_kind:     hidden_block_count_y
      - .offset:         3216
        .size:           4
        .value_kind:     hidden_block_count_z
      - .offset:         3220
        .size:           2
        .value_kind:     hidden_group_size_x
      - .offset:         3222
        .size:           2
        .value_kind:     hidden_group_size_y
      - .offset:         3224
        .size:           2
        .value_kind:     hidden_group_size_z
      - .offset:         3226
        .size:           2
        .value_kind:     hidden_remainder_x
      - .offset:         3228
        .size:           2
        .value_kind:     hidden_remainder_y
      - .offset:         3230
        .size:           2
        .value_kind:     hidden_remainder_z
      - .offset:         3248
        .size:           8
        .value_kind:     hidden_global_offset_x
      - .offset:         3256
        .size:           8
        .value_kind:     hidden_global_offset_y
      - .offset:         3264
        .size:           8
        .value_kind:     hidden_global_offset_z
      - .offset:         3272
        .size:           2
        .value_kind:     hidden_grid_dims
    .group_segment_fixed_size: 0
    .kernarg_segment_align: 8
    .kernarg_segment_size: 3464
    .language:       OpenCL C
    .language_version:
      - 2
      - 0
    .max_flat_workgroup_size: 512
    .name:           _ZN2at6native12_GLOBAL__N_125multi_tensor_apply_kernelINS1_28TensorListScalarListMetadataIaLi2EEENS1_25BinaryOpScalarListFunctorIaLi2ELi1ELi1EEEJNS0_7maximumIaEEEEEvT_T0_DpT1_
    .private_segment_fixed_size: 0
    .sgpr_count:     25
    .sgpr_spill_count: 0
    .symbol:         _ZN2at6native12_GLOBAL__N_125multi_tensor_apply_kernelINS1_28TensorListScalarListMetadataIaLi2EEENS1_25BinaryOpScalarListFunctorIaLi2ELi1ELi1EEEJNS0_7maximumIaEEEEEvT_T0_DpT1_.kd
    .uniform_work_group_size: 1
    .uses_dynamic_stack: false
    .vgpr_count:     29
    .vgpr_spill_count: 0
    .wavefront_size: 32
    .workgroup_processor_mode: 1
  - .args:
      - .offset:         0
        .size:           3392
        .value_kind:     by_value
      - .offset:         3392
        .size:           1
        .value_kind:     by_value
      - .offset:         3393
        .size:           1
        .value_kind:     by_value
      - .offset:         3400
        .size:           4
        .value_kind:     hidden_block_count_x
      - .offset:         3404
        .size:           4
        .value_kind:     hidden_block_count_y
      - .offset:         3408
        .size:           4
        .value_kind:     hidden_block_count_z
      - .offset:         3412
        .size:           2
        .value_kind:     hidden_group_size_x
      - .offset:         3414
        .size:           2
        .value_kind:     hidden_group_size_y
      - .offset:         3416
        .size:           2
        .value_kind:     hidden_group_size_z
      - .offset:         3418
        .size:           2
        .value_kind:     hidden_remainder_x
      - .offset:         3420
        .size:           2
        .value_kind:     hidden_remainder_y
      - .offset:         3422
        .size:           2
        .value_kind:     hidden_remainder_z
      - .offset:         3440
        .size:           8
        .value_kind:     hidden_global_offset_x
      - .offset:         3448
        .size:           8
        .value_kind:     hidden_global_offset_y
      - .offset:         3456
        .size:           8
        .value_kind:     hidden_global_offset_z
      - .offset:         3464
        .size:           2
        .value_kind:     hidden_grid_dims
    .group_segment_fixed_size: 0
    .kernarg_segment_align: 8
    .kernarg_segment_size: 3656
    .language:       OpenCL C
    .language_version:
      - 2
      - 0
    .max_flat_workgroup_size: 512
    .name:           _ZN2at6native12_GLOBAL__N_125multi_tensor_apply_kernelINS1_28TensorListScalarListMetadataIiLi2EEENS1_25BinaryOpScalarListFunctorIiLi2ELi1ELi1EEEJNS0_7maximumIiEEEEEvT_T0_DpT1_
    .private_segment_fixed_size: 0
    .sgpr_count:     24
    .sgpr_spill_count: 0
    .symbol:         _ZN2at6native12_GLOBAL__N_125multi_tensor_apply_kernelINS1_28TensorListScalarListMetadataIiLi2EEENS1_25BinaryOpScalarListFunctorIiLi2ELi1ELi1EEEJNS0_7maximumIiEEEEEvT_T0_DpT1_.kd
    .uniform_work_group_size: 1
    .uses_dynamic_stack: false
    .vgpr_count:     29
    .vgpr_spill_count: 0
    .wavefront_size: 32
    .workgroup_processor_mode: 1
  - .args:
      - .offset:         0
        .size:           3648
        .value_kind:     by_value
      - .offset:         3648
        .size:           1
        .value_kind:     by_value
      - .offset:         3649
        .size:           1
        .value_kind:     by_value
      - .offset:         3656
        .size:           4
        .value_kind:     hidden_block_count_x
      - .offset:         3660
        .size:           4
        .value_kind:     hidden_block_count_y
      - .offset:         3664
        .size:           4
        .value_kind:     hidden_block_count_z
      - .offset:         3668
        .size:           2
        .value_kind:     hidden_group_size_x
      - .offset:         3670
        .size:           2
        .value_kind:     hidden_group_size_y
      - .offset:         3672
        .size:           2
        .value_kind:     hidden_group_size_z
      - .offset:         3674
        .size:           2
        .value_kind:     hidden_remainder_x
      - .offset:         3676
        .size:           2
        .value_kind:     hidden_remainder_y
      - .offset:         3678
        .size:           2
        .value_kind:     hidden_remainder_z
      - .offset:         3696
        .size:           8
        .value_kind:     hidden_global_offset_x
      - .offset:         3704
        .size:           8
        .value_kind:     hidden_global_offset_y
      - .offset:         3712
        .size:           8
        .value_kind:     hidden_global_offset_z
      - .offset:         3720
        .size:           2
        .value_kind:     hidden_grid_dims
    .group_segment_fixed_size: 0
    .kernarg_segment_align: 8
    .kernarg_segment_size: 3912
    .language:       OpenCL C
    .language_version:
      - 2
      - 0
    .max_flat_workgroup_size: 512
    .name:           _ZN2at6native12_GLOBAL__N_125multi_tensor_apply_kernelINS1_28TensorListScalarListMetadataIlLi2EEENS1_25BinaryOpScalarListFunctorIlLi2ELi1ELi1EEEJNS0_7maximumIlEEEEEvT_T0_DpT1_
    .private_segment_fixed_size: 0
    .sgpr_count:     26
    .sgpr_spill_count: 0
    .symbol:         _ZN2at6native12_GLOBAL__N_125multi_tensor_apply_kernelINS1_28TensorListScalarListMetadataIlLi2EEENS1_25BinaryOpScalarListFunctorIlLi2ELi1ELi1EEEJNS0_7maximumIlEEEEEvT_T0_DpT1_.kd
    .uniform_work_group_size: 1
    .uses_dynamic_stack: false
    .vgpr_count:     33
    .vgpr_spill_count: 0
    .wavefront_size: 32
    .workgroup_processor_mode: 1
  - .args:
      - .offset:         0
        .size:           3264
        .value_kind:     by_value
      - .offset:         3264
        .size:           1
        .value_kind:     by_value
      - .offset:         3265
        .size:           1
        .value_kind:     by_value
      - .offset:         3272
        .size:           4
        .value_kind:     hidden_block_count_x
      - .offset:         3276
        .size:           4
        .value_kind:     hidden_block_count_y
      - .offset:         3280
        .size:           4
        .value_kind:     hidden_block_count_z
      - .offset:         3284
        .size:           2
        .value_kind:     hidden_group_size_x
      - .offset:         3286
        .size:           2
        .value_kind:     hidden_group_size_y
      - .offset:         3288
        .size:           2
        .value_kind:     hidden_group_size_z
      - .offset:         3290
        .size:           2
        .value_kind:     hidden_remainder_x
      - .offset:         3292
        .size:           2
        .value_kind:     hidden_remainder_y
      - .offset:         3294
        .size:           2
        .value_kind:     hidden_remainder_z
      - .offset:         3312
        .size:           8
        .value_kind:     hidden_global_offset_x
      - .offset:         3320
        .size:           8
        .value_kind:     hidden_global_offset_y
      - .offset:         3328
        .size:           8
        .value_kind:     hidden_global_offset_z
      - .offset:         3336
        .size:           2
        .value_kind:     hidden_grid_dims
    .group_segment_fixed_size: 0
    .kernarg_segment_align: 8
    .kernarg_segment_size: 3528
    .language:       OpenCL C
    .language_version:
      - 2
      - 0
    .max_flat_workgroup_size: 512
    .name:           _ZN2at6native12_GLOBAL__N_125multi_tensor_apply_kernelINS1_28TensorListScalarListMetadataIsLi2EEENS1_25BinaryOpScalarListFunctorIsLi2ELi1ELi1EEEJNS0_7maximumIsEEEEEvT_T0_DpT1_
    .private_segment_fixed_size: 0
    .sgpr_count:     23
    .sgpr_spill_count: 0
    .symbol:         _ZN2at6native12_GLOBAL__N_125multi_tensor_apply_kernelINS1_28TensorListScalarListMetadataIsLi2EEENS1_25BinaryOpScalarListFunctorIsLi2ELi1ELi1EEEJNS0_7maximumIsEEEEEvT_T0_DpT1_.kd
    .uniform_work_group_size: 1
    .uses_dynamic_stack: false
    .vgpr_count:     30
    .vgpr_spill_count: 0
    .wavefront_size: 32
    .workgroup_processor_mode: 1
  - .args:
      - .offset:         0
        .size:           3648
        .value_kind:     by_value
      - .offset:         3648
        .size:           1
        .value_kind:     by_value
      - .offset:         3649
        .size:           1
        .value_kind:     by_value
      - .offset:         3656
        .size:           4
        .value_kind:     hidden_block_count_x
      - .offset:         3660
        .size:           4
        .value_kind:     hidden_block_count_y
      - .offset:         3664
        .size:           4
        .value_kind:     hidden_block_count_z
      - .offset:         3668
        .size:           2
        .value_kind:     hidden_group_size_x
      - .offset:         3670
        .size:           2
        .value_kind:     hidden_group_size_y
      - .offset:         3672
        .size:           2
        .value_kind:     hidden_group_size_z
      - .offset:         3674
        .size:           2
        .value_kind:     hidden_remainder_x
      - .offset:         3676
        .size:           2
        .value_kind:     hidden_remainder_y
      - .offset:         3678
        .size:           2
        .value_kind:     hidden_remainder_z
      - .offset:         3696
        .size:           8
        .value_kind:     hidden_global_offset_x
      - .offset:         3704
        .size:           8
        .value_kind:     hidden_global_offset_y
      - .offset:         3712
        .size:           8
        .value_kind:     hidden_global_offset_z
      - .offset:         3720
        .size:           2
        .value_kind:     hidden_grid_dims
    .group_segment_fixed_size: 0
    .kernarg_segment_align: 8
    .kernarg_segment_size: 3912
    .language:       OpenCL C
    .language_version:
      - 2
      - 0
    .max_flat_workgroup_size: 512
    .name:           _ZN2at6native12_GLOBAL__N_125multi_tensor_apply_kernelINS1_28TensorListScalarListMetadataIdLi2EEENS1_25BinaryOpScalarListFunctorIdLi2ELi1ELi1EEEJNS0_7maximumIdEEEEEvT_T0_DpT1_
    .private_segment_fixed_size: 0
    .sgpr_count:     26
    .sgpr_spill_count: 0
    .symbol:         _ZN2at6native12_GLOBAL__N_125multi_tensor_apply_kernelINS1_28TensorListScalarListMetadataIdLi2EEENS1_25BinaryOpScalarListFunctorIdLi2ELi1ELi1EEEJNS0_7maximumIdEEEEEvT_T0_DpT1_.kd
    .uniform_work_group_size: 1
    .uses_dynamic_stack: false
    .vgpr_count:     33
    .vgpr_spill_count: 0
    .wavefront_size: 32
    .workgroup_processor_mode: 1
  - .args:
      - .offset:         0
        .size:           3392
        .value_kind:     by_value
      - .offset:         3392
        .size:           1
        .value_kind:     by_value
      - .offset:         3393
        .size:           1
        .value_kind:     by_value
      - .offset:         3400
        .size:           4
        .value_kind:     hidden_block_count_x
      - .offset:         3404
        .size:           4
        .value_kind:     hidden_block_count_y
      - .offset:         3408
        .size:           4
        .value_kind:     hidden_block_count_z
      - .offset:         3412
        .size:           2
        .value_kind:     hidden_group_size_x
      - .offset:         3414
        .size:           2
        .value_kind:     hidden_group_size_y
      - .offset:         3416
        .size:           2
        .value_kind:     hidden_group_size_z
      - .offset:         3418
        .size:           2
        .value_kind:     hidden_remainder_x
      - .offset:         3420
        .size:           2
        .value_kind:     hidden_remainder_y
      - .offset:         3422
        .size:           2
        .value_kind:     hidden_remainder_z
      - .offset:         3440
        .size:           8
        .value_kind:     hidden_global_offset_x
      - .offset:         3448
        .size:           8
        .value_kind:     hidden_global_offset_y
      - .offset:         3456
        .size:           8
        .value_kind:     hidden_global_offset_z
      - .offset:         3464
        .size:           2
        .value_kind:     hidden_grid_dims
    .group_segment_fixed_size: 0
    .kernarg_segment_align: 8
    .kernarg_segment_size: 3656
    .language:       OpenCL C
    .language_version:
      - 2
      - 0
    .max_flat_workgroup_size: 512
    .name:           _ZN2at6native12_GLOBAL__N_125multi_tensor_apply_kernelINS1_28TensorListScalarListMetadataIfLi2EEENS1_25BinaryOpScalarListFunctorIfLi2ELi1ELi1EEEJNS0_7maximumIfEEEEEvT_T0_DpT1_
    .private_segment_fixed_size: 0
    .sgpr_count:     24
    .sgpr_spill_count: 0
    .symbol:         _ZN2at6native12_GLOBAL__N_125multi_tensor_apply_kernelINS1_28TensorListScalarListMetadataIfLi2EEENS1_25BinaryOpScalarListFunctorIfLi2ELi1ELi1EEEJNS0_7maximumIfEEEEEvT_T0_DpT1_.kd
    .uniform_work_group_size: 1
    .uses_dynamic_stack: false
    .vgpr_count:     29
    .vgpr_spill_count: 0
    .wavefront_size: 32
    .workgroup_processor_mode: 1
  - .args:
      - .offset:         0
        .size:           3392
        .value_kind:     by_value
      - .offset:         3392
        .size:           1
        .value_kind:     by_value
      - .offset:         3393
        .size:           1
        .value_kind:     by_value
      - .offset:         3400
        .size:           4
        .value_kind:     hidden_block_count_x
      - .offset:         3404
        .size:           4
        .value_kind:     hidden_block_count_y
      - .offset:         3408
        .size:           4
        .value_kind:     hidden_block_count_z
      - .offset:         3412
        .size:           2
        .value_kind:     hidden_group_size_x
      - .offset:         3414
        .size:           2
        .value_kind:     hidden_group_size_y
      - .offset:         3416
        .size:           2
        .value_kind:     hidden_group_size_z
      - .offset:         3418
        .size:           2
        .value_kind:     hidden_remainder_x
      - .offset:         3420
        .size:           2
        .value_kind:     hidden_remainder_y
      - .offset:         3422
        .size:           2
        .value_kind:     hidden_remainder_z
      - .offset:         3440
        .size:           8
        .value_kind:     hidden_global_offset_x
      - .offset:         3448
        .size:           8
        .value_kind:     hidden_global_offset_y
      - .offset:         3456
        .size:           8
        .value_kind:     hidden_global_offset_z
      - .offset:         3464
        .size:           2
        .value_kind:     hidden_grid_dims
    .group_segment_fixed_size: 0
    .kernarg_segment_align: 8
    .kernarg_segment_size: 3656
    .language:       OpenCL C
    .language_version:
      - 2
      - 0
    .max_flat_workgroup_size: 512
    .name:           _ZN2at6native12_GLOBAL__N_125multi_tensor_apply_kernelINS1_28TensorListScalarListMetadataIfLi2EEENS1_25BinaryOpScalarListFunctorIN3c104HalfELi2ELi1ELi1EEEJNS0_7maximumIfEEEEEvT_T0_DpT1_
    .private_segment_fixed_size: 0
    .sgpr_count:     24
    .sgpr_spill_count: 0
    .symbol:         _ZN2at6native12_GLOBAL__N_125multi_tensor_apply_kernelINS1_28TensorListScalarListMetadataIfLi2EEENS1_25BinaryOpScalarListFunctorIN3c104HalfELi2ELi1ELi1EEEJNS0_7maximumIfEEEEEvT_T0_DpT1_.kd
    .uniform_work_group_size: 1
    .uses_dynamic_stack: false
    .vgpr_count:     30
    .vgpr_spill_count: 0
    .wavefront_size: 32
    .workgroup_processor_mode: 1
  - .args:
      - .offset:         0
        .size:           3392
        .value_kind:     by_value
      - .offset:         3392
        .size:           1
        .value_kind:     by_value
      - .offset:         3393
        .size:           1
        .value_kind:     by_value
      - .offset:         3400
        .size:           4
        .value_kind:     hidden_block_count_x
      - .offset:         3404
        .size:           4
        .value_kind:     hidden_block_count_y
      - .offset:         3408
        .size:           4
        .value_kind:     hidden_block_count_z
      - .offset:         3412
        .size:           2
        .value_kind:     hidden_group_size_x
      - .offset:         3414
        .size:           2
        .value_kind:     hidden_group_size_y
      - .offset:         3416
        .size:           2
        .value_kind:     hidden_group_size_z
      - .offset:         3418
        .size:           2
        .value_kind:     hidden_remainder_x
      - .offset:         3420
        .size:           2
        .value_kind:     hidden_remainder_y
      - .offset:         3422
        .size:           2
        .value_kind:     hidden_remainder_z
      - .offset:         3440
        .size:           8
        .value_kind:     hidden_global_offset_x
      - .offset:         3448
        .size:           8
        .value_kind:     hidden_global_offset_y
      - .offset:         3456
        .size:           8
        .value_kind:     hidden_global_offset_z
      - .offset:         3464
        .size:           2
        .value_kind:     hidden_grid_dims
    .group_segment_fixed_size: 0
    .kernarg_segment_align: 8
    .kernarg_segment_size: 3656
    .language:       OpenCL C
    .language_version:
      - 2
      - 0
    .max_flat_workgroup_size: 512
    .name:           _ZN2at6native12_GLOBAL__N_125multi_tensor_apply_kernelINS1_28TensorListScalarListMetadataIfLi2EEENS1_25BinaryOpScalarListFunctorIN3c108BFloat16ELi2ELi1ELi1EEEJNS0_7maximumIfEEEEEvT_T0_DpT1_
    .private_segment_fixed_size: 0
    .sgpr_count:     24
    .sgpr_spill_count: 0
    .symbol:         _ZN2at6native12_GLOBAL__N_125multi_tensor_apply_kernelINS1_28TensorListScalarListMetadataIfLi2EEENS1_25BinaryOpScalarListFunctorIN3c108BFloat16ELi2ELi1ELi1EEEJNS0_7maximumIfEEEEEvT_T0_DpT1_.kd
    .uniform_work_group_size: 1
    .uses_dynamic_stack: false
    .vgpr_count:     30
    .vgpr_spill_count: 0
    .wavefront_size: 32
    .workgroup_processor_mode: 1
amdhsa.target:   amdgcn-amd-amdhsa--gfx1100
amdhsa.version:
  - 1
  - 2
...

	.end_amdgpu_metadata
